;; amdgpu-corpus repo=pytorch/pytorch kind=compiled arch=gfx1030 opt=O3
	.amdgcn_target "amdgcn-amd-amdhsa--gfx1030"
	.amdhsa_code_object_version 6
	.section	.text._ZN2at6native29vectorized_elementwise_kernelILi16EZZZNS0_16atan_kernel_cudaERNS_18TensorIteratorBaseEENKUlvE0_clEvENKUlvE_clEvEUldE_St5arrayIPcLm2EEEEviT0_T1_,"axG",@progbits,_ZN2at6native29vectorized_elementwise_kernelILi16EZZZNS0_16atan_kernel_cudaERNS_18TensorIteratorBaseEENKUlvE0_clEvENKUlvE_clEvEUldE_St5arrayIPcLm2EEEEviT0_T1_,comdat
	.globl	_ZN2at6native29vectorized_elementwise_kernelILi16EZZZNS0_16atan_kernel_cudaERNS_18TensorIteratorBaseEENKUlvE0_clEvENKUlvE_clEvEUldE_St5arrayIPcLm2EEEEviT0_T1_ ; -- Begin function _ZN2at6native29vectorized_elementwise_kernelILi16EZZZNS0_16atan_kernel_cudaERNS_18TensorIteratorBaseEENKUlvE0_clEvENKUlvE_clEvEUldE_St5arrayIPcLm2EEEEviT0_T1_
	.p2align	8
	.type	_ZN2at6native29vectorized_elementwise_kernelILi16EZZZNS0_16atan_kernel_cudaERNS_18TensorIteratorBaseEENKUlvE0_clEvENKUlvE_clEvEUldE_St5arrayIPcLm2EEEEviT0_T1_,@function
_ZN2at6native29vectorized_elementwise_kernelILi16EZZZNS0_16atan_kernel_cudaERNS_18TensorIteratorBaseEENKUlvE0_clEvENKUlvE_clEvEUldE_St5arrayIPcLm2EEEEviT0_T1_: ; @_ZN2at6native29vectorized_elementwise_kernelILi16EZZZNS0_16atan_kernel_cudaERNS_18TensorIteratorBaseEENKUlvE0_clEvENKUlvE_clEvEUldE_St5arrayIPcLm2EEEEviT0_T1_
; %bb.0:
	s_clause 0x1
	s_load_dword s0, s[4:5], 0x0
	s_load_dwordx4 s[8:11], s[4:5], 0x8
	s_lshl_b32 s4, s6, 10
	s_waitcnt lgkmcnt(0)
	s_sub_i32 s3, s0, s4
	s_mov_b32 s0, -1
	s_cmpk_gt_i32 s3, 0x3ff
	s_cbranch_scc0 .LBB0_2
; %bb.1:
	s_ashr_i32 s5, s4, 31
	v_lshlrev_b32_e32 v49, 5, v0
	s_lshl_b64 s[6:7], s[4:5], 3
	s_mov_b32 s12, 0xbd3237f4
	s_add_u32 s0, s10, s6
	s_addc_u32 s1, s11, s7
	s_mov_b32 s14, 0xb5e68a13
	s_clause 0x1
	global_load_dwordx4 v[1:4], v49, s[0:1]
	global_load_dwordx4 v[5:8], v49, s[0:1] offset:16
	s_mov_b32 s13, 0xbf23e260
	s_mov_b32 s15, 0x3eeba404
	s_add_u32 s6, s8, s6
	s_addc_u32 s7, s9, s7
	s_waitcnt vmcnt(1)
	v_and_b32_e32 v10, 0x7fffffff, v2
	v_mov_b32_e32 v9, v1
	v_and_b32_e32 v12, 0x7fffffff, v4
	v_mov_b32_e32 v11, v3
	s_waitcnt vmcnt(0)
	v_and_b32_e32 v14, 0x7fffffff, v6
	v_mov_b32_e32 v13, v5
	v_div_scale_f64 v[15:16], null, v[9:10], v[9:10], 1.0
	v_and_b32_e32 v18, 0x7fffffff, v8
	v_mov_b32_e32 v17, v7
	v_div_scale_f64 v[19:20], null, v[11:12], v[11:12], 1.0
	v_div_scale_f64 v[21:22], null, v[13:14], v[13:14], 1.0
	;; [unrolled: 1-line block ×3, first 2 shown]
	v_div_scale_f64 v[41:42], vcc_lo, 1.0, v[9:10], 1.0
	v_rcp_f64_e32 v[25:26], v[15:16]
	v_rcp_f64_e32 v[27:28], v[19:20]
	;; [unrolled: 1-line block ×4, first 2 shown]
	v_fma_f64 v[33:34], -v[15:16], v[25:26], 1.0
	v_fma_f64 v[35:36], -v[19:20], v[27:28], 1.0
	;; [unrolled: 1-line block ×4, first 2 shown]
	v_fma_f64 v[25:26], v[25:26], v[33:34], v[25:26]
	v_fma_f64 v[27:28], v[27:28], v[35:36], v[27:28]
	;; [unrolled: 1-line block ×4, first 2 shown]
	v_fma_f64 v[33:34], -v[15:16], v[25:26], 1.0
	v_fma_f64 v[35:36], -v[19:20], v[27:28], 1.0
	;; [unrolled: 1-line block ×4, first 2 shown]
	v_fma_f64 v[25:26], v[25:26], v[33:34], v[25:26]
	v_div_scale_f64 v[33:34], s0, 1.0, v[11:12], 1.0
	v_fma_f64 v[27:28], v[27:28], v[35:36], v[27:28]
	v_div_scale_f64 v[35:36], s1, 1.0, v[13:14], 1.0
	;; [unrolled: 2-line block ×3, first 2 shown]
	v_fma_f64 v[31:32], v[31:32], v[39:40], v[31:32]
	v_mul_f64 v[39:40], v[41:42], v[25:26]
	v_mul_f64 v[43:44], v[33:34], v[27:28]
	;; [unrolled: 1-line block ×4, first 2 shown]
	v_fma_f64 v[15:16], -v[15:16], v[39:40], v[41:42]
	v_fma_f64 v[19:20], -v[19:20], v[43:44], v[33:34]
	;; [unrolled: 1-line block ×4, first 2 shown]
	v_div_fmas_f64 v[15:16], v[15:16], v[25:26], v[39:40]
	s_mov_b32 vcc_lo, s0
	v_cmp_gt_f64_e64 s0, |v[3:4]|, 1.0
	v_div_fmas_f64 v[19:20], v[19:20], v[27:28], v[43:44]
	s_mov_b32 vcc_lo, s1
	v_cmp_gt_f64_e64 s1, |v[5:6]|, 1.0
	;; [unrolled: 3-line block ×3, first 2 shown]
	v_div_fmas_f64 v[23:24], v[23:24], v[31:32], v[47:48]
	v_cmp_gt_f64_e64 vcc_lo, |v[1:2]|, 1.0
	v_div_fixup_f64 v[15:16], v[15:16], |v[1:2]|, 1.0
	v_div_fixup_f64 v[19:20], v[19:20], |v[3:4]|, 1.0
	;; [unrolled: 1-line block ×4, first 2 shown]
	v_cndmask_b32_e32 v10, v10, v16, vcc_lo
	v_cndmask_b32_e32 v9, v1, v15, vcc_lo
	v_cndmask_b32_e64 v12, v12, v20, s0
	v_cndmask_b32_e64 v11, v3, v19, s0
	v_mul_f64 v[15:16], v[9:10], v[9:10]
	v_cndmask_b32_e64 v14, v14, v22, s1
	v_cndmask_b32_e64 v13, v5, v21, s1
	;; [unrolled: 1-line block ×4, first 2 shown]
	v_mul_f64 v[19:20], v[11:12], v[11:12]
	v_mul_f64 v[21:22], v[13:14], v[13:14]
	;; [unrolled: 1-line block ×3, first 2 shown]
	v_fma_f64 v[25:26], v[15:16], s[14:15], s[12:13]
	v_fma_f64 v[27:28], v[19:20], s[14:15], s[12:13]
	;; [unrolled: 1-line block ×4, first 2 shown]
	s_mov_b32 s12, 0x69efb384
	s_mov_b32 s13, 0x3f4b2bb0
	;; [unrolled: 1-line block ×4, first 2 shown]
	v_fma_f64 v[25:26], v[15:16], v[25:26], s[12:13]
	v_fma_f64 v[27:28], v[19:20], v[27:28], s[12:13]
	v_fma_f64 v[29:30], v[21:22], v[29:30], s[12:13]
	v_fma_f64 v[31:32], v[23:24], v[31:32], s[12:13]
	s_mov_b32 s12, 0xaf56de9b
	s_mov_b32 s13, 0xbf67952d
	v_fma_f64 v[25:26], v[15:16], v[25:26], s[12:13]
	v_fma_f64 v[27:28], v[19:20], v[27:28], s[12:13]
	v_fma_f64 v[29:30], v[21:22], v[29:30], s[12:13]
	v_fma_f64 v[31:32], v[23:24], v[31:32], s[12:13]
	s_mov_b32 s12, 0xa595c56f
	s_mov_b32 s13, 0x3f7d6d43
	;; [unrolled: 6-line block ×18, first 2 shown]
	v_mul_f64 v[15:16], v[15:16], v[25:26]
	v_mul_f64 v[19:20], v[19:20], v[27:28]
	;; [unrolled: 1-line block ×4, first 2 shown]
	v_fma_f64 v[9:10], v[9:10], v[15:16], v[9:10]
	v_fma_f64 v[11:12], v[11:12], v[19:20], v[11:12]
	;; [unrolled: 1-line block ×4, first 2 shown]
	v_fma_f64 v[17:18], s[14:15], s[12:13], -v[9:10]
	v_fma_f64 v[19:20], s[14:15], s[12:13], -v[11:12]
	;; [unrolled: 1-line block ×4, first 2 shown]
	v_cndmask_b32_e32 v1, v9, v17, vcc_lo
	v_cndmask_b32_e32 v7, v10, v18, vcc_lo
	v_cndmask_b32_e64 v3, v11, v19, s0
	v_cndmask_b32_e64 v9, v12, v20, s0
	;; [unrolled: 1-line block ×5, first 2 shown]
	v_bfi_b32 v2, 0x7fffffff, v7, v2
	v_cndmask_b32_e64 v7, v15, v23, s2
	v_bfi_b32 v4, 0x7fffffff, v9, v4
	v_bfi_b32 v6, 0x7fffffff, v10, v6
	;; [unrolled: 1-line block ×3, first 2 shown]
	s_mov_b32 s0, 0
	global_store_dwordx4 v49, v[1:4], s[6:7]
	global_store_dwordx4 v49, v[5:8], s[6:7] offset:16
.LBB0_2:
	s_andn2_b32 vcc_lo, exec_lo, s0
	s_cbranch_vccnz .LBB0_23
; %bb.3:
	v_mov_b32_e32 v14, 0
	v_mov_b32_e32 v16, 0
	v_cmp_gt_i32_e64 s0, s3, v0
	v_mov_b32_e32 v15, 0
	v_or_b32_e32 v9, s4, v0
	v_or_b32_e32 v18, 0x100, v0
	v_mov_b32_e32 v17, 0
	v_mov_b32_e32 v1, v0
	s_and_saveexec_b32 s1, s0
	s_cbranch_execz .LBB0_5
; %bb.4:
	v_mov_b32_e32 v10, 0
	v_lshlrev_b64 v[1:2], 3, v[9:10]
	v_add_co_u32 v1, vcc_lo, s10, v1
	v_add_co_ci_u32_e64 v2, null, s11, v2, vcc_lo
	global_load_dwordx2 v[16:17], v[1:2], off
	v_or_b32_e32 v1, 0x100, v0
.LBB0_5:
	s_or_b32 exec_lo, exec_lo, s1
	s_mov_b32 s1, exec_lo
	v_cmpx_gt_i32_e64 s3, v1
	s_cbranch_execz .LBB0_7
; %bb.6:
	v_add_nc_u32_e32 v2, s4, v1
	v_mov_b32_e32 v3, 0
	v_add_nc_u32_e32 v1, 0x100, v1
	v_lshlrev_b64 v[2:3], 3, v[2:3]
	v_add_co_u32 v2, vcc_lo, s10, v2
	v_add_co_ci_u32_e64 v3, null, s11, v3, vcc_lo
	global_load_dwordx2 v[14:15], v[2:3], off
.LBB0_7:
	s_or_b32 exec_lo, exec_lo, s1
	v_mov_b32_e32 v10, 0
	v_mov_b32_e32 v12, 0
	;; [unrolled: 1-line block ×4, first 2 shown]
	s_mov_b32 s1, exec_lo
	v_cmpx_gt_i32_e64 s3, v1
	s_cbranch_execz .LBB0_9
; %bb.8:
	v_add_nc_u32_e32 v2, s4, v1
	v_mov_b32_e32 v3, 0
	v_add_nc_u32_e32 v1, 0x100, v1
	v_lshlrev_b64 v[2:3], 3, v[2:3]
	v_add_co_u32 v2, vcc_lo, s10, v2
	v_add_co_ci_u32_e64 v3, null, s11, v3, vcc_lo
	global_load_dwordx2 v[12:13], v[2:3], off
.LBB0_9:
	s_or_b32 exec_lo, exec_lo, s1
	s_mov_b32 s1, exec_lo
	v_cmpx_gt_i32_e64 s3, v1
	s_cbranch_execz .LBB0_11
; %bb.10:
	v_add_nc_u32_e32 v1, s4, v1
	v_mov_b32_e32 v2, 0
	v_lshlrev_b64 v[1:2], 3, v[1:2]
	v_add_co_u32 v1, vcc_lo, s10, v1
	v_add_co_ci_u32_e64 v2, null, s11, v2, vcc_lo
	global_load_dwordx2 v[10:11], v[1:2], off
.LBB0_11:
	s_or_b32 exec_lo, exec_lo, s1
	v_mov_b32_e32 v1, 0
	v_mov_b32_e32 v2, v1
	;; [unrolled: 1-line block ×8, first 2 shown]
	s_and_saveexec_b32 s1, s0
	s_cbranch_execz .LBB0_13
; %bb.12:
	s_waitcnt vmcnt(0)
	v_and_b32_e32 v3, 0x7fffffff, v17
	v_mov_b32_e32 v2, v16
	s_mov_b32 s6, 0xbd3237f4
	s_mov_b32 s10, 0xb5e68a13
	;; [unrolled: 1-line block ×4, first 2 shown]
	v_div_scale_f64 v[4:5], null, v[2:3], v[2:3], 1.0
	v_div_scale_f64 v[21:22], vcc_lo, 1.0, v[2:3], 1.0
	v_mov_b32_e32 v23, v1
	v_mov_b32_e32 v24, v1
	;; [unrolled: 1-line block ×4, first 2 shown]
	v_rcp_f64_e32 v[6:7], v[4:5]
	v_fma_f64 v[19:20], -v[4:5], v[6:7], 1.0
	v_fma_f64 v[6:7], v[6:7], v[19:20], v[6:7]
	v_fma_f64 v[19:20], -v[4:5], v[6:7], 1.0
	v_fma_f64 v[6:7], v[6:7], v[19:20], v[6:7]
	v_mul_f64 v[19:20], v[21:22], v[6:7]
	v_fma_f64 v[4:5], -v[4:5], v[19:20], v[21:22]
	v_mov_b32_e32 v21, v1
	v_mov_b32_e32 v22, v1
	v_div_fmas_f64 v[4:5], v[4:5], v[6:7], v[19:20]
	v_cmp_gt_f64_e64 vcc_lo, |v[16:17]|, 1.0
	v_div_fixup_f64 v[4:5], v[4:5], |v[16:17]|, 1.0
	v_cndmask_b32_e32 v3, v3, v5, vcc_lo
	v_cndmask_b32_e32 v2, v16, v4, vcc_lo
	v_mul_f64 v[4:5], v[2:3], v[2:3]
	v_fma_f64 v[6:7], v[4:5], s[10:11], s[6:7]
	s_mov_b32 s6, 0x69efb384
	s_mov_b32 s7, 0x3f4b2bb0
	;; [unrolled: 1-line block ×4, first 2 shown]
	v_fma_f64 v[6:7], v[4:5], v[6:7], s[6:7]
	s_mov_b32 s6, 0xaf56de9b
	s_mov_b32 s7, 0xbf67952d
	v_fma_f64 v[6:7], v[4:5], v[6:7], s[6:7]
	s_mov_b32 s6, 0xa595c56f
	s_mov_b32 s7, 0x3f7d6d43
	;; [unrolled: 3-line block ×18, first 2 shown]
	v_mul_f64 v[4:5], v[4:5], v[6:7]
	v_fma_f64 v[2:3], v[2:3], v[4:5], v[2:3]
	v_fma_f64 v[4:5], s[10:11], s[6:7], -v[2:3]
	v_cndmask_b32_e32 v3, v3, v5, vcc_lo
	v_cndmask_b32_e32 v19, v2, v4, vcc_lo
	v_bfi_b32 v20, 0x7fffffff, v3, v17
	v_mov_b32_e32 v1, v19
	v_mov_b32_e32 v3, v21
	;; [unrolled: 1-line block ×8, first 2 shown]
.LBB0_13:
	s_or_b32 exec_lo, exec_lo, s1
	s_mov_b32 s1, exec_lo
	v_cmpx_gt_i32_e64 s3, v18
	s_cbranch_execz .LBB0_15
; %bb.14:
	s_waitcnt vmcnt(0)
	v_and_b32_e32 v4, 0x7fffffff, v15
	v_mov_b32_e32 v3, v14
	s_mov_b32 s6, 0xbd3237f4
	s_mov_b32 s10, 0xb5e68a13
	;; [unrolled: 1-line block ×4, first 2 shown]
	v_div_scale_f64 v[16:17], null, v[3:4], v[3:4], 1.0
	v_div_scale_f64 v[23:24], vcc_lo, 1.0, v[3:4], 1.0
	v_rcp_f64_e32 v[19:20], v[16:17]
	v_fma_f64 v[21:22], -v[16:17], v[19:20], 1.0
	v_fma_f64 v[19:20], v[19:20], v[21:22], v[19:20]
	v_fma_f64 v[21:22], -v[16:17], v[19:20], 1.0
	v_fma_f64 v[19:20], v[19:20], v[21:22], v[19:20]
	v_mul_f64 v[21:22], v[23:24], v[19:20]
	v_fma_f64 v[16:17], -v[16:17], v[21:22], v[23:24]
	v_div_fmas_f64 v[16:17], v[16:17], v[19:20], v[21:22]
	v_cmp_gt_f64_e64 vcc_lo, |v[14:15]|, 1.0
	v_div_fixup_f64 v[16:17], v[16:17], |v[14:15]|, 1.0
	v_cndmask_b32_e32 v4, v4, v17, vcc_lo
	v_cndmask_b32_e32 v3, v14, v16, vcc_lo
	v_mul_f64 v[16:17], v[3:4], v[3:4]
	v_fma_f64 v[19:20], v[16:17], s[10:11], s[6:7]
	s_mov_b32 s6, 0x69efb384
	s_mov_b32 s7, 0x3f4b2bb0
	;; [unrolled: 1-line block ×4, first 2 shown]
	v_fma_f64 v[19:20], v[16:17], v[19:20], s[6:7]
	s_mov_b32 s6, 0xaf56de9b
	s_mov_b32 s7, 0xbf67952d
	v_fma_f64 v[19:20], v[16:17], v[19:20], s[6:7]
	s_mov_b32 s6, 0xa595c56f
	s_mov_b32 s7, 0x3f7d6d43
	v_fma_f64 v[19:20], v[16:17], v[19:20], s[6:7]
	s_mov_b32 s6, 0xa57d9582
	s_mov_b32 s7, 0xbf8c6ea4
	v_fma_f64 v[19:20], v[16:17], v[19:20], s[6:7]
	s_mov_b32 s6, 0x5f08b19f
	s_mov_b32 s7, 0x3f967e29
	v_fma_f64 v[19:20], v[16:17], v[19:20], s[6:7]
	s_mov_b32 s6, 0xfc27006a
	s_mov_b32 s7, 0xbf9e9ae6
	v_fma_f64 v[19:20], v[16:17], v[19:20], s[6:7]
	s_mov_b32 s6, 0x5711927a
	s_mov_b32 s7, 0x3fa2c15b
	v_fma_f64 v[19:20], v[16:17], v[19:20], s[6:7]
	s_mov_b32 s6, 0xe82d3ff0
	s_mov_b32 s7, 0xbfa59976
	v_fma_f64 v[19:20], v[16:17], v[19:20], s[6:7]
	s_mov_b32 s6, 0x6ef28734
	s_mov_b32 s7, 0x3fa82d5d
	v_fma_f64 v[19:20], v[16:17], v[19:20], s[6:7]
	s_mov_b32 s6, 0x6a214619
	s_mov_b32 s7, 0xbfaae5ce
	v_fma_f64 v[19:20], v[16:17], v[19:20], s[6:7]
	s_mov_b32 s6, 0x8427b883
	s_mov_b32 s7, 0x3fae1bb4
	v_fma_f64 v[19:20], v[16:17], v[19:20], s[6:7]
	s_mov_b32 s6, 0x8b207f05
	s_mov_b32 s7, 0xbfb110e4
	v_fma_f64 v[19:20], v[16:17], v[19:20], s[6:7]
	s_mov_b32 s6, 0x57b87036
	s_mov_b32 s7, 0x3fb3b136
	v_fma_f64 v[19:20], v[16:17], v[19:20], s[6:7]
	s_mov_b32 s6, 0x19378e4f
	s_mov_b32 s7, 0xbfb745d1
	v_fma_f64 v[19:20], v[16:17], v[19:20], s[6:7]
	s_mov_b32 s6, 0x17e1913c
	s_mov_b32 s7, 0x3fbc71c7
	v_fma_f64 v[19:20], v[16:17], v[19:20], s[6:7]
	s_mov_b32 s6, 0x92376b7d
	s_mov_b32 s7, 0xbfc24924
	v_fma_f64 v[19:20], v[16:17], v[19:20], s[6:7]
	s_mov_b32 s6, 0x999952cc
	s_mov_b32 s7, 0x3fc99999
	v_fma_f64 v[19:20], v[16:17], v[19:20], s[6:7]
	s_mov_b32 s6, 0x55555523
	s_mov_b32 s7, 0xbfd55555
	v_fma_f64 v[19:20], v[16:17], v[19:20], s[6:7]
	s_mov_b32 s6, 0xeeb562d6
	s_mov_b32 s7, 0x3ffaf154
	v_mul_f64 v[16:17], v[16:17], v[19:20]
	v_fma_f64 v[3:4], v[3:4], v[16:17], v[3:4]
	v_fma_f64 v[16:17], s[10:11], s[6:7], -v[3:4]
	v_cndmask_b32_e32 v4, v4, v17, vcc_lo
	v_cndmask_b32_e32 v3, v3, v16, vcc_lo
	v_bfi_b32 v4, 0x7fffffff, v4, v15
.LBB0_15:
	s_or_b32 exec_lo, exec_lo, s1
	s_waitcnt vmcnt(0)
	v_or_b32_e32 v14, 0x200, v0
	s_mov_b32 s1, exec_lo
	v_cmpx_gt_i32_e64 s3, v14
	s_cbranch_execz .LBB0_17
; %bb.16:
	v_and_b32_e32 v6, 0x7fffffff, v13
	v_mov_b32_e32 v5, v12
	s_mov_b32 s6, 0xbd3237f4
	s_mov_b32 s10, 0xb5e68a13
	s_mov_b32 s7, 0xbf23e260
	s_mov_b32 s11, 0x3eeba404
	v_div_scale_f64 v[14:15], null, v[5:6], v[5:6], 1.0
	v_div_scale_f64 v[21:22], vcc_lo, 1.0, v[5:6], 1.0
	v_rcp_f64_e32 v[16:17], v[14:15]
	v_fma_f64 v[19:20], -v[14:15], v[16:17], 1.0
	v_fma_f64 v[16:17], v[16:17], v[19:20], v[16:17]
	v_fma_f64 v[19:20], -v[14:15], v[16:17], 1.0
	v_fma_f64 v[16:17], v[16:17], v[19:20], v[16:17]
	v_mul_f64 v[19:20], v[21:22], v[16:17]
	v_fma_f64 v[14:15], -v[14:15], v[19:20], v[21:22]
	v_div_fmas_f64 v[14:15], v[14:15], v[16:17], v[19:20]
	v_cmp_gt_f64_e64 vcc_lo, |v[12:13]|, 1.0
	v_div_fixup_f64 v[14:15], v[14:15], |v[12:13]|, 1.0
	v_cndmask_b32_e32 v6, v6, v15, vcc_lo
	v_cndmask_b32_e32 v5, v12, v14, vcc_lo
	v_mul_f64 v[14:15], v[5:6], v[5:6]
	v_fma_f64 v[16:17], v[14:15], s[10:11], s[6:7]
	s_mov_b32 s6, 0x69efb384
	s_mov_b32 s7, 0x3f4b2bb0
	;; [unrolled: 1-line block ×4, first 2 shown]
	v_fma_f64 v[16:17], v[14:15], v[16:17], s[6:7]
	s_mov_b32 s6, 0xaf56de9b
	s_mov_b32 s7, 0xbf67952d
	v_fma_f64 v[16:17], v[14:15], v[16:17], s[6:7]
	s_mov_b32 s6, 0xa595c56f
	s_mov_b32 s7, 0x3f7d6d43
	;; [unrolled: 3-line block ×18, first 2 shown]
	v_mul_f64 v[14:15], v[14:15], v[16:17]
	v_fma_f64 v[5:6], v[5:6], v[14:15], v[5:6]
	v_fma_f64 v[14:15], s[10:11], s[6:7], -v[5:6]
	v_cndmask_b32_e32 v6, v6, v15, vcc_lo
	v_cndmask_b32_e32 v5, v5, v14, vcc_lo
	v_bfi_b32 v6, 0x7fffffff, v6, v13
.LBB0_17:
	s_or_b32 exec_lo, exec_lo, s1
	v_or_b32_e32 v12, 0x300, v0
	s_mov_b32 s1, exec_lo
	v_cmpx_gt_i32_e64 s3, v12
	s_cbranch_execnz .LBB0_24
; %bb.18:
	s_or_b32 exec_lo, exec_lo, s1
	s_and_saveexec_b32 s1, s0
	s_xor_b32 s0, exec_lo, s1
	s_cbranch_execnz .LBB0_25
.LBB0_19:
	s_or_b32 exec_lo, exec_lo, s0
	s_mov_b32 s0, exec_lo
	v_cmpx_gt_i32_e64 s3, v0
	s_cbranch_execnz .LBB0_26
.LBB0_20:
	s_or_b32 exec_lo, exec_lo, s0
	s_mov_b32 s0, exec_lo
	v_cmpx_gt_i32_e64 s3, v0
	s_cbranch_execnz .LBB0_27
.LBB0_21:
	s_or_b32 exec_lo, exec_lo, s0
	s_mov_b32 s0, exec_lo
	v_cmpx_gt_i32_e64 s3, v0
	s_cbranch_execz .LBB0_23
.LBB0_22:
	v_add_nc_u32_e32 v0, s4, v0
	v_mov_b32_e32 v1, 0
	v_lshlrev_b64 v[0:1], 3, v[0:1]
	v_add_co_u32 v0, vcc_lo, s8, v0
	v_add_co_ci_u32_e64 v1, null, s9, v1, vcc_lo
	global_store_dwordx2 v[0:1], v[7:8], off
.LBB0_23:
	s_endpgm
.LBB0_24:
	v_and_b32_e32 v8, 0x7fffffff, v11
	v_mov_b32_e32 v7, v10
	s_mov_b32 s6, 0xbd3237f4
	s_mov_b32 s10, 0xb5e68a13
	;; [unrolled: 1-line block ×4, first 2 shown]
	v_div_scale_f64 v[12:13], null, v[7:8], v[7:8], 1.0
	v_div_scale_f64 v[19:20], vcc_lo, 1.0, v[7:8], 1.0
	v_rcp_f64_e32 v[14:15], v[12:13]
	v_fma_f64 v[16:17], -v[12:13], v[14:15], 1.0
	v_fma_f64 v[14:15], v[14:15], v[16:17], v[14:15]
	v_fma_f64 v[16:17], -v[12:13], v[14:15], 1.0
	v_fma_f64 v[14:15], v[14:15], v[16:17], v[14:15]
	v_mul_f64 v[16:17], v[19:20], v[14:15]
	v_fma_f64 v[12:13], -v[12:13], v[16:17], v[19:20]
	v_div_fmas_f64 v[12:13], v[12:13], v[14:15], v[16:17]
	v_cmp_gt_f64_e64 vcc_lo, |v[10:11]|, 1.0
	v_div_fixup_f64 v[12:13], v[12:13], |v[10:11]|, 1.0
	v_cndmask_b32_e32 v8, v8, v13, vcc_lo
	v_cndmask_b32_e32 v7, v10, v12, vcc_lo
	v_mul_f64 v[12:13], v[7:8], v[7:8]
	v_fma_f64 v[14:15], v[12:13], s[10:11], s[6:7]
	s_mov_b32 s6, 0x69efb384
	s_mov_b32 s7, 0x3f4b2bb0
	s_mov_b32 s10, 0x336a0500
	s_mov_b32 s11, 0x3fedd9ad
	v_fma_f64 v[14:15], v[12:13], v[14:15], s[6:7]
	s_mov_b32 s6, 0xaf56de9b
	s_mov_b32 s7, 0xbf67952d
	v_fma_f64 v[14:15], v[12:13], v[14:15], s[6:7]
	s_mov_b32 s6, 0xa595c56f
	s_mov_b32 s7, 0x3f7d6d43
	;; [unrolled: 3-line block ×18, first 2 shown]
	v_mul_f64 v[12:13], v[12:13], v[14:15]
	v_fma_f64 v[7:8], v[7:8], v[12:13], v[7:8]
	v_fma_f64 v[12:13], s[10:11], s[6:7], -v[7:8]
	v_cndmask_b32_e32 v8, v8, v13, vcc_lo
	v_cndmask_b32_e32 v7, v7, v12, vcc_lo
	v_bfi_b32 v8, 0x7fffffff, v8, v11
	s_or_b32 exec_lo, exec_lo, s1
	s_and_saveexec_b32 s1, s0
	s_xor_b32 s0, exec_lo, s1
	s_cbranch_execz .LBB0_19
.LBB0_25:
	v_mov_b32_e32 v10, 0
	v_mov_b32_e32 v0, v18
	v_lshlrev_b64 v[9:10], 3, v[9:10]
	v_add_co_u32 v9, vcc_lo, s8, v9
	v_add_co_ci_u32_e64 v10, null, s9, v10, vcc_lo
	global_store_dwordx2 v[9:10], v[1:2], off
	s_or_b32 exec_lo, exec_lo, s0
	s_mov_b32 s0, exec_lo
	v_cmpx_gt_i32_e64 s3, v0
	s_cbranch_execz .LBB0_20
.LBB0_26:
	v_add_nc_u32_e32 v1, s4, v0
	v_mov_b32_e32 v2, 0
	v_add_nc_u32_e32 v0, 0x100, v0
	v_lshlrev_b64 v[1:2], 3, v[1:2]
	v_add_co_u32 v1, vcc_lo, s8, v1
	v_add_co_ci_u32_e64 v2, null, s9, v2, vcc_lo
	global_store_dwordx2 v[1:2], v[3:4], off
	s_or_b32 exec_lo, exec_lo, s0
	s_mov_b32 s0, exec_lo
	v_cmpx_gt_i32_e64 s3, v0
	s_cbranch_execz .LBB0_21
.LBB0_27:
	v_add_nc_u32_e32 v1, s4, v0
	v_mov_b32_e32 v2, 0
	v_add_nc_u32_e32 v0, 0x100, v0
	v_lshlrev_b64 v[1:2], 3, v[1:2]
	v_add_co_u32 v1, vcc_lo, s8, v1
	v_add_co_ci_u32_e64 v2, null, s9, v2, vcc_lo
	global_store_dwordx2 v[1:2], v[5:6], off
	s_or_b32 exec_lo, exec_lo, s0
	s_mov_b32 s0, exec_lo
	v_cmpx_gt_i32_e64 s3, v0
	s_cbranch_execnz .LBB0_22
	s_branch .LBB0_23
	.section	.rodata,"a",@progbits
	.p2align	6, 0x0
	.amdhsa_kernel _ZN2at6native29vectorized_elementwise_kernelILi16EZZZNS0_16atan_kernel_cudaERNS_18TensorIteratorBaseEENKUlvE0_clEvENKUlvE_clEvEUldE_St5arrayIPcLm2EEEEviT0_T1_
		.amdhsa_group_segment_fixed_size 0
		.amdhsa_private_segment_fixed_size 0
		.amdhsa_kernarg_size 24
		.amdhsa_user_sgpr_count 6
		.amdhsa_user_sgpr_private_segment_buffer 1
		.amdhsa_user_sgpr_dispatch_ptr 0
		.amdhsa_user_sgpr_queue_ptr 0
		.amdhsa_user_sgpr_kernarg_segment_ptr 1
		.amdhsa_user_sgpr_dispatch_id 0
		.amdhsa_user_sgpr_flat_scratch_init 0
		.amdhsa_user_sgpr_private_segment_size 0
		.amdhsa_wavefront_size32 1
		.amdhsa_uses_dynamic_stack 0
		.amdhsa_system_sgpr_private_segment_wavefront_offset 0
		.amdhsa_system_sgpr_workgroup_id_x 1
		.amdhsa_system_sgpr_workgroup_id_y 0
		.amdhsa_system_sgpr_workgroup_id_z 0
		.amdhsa_system_sgpr_workgroup_info 0
		.amdhsa_system_vgpr_workitem_id 0
		.amdhsa_next_free_vgpr 50
		.amdhsa_next_free_sgpr 16
		.amdhsa_reserve_vcc 1
		.amdhsa_reserve_flat_scratch 0
		.amdhsa_float_round_mode_32 0
		.amdhsa_float_round_mode_16_64 0
		.amdhsa_float_denorm_mode_32 3
		.amdhsa_float_denorm_mode_16_64 3
		.amdhsa_dx10_clamp 1
		.amdhsa_ieee_mode 1
		.amdhsa_fp16_overflow 0
		.amdhsa_workgroup_processor_mode 1
		.amdhsa_memory_ordered 1
		.amdhsa_forward_progress 1
		.amdhsa_shared_vgpr_count 0
		.amdhsa_exception_fp_ieee_invalid_op 0
		.amdhsa_exception_fp_denorm_src 0
		.amdhsa_exception_fp_ieee_div_zero 0
		.amdhsa_exception_fp_ieee_overflow 0
		.amdhsa_exception_fp_ieee_underflow 0
		.amdhsa_exception_fp_ieee_inexact 0
		.amdhsa_exception_int_div_zero 0
	.end_amdhsa_kernel
	.section	.text._ZN2at6native29vectorized_elementwise_kernelILi16EZZZNS0_16atan_kernel_cudaERNS_18TensorIteratorBaseEENKUlvE0_clEvENKUlvE_clEvEUldE_St5arrayIPcLm2EEEEviT0_T1_,"axG",@progbits,_ZN2at6native29vectorized_elementwise_kernelILi16EZZZNS0_16atan_kernel_cudaERNS_18TensorIteratorBaseEENKUlvE0_clEvENKUlvE_clEvEUldE_St5arrayIPcLm2EEEEviT0_T1_,comdat
.Lfunc_end0:
	.size	_ZN2at6native29vectorized_elementwise_kernelILi16EZZZNS0_16atan_kernel_cudaERNS_18TensorIteratorBaseEENKUlvE0_clEvENKUlvE_clEvEUldE_St5arrayIPcLm2EEEEviT0_T1_, .Lfunc_end0-_ZN2at6native29vectorized_elementwise_kernelILi16EZZZNS0_16atan_kernel_cudaERNS_18TensorIteratorBaseEENKUlvE0_clEvENKUlvE_clEvEUldE_St5arrayIPcLm2EEEEviT0_T1_
                                        ; -- End function
	.set _ZN2at6native29vectorized_elementwise_kernelILi16EZZZNS0_16atan_kernel_cudaERNS_18TensorIteratorBaseEENKUlvE0_clEvENKUlvE_clEvEUldE_St5arrayIPcLm2EEEEviT0_T1_.num_vgpr, 50
	.set _ZN2at6native29vectorized_elementwise_kernelILi16EZZZNS0_16atan_kernel_cudaERNS_18TensorIteratorBaseEENKUlvE0_clEvENKUlvE_clEvEUldE_St5arrayIPcLm2EEEEviT0_T1_.num_agpr, 0
	.set _ZN2at6native29vectorized_elementwise_kernelILi16EZZZNS0_16atan_kernel_cudaERNS_18TensorIteratorBaseEENKUlvE0_clEvENKUlvE_clEvEUldE_St5arrayIPcLm2EEEEviT0_T1_.numbered_sgpr, 16
	.set _ZN2at6native29vectorized_elementwise_kernelILi16EZZZNS0_16atan_kernel_cudaERNS_18TensorIteratorBaseEENKUlvE0_clEvENKUlvE_clEvEUldE_St5arrayIPcLm2EEEEviT0_T1_.num_named_barrier, 0
	.set _ZN2at6native29vectorized_elementwise_kernelILi16EZZZNS0_16atan_kernel_cudaERNS_18TensorIteratorBaseEENKUlvE0_clEvENKUlvE_clEvEUldE_St5arrayIPcLm2EEEEviT0_T1_.private_seg_size, 0
	.set _ZN2at6native29vectorized_elementwise_kernelILi16EZZZNS0_16atan_kernel_cudaERNS_18TensorIteratorBaseEENKUlvE0_clEvENKUlvE_clEvEUldE_St5arrayIPcLm2EEEEviT0_T1_.uses_vcc, 1
	.set _ZN2at6native29vectorized_elementwise_kernelILi16EZZZNS0_16atan_kernel_cudaERNS_18TensorIteratorBaseEENKUlvE0_clEvENKUlvE_clEvEUldE_St5arrayIPcLm2EEEEviT0_T1_.uses_flat_scratch, 0
	.set _ZN2at6native29vectorized_elementwise_kernelILi16EZZZNS0_16atan_kernel_cudaERNS_18TensorIteratorBaseEENKUlvE0_clEvENKUlvE_clEvEUldE_St5arrayIPcLm2EEEEviT0_T1_.has_dyn_sized_stack, 0
	.set _ZN2at6native29vectorized_elementwise_kernelILi16EZZZNS0_16atan_kernel_cudaERNS_18TensorIteratorBaseEENKUlvE0_clEvENKUlvE_clEvEUldE_St5arrayIPcLm2EEEEviT0_T1_.has_recursion, 0
	.set _ZN2at6native29vectorized_elementwise_kernelILi16EZZZNS0_16atan_kernel_cudaERNS_18TensorIteratorBaseEENKUlvE0_clEvENKUlvE_clEvEUldE_St5arrayIPcLm2EEEEviT0_T1_.has_indirect_call, 0
	.section	.AMDGPU.csdata,"",@progbits
; Kernel info:
; codeLenInByte = 5304
; TotalNumSgprs: 18
; NumVgprs: 50
; ScratchSize: 0
; MemoryBound: 0
; FloatMode: 240
; IeeeMode: 1
; LDSByteSize: 0 bytes/workgroup (compile time only)
; SGPRBlocks: 0
; VGPRBlocks: 6
; NumSGPRsForWavesPerEU: 18
; NumVGPRsForWavesPerEU: 50
; Occupancy: 16
; WaveLimiterHint : 0
; COMPUTE_PGM_RSRC2:SCRATCH_EN: 0
; COMPUTE_PGM_RSRC2:USER_SGPR: 6
; COMPUTE_PGM_RSRC2:TRAP_HANDLER: 0
; COMPUTE_PGM_RSRC2:TGID_X_EN: 1
; COMPUTE_PGM_RSRC2:TGID_Y_EN: 0
; COMPUTE_PGM_RSRC2:TGID_Z_EN: 0
; COMPUTE_PGM_RSRC2:TIDIG_COMP_CNT: 0
	.section	.text._ZN2at6native29vectorized_elementwise_kernelILi8EZZZNS0_16atan_kernel_cudaERNS_18TensorIteratorBaseEENKUlvE0_clEvENKUlvE_clEvEUldE_St5arrayIPcLm2EEEEviT0_T1_,"axG",@progbits,_ZN2at6native29vectorized_elementwise_kernelILi8EZZZNS0_16atan_kernel_cudaERNS_18TensorIteratorBaseEENKUlvE0_clEvENKUlvE_clEvEUldE_St5arrayIPcLm2EEEEviT0_T1_,comdat
	.globl	_ZN2at6native29vectorized_elementwise_kernelILi8EZZZNS0_16atan_kernel_cudaERNS_18TensorIteratorBaseEENKUlvE0_clEvENKUlvE_clEvEUldE_St5arrayIPcLm2EEEEviT0_T1_ ; -- Begin function _ZN2at6native29vectorized_elementwise_kernelILi8EZZZNS0_16atan_kernel_cudaERNS_18TensorIteratorBaseEENKUlvE0_clEvENKUlvE_clEvEUldE_St5arrayIPcLm2EEEEviT0_T1_
	.p2align	8
	.type	_ZN2at6native29vectorized_elementwise_kernelILi8EZZZNS0_16atan_kernel_cudaERNS_18TensorIteratorBaseEENKUlvE0_clEvENKUlvE_clEvEUldE_St5arrayIPcLm2EEEEviT0_T1_,@function
_ZN2at6native29vectorized_elementwise_kernelILi8EZZZNS0_16atan_kernel_cudaERNS_18TensorIteratorBaseEENKUlvE0_clEvENKUlvE_clEvEUldE_St5arrayIPcLm2EEEEviT0_T1_: ; @_ZN2at6native29vectorized_elementwise_kernelILi8EZZZNS0_16atan_kernel_cudaERNS_18TensorIteratorBaseEENKUlvE0_clEvENKUlvE_clEvEUldE_St5arrayIPcLm2EEEEviT0_T1_
; %bb.0:
	s_clause 0x1
	s_load_dword s0, s[4:5], 0x0
	s_load_dwordx4 s[8:11], s[4:5], 0x8
	s_lshl_b32 s4, s6, 10
	s_waitcnt lgkmcnt(0)
	s_sub_i32 s3, s0, s4
	s_mov_b32 s0, -1
	s_cmpk_gt_i32 s3, 0x3ff
	s_cbranch_scc0 .LBB1_2
; %bb.1:
	s_ashr_i32 s5, s4, 31
	v_lshlrev_b32_e32 v49, 5, v0
	s_lshl_b64 s[6:7], s[4:5], 3
	s_mov_b32 s12, 0xbd3237f4
	s_add_u32 s0, s10, s6
	s_addc_u32 s1, s11, s7
	s_mov_b32 s14, 0xb5e68a13
	s_clause 0x1
	global_load_dwordx4 v[1:4], v49, s[0:1]
	global_load_dwordx4 v[5:8], v49, s[0:1] offset:16
	s_mov_b32 s13, 0xbf23e260
	s_mov_b32 s15, 0x3eeba404
	s_add_u32 s6, s8, s6
	s_addc_u32 s7, s9, s7
	s_waitcnt vmcnt(1)
	v_and_b32_e32 v10, 0x7fffffff, v2
	v_mov_b32_e32 v9, v1
	v_and_b32_e32 v12, 0x7fffffff, v4
	v_mov_b32_e32 v11, v3
	s_waitcnt vmcnt(0)
	v_and_b32_e32 v14, 0x7fffffff, v6
	v_mov_b32_e32 v13, v5
	v_div_scale_f64 v[15:16], null, v[9:10], v[9:10], 1.0
	v_and_b32_e32 v18, 0x7fffffff, v8
	v_mov_b32_e32 v17, v7
	v_div_scale_f64 v[19:20], null, v[11:12], v[11:12], 1.0
	v_div_scale_f64 v[21:22], null, v[13:14], v[13:14], 1.0
	;; [unrolled: 1-line block ×3, first 2 shown]
	v_div_scale_f64 v[41:42], vcc_lo, 1.0, v[9:10], 1.0
	v_rcp_f64_e32 v[25:26], v[15:16]
	v_rcp_f64_e32 v[27:28], v[19:20]
	;; [unrolled: 1-line block ×4, first 2 shown]
	v_fma_f64 v[33:34], -v[15:16], v[25:26], 1.0
	v_fma_f64 v[35:36], -v[19:20], v[27:28], 1.0
	;; [unrolled: 1-line block ×4, first 2 shown]
	v_fma_f64 v[25:26], v[25:26], v[33:34], v[25:26]
	v_fma_f64 v[27:28], v[27:28], v[35:36], v[27:28]
	;; [unrolled: 1-line block ×4, first 2 shown]
	v_fma_f64 v[33:34], -v[15:16], v[25:26], 1.0
	v_fma_f64 v[35:36], -v[19:20], v[27:28], 1.0
	;; [unrolled: 1-line block ×4, first 2 shown]
	v_fma_f64 v[25:26], v[25:26], v[33:34], v[25:26]
	v_div_scale_f64 v[33:34], s0, 1.0, v[11:12], 1.0
	v_fma_f64 v[27:28], v[27:28], v[35:36], v[27:28]
	v_div_scale_f64 v[35:36], s1, 1.0, v[13:14], 1.0
	;; [unrolled: 2-line block ×3, first 2 shown]
	v_fma_f64 v[31:32], v[31:32], v[39:40], v[31:32]
	v_mul_f64 v[39:40], v[41:42], v[25:26]
	v_mul_f64 v[43:44], v[33:34], v[27:28]
	;; [unrolled: 1-line block ×4, first 2 shown]
	v_fma_f64 v[15:16], -v[15:16], v[39:40], v[41:42]
	v_fma_f64 v[19:20], -v[19:20], v[43:44], v[33:34]
	;; [unrolled: 1-line block ×4, first 2 shown]
	v_div_fmas_f64 v[15:16], v[15:16], v[25:26], v[39:40]
	s_mov_b32 vcc_lo, s0
	v_cmp_gt_f64_e64 s0, |v[3:4]|, 1.0
	v_div_fmas_f64 v[19:20], v[19:20], v[27:28], v[43:44]
	s_mov_b32 vcc_lo, s1
	v_cmp_gt_f64_e64 s1, |v[5:6]|, 1.0
	;; [unrolled: 3-line block ×3, first 2 shown]
	v_div_fmas_f64 v[23:24], v[23:24], v[31:32], v[47:48]
	v_cmp_gt_f64_e64 vcc_lo, |v[1:2]|, 1.0
	v_div_fixup_f64 v[15:16], v[15:16], |v[1:2]|, 1.0
	v_div_fixup_f64 v[19:20], v[19:20], |v[3:4]|, 1.0
	;; [unrolled: 1-line block ×4, first 2 shown]
	v_cndmask_b32_e32 v10, v10, v16, vcc_lo
	v_cndmask_b32_e32 v9, v1, v15, vcc_lo
	v_cndmask_b32_e64 v12, v12, v20, s0
	v_cndmask_b32_e64 v11, v3, v19, s0
	v_mul_f64 v[15:16], v[9:10], v[9:10]
	v_cndmask_b32_e64 v14, v14, v22, s1
	v_cndmask_b32_e64 v13, v5, v21, s1
	;; [unrolled: 1-line block ×4, first 2 shown]
	v_mul_f64 v[19:20], v[11:12], v[11:12]
	v_mul_f64 v[21:22], v[13:14], v[13:14]
	;; [unrolled: 1-line block ×3, first 2 shown]
	v_fma_f64 v[25:26], v[15:16], s[14:15], s[12:13]
	v_fma_f64 v[27:28], v[19:20], s[14:15], s[12:13]
	;; [unrolled: 1-line block ×4, first 2 shown]
	s_mov_b32 s12, 0x69efb384
	s_mov_b32 s13, 0x3f4b2bb0
	;; [unrolled: 1-line block ×4, first 2 shown]
	v_fma_f64 v[25:26], v[15:16], v[25:26], s[12:13]
	v_fma_f64 v[27:28], v[19:20], v[27:28], s[12:13]
	v_fma_f64 v[29:30], v[21:22], v[29:30], s[12:13]
	v_fma_f64 v[31:32], v[23:24], v[31:32], s[12:13]
	s_mov_b32 s12, 0xaf56de9b
	s_mov_b32 s13, 0xbf67952d
	v_fma_f64 v[25:26], v[15:16], v[25:26], s[12:13]
	v_fma_f64 v[27:28], v[19:20], v[27:28], s[12:13]
	v_fma_f64 v[29:30], v[21:22], v[29:30], s[12:13]
	v_fma_f64 v[31:32], v[23:24], v[31:32], s[12:13]
	s_mov_b32 s12, 0xa595c56f
	s_mov_b32 s13, 0x3f7d6d43
	;; [unrolled: 6-line block ×18, first 2 shown]
	v_mul_f64 v[15:16], v[15:16], v[25:26]
	v_mul_f64 v[19:20], v[19:20], v[27:28]
	;; [unrolled: 1-line block ×4, first 2 shown]
	v_fma_f64 v[9:10], v[9:10], v[15:16], v[9:10]
	v_fma_f64 v[11:12], v[11:12], v[19:20], v[11:12]
	;; [unrolled: 1-line block ×4, first 2 shown]
	v_fma_f64 v[17:18], s[14:15], s[12:13], -v[9:10]
	v_fma_f64 v[19:20], s[14:15], s[12:13], -v[11:12]
	;; [unrolled: 1-line block ×4, first 2 shown]
	v_cndmask_b32_e32 v1, v9, v17, vcc_lo
	v_cndmask_b32_e32 v7, v10, v18, vcc_lo
	v_cndmask_b32_e64 v3, v11, v19, s0
	v_cndmask_b32_e64 v9, v12, v20, s0
	;; [unrolled: 1-line block ×5, first 2 shown]
	v_bfi_b32 v2, 0x7fffffff, v7, v2
	v_cndmask_b32_e64 v7, v15, v23, s2
	v_bfi_b32 v4, 0x7fffffff, v9, v4
	v_bfi_b32 v6, 0x7fffffff, v10, v6
	;; [unrolled: 1-line block ×3, first 2 shown]
	s_mov_b32 s0, 0
	global_store_dwordx4 v49, v[1:4], s[6:7]
	global_store_dwordx4 v49, v[5:8], s[6:7] offset:16
.LBB1_2:
	s_andn2_b32 vcc_lo, exec_lo, s0
	s_cbranch_vccnz .LBB1_23
; %bb.3:
	v_mov_b32_e32 v14, 0
	v_mov_b32_e32 v16, 0
	v_cmp_gt_i32_e64 s0, s3, v0
	v_mov_b32_e32 v15, 0
	v_or_b32_e32 v9, s4, v0
	v_or_b32_e32 v18, 0x100, v0
	v_mov_b32_e32 v17, 0
	v_mov_b32_e32 v1, v0
	s_and_saveexec_b32 s1, s0
	s_cbranch_execz .LBB1_5
; %bb.4:
	v_mov_b32_e32 v10, 0
	v_lshlrev_b64 v[1:2], 3, v[9:10]
	v_add_co_u32 v1, vcc_lo, s10, v1
	v_add_co_ci_u32_e64 v2, null, s11, v2, vcc_lo
	global_load_dwordx2 v[16:17], v[1:2], off
	v_or_b32_e32 v1, 0x100, v0
.LBB1_5:
	s_or_b32 exec_lo, exec_lo, s1
	s_mov_b32 s1, exec_lo
	v_cmpx_gt_i32_e64 s3, v1
	s_cbranch_execz .LBB1_7
; %bb.6:
	v_add_nc_u32_e32 v2, s4, v1
	v_mov_b32_e32 v3, 0
	v_add_nc_u32_e32 v1, 0x100, v1
	v_lshlrev_b64 v[2:3], 3, v[2:3]
	v_add_co_u32 v2, vcc_lo, s10, v2
	v_add_co_ci_u32_e64 v3, null, s11, v3, vcc_lo
	global_load_dwordx2 v[14:15], v[2:3], off
.LBB1_7:
	s_or_b32 exec_lo, exec_lo, s1
	v_mov_b32_e32 v10, 0
	v_mov_b32_e32 v12, 0
	;; [unrolled: 1-line block ×4, first 2 shown]
	s_mov_b32 s1, exec_lo
	v_cmpx_gt_i32_e64 s3, v1
	s_cbranch_execz .LBB1_9
; %bb.8:
	v_add_nc_u32_e32 v2, s4, v1
	v_mov_b32_e32 v3, 0
	v_add_nc_u32_e32 v1, 0x100, v1
	v_lshlrev_b64 v[2:3], 3, v[2:3]
	v_add_co_u32 v2, vcc_lo, s10, v2
	v_add_co_ci_u32_e64 v3, null, s11, v3, vcc_lo
	global_load_dwordx2 v[12:13], v[2:3], off
.LBB1_9:
	s_or_b32 exec_lo, exec_lo, s1
	s_mov_b32 s1, exec_lo
	v_cmpx_gt_i32_e64 s3, v1
	s_cbranch_execz .LBB1_11
; %bb.10:
	v_add_nc_u32_e32 v1, s4, v1
	v_mov_b32_e32 v2, 0
	v_lshlrev_b64 v[1:2], 3, v[1:2]
	v_add_co_u32 v1, vcc_lo, s10, v1
	v_add_co_ci_u32_e64 v2, null, s11, v2, vcc_lo
	global_load_dwordx2 v[10:11], v[1:2], off
.LBB1_11:
	s_or_b32 exec_lo, exec_lo, s1
	v_mov_b32_e32 v1, 0
	v_mov_b32_e32 v2, v1
	;; [unrolled: 1-line block ×8, first 2 shown]
	s_and_saveexec_b32 s1, s0
	s_cbranch_execz .LBB1_13
; %bb.12:
	s_waitcnt vmcnt(0)
	v_and_b32_e32 v3, 0x7fffffff, v17
	v_mov_b32_e32 v2, v16
	s_mov_b32 s6, 0xbd3237f4
	s_mov_b32 s10, 0xb5e68a13
	;; [unrolled: 1-line block ×4, first 2 shown]
	v_div_scale_f64 v[4:5], null, v[2:3], v[2:3], 1.0
	v_div_scale_f64 v[21:22], vcc_lo, 1.0, v[2:3], 1.0
	v_mov_b32_e32 v23, v1
	v_mov_b32_e32 v24, v1
	;; [unrolled: 1-line block ×4, first 2 shown]
	v_rcp_f64_e32 v[6:7], v[4:5]
	v_fma_f64 v[19:20], -v[4:5], v[6:7], 1.0
	v_fma_f64 v[6:7], v[6:7], v[19:20], v[6:7]
	v_fma_f64 v[19:20], -v[4:5], v[6:7], 1.0
	v_fma_f64 v[6:7], v[6:7], v[19:20], v[6:7]
	v_mul_f64 v[19:20], v[21:22], v[6:7]
	v_fma_f64 v[4:5], -v[4:5], v[19:20], v[21:22]
	v_mov_b32_e32 v21, v1
	v_mov_b32_e32 v22, v1
	v_div_fmas_f64 v[4:5], v[4:5], v[6:7], v[19:20]
	v_cmp_gt_f64_e64 vcc_lo, |v[16:17]|, 1.0
	v_div_fixup_f64 v[4:5], v[4:5], |v[16:17]|, 1.0
	v_cndmask_b32_e32 v3, v3, v5, vcc_lo
	v_cndmask_b32_e32 v2, v16, v4, vcc_lo
	v_mul_f64 v[4:5], v[2:3], v[2:3]
	v_fma_f64 v[6:7], v[4:5], s[10:11], s[6:7]
	s_mov_b32 s6, 0x69efb384
	s_mov_b32 s7, 0x3f4b2bb0
	;; [unrolled: 1-line block ×4, first 2 shown]
	v_fma_f64 v[6:7], v[4:5], v[6:7], s[6:7]
	s_mov_b32 s6, 0xaf56de9b
	s_mov_b32 s7, 0xbf67952d
	v_fma_f64 v[6:7], v[4:5], v[6:7], s[6:7]
	s_mov_b32 s6, 0xa595c56f
	s_mov_b32 s7, 0x3f7d6d43
	;; [unrolled: 3-line block ×18, first 2 shown]
	v_mul_f64 v[4:5], v[4:5], v[6:7]
	v_fma_f64 v[2:3], v[2:3], v[4:5], v[2:3]
	v_fma_f64 v[4:5], s[10:11], s[6:7], -v[2:3]
	v_cndmask_b32_e32 v3, v3, v5, vcc_lo
	v_cndmask_b32_e32 v19, v2, v4, vcc_lo
	v_bfi_b32 v20, 0x7fffffff, v3, v17
	v_mov_b32_e32 v1, v19
	v_mov_b32_e32 v3, v21
	;; [unrolled: 1-line block ×8, first 2 shown]
.LBB1_13:
	s_or_b32 exec_lo, exec_lo, s1
	s_mov_b32 s1, exec_lo
	v_cmpx_gt_i32_e64 s3, v18
	s_cbranch_execz .LBB1_15
; %bb.14:
	s_waitcnt vmcnt(0)
	v_and_b32_e32 v4, 0x7fffffff, v15
	v_mov_b32_e32 v3, v14
	s_mov_b32 s6, 0xbd3237f4
	s_mov_b32 s10, 0xb5e68a13
	s_mov_b32 s7, 0xbf23e260
	s_mov_b32 s11, 0x3eeba404
	v_div_scale_f64 v[16:17], null, v[3:4], v[3:4], 1.0
	v_div_scale_f64 v[23:24], vcc_lo, 1.0, v[3:4], 1.0
	v_rcp_f64_e32 v[19:20], v[16:17]
	v_fma_f64 v[21:22], -v[16:17], v[19:20], 1.0
	v_fma_f64 v[19:20], v[19:20], v[21:22], v[19:20]
	v_fma_f64 v[21:22], -v[16:17], v[19:20], 1.0
	v_fma_f64 v[19:20], v[19:20], v[21:22], v[19:20]
	v_mul_f64 v[21:22], v[23:24], v[19:20]
	v_fma_f64 v[16:17], -v[16:17], v[21:22], v[23:24]
	v_div_fmas_f64 v[16:17], v[16:17], v[19:20], v[21:22]
	v_cmp_gt_f64_e64 vcc_lo, |v[14:15]|, 1.0
	v_div_fixup_f64 v[16:17], v[16:17], |v[14:15]|, 1.0
	v_cndmask_b32_e32 v4, v4, v17, vcc_lo
	v_cndmask_b32_e32 v3, v14, v16, vcc_lo
	v_mul_f64 v[16:17], v[3:4], v[3:4]
	v_fma_f64 v[19:20], v[16:17], s[10:11], s[6:7]
	s_mov_b32 s6, 0x69efb384
	s_mov_b32 s7, 0x3f4b2bb0
	;; [unrolled: 1-line block ×4, first 2 shown]
	v_fma_f64 v[19:20], v[16:17], v[19:20], s[6:7]
	s_mov_b32 s6, 0xaf56de9b
	s_mov_b32 s7, 0xbf67952d
	v_fma_f64 v[19:20], v[16:17], v[19:20], s[6:7]
	s_mov_b32 s6, 0xa595c56f
	s_mov_b32 s7, 0x3f7d6d43
	;; [unrolled: 3-line block ×18, first 2 shown]
	v_mul_f64 v[16:17], v[16:17], v[19:20]
	v_fma_f64 v[3:4], v[3:4], v[16:17], v[3:4]
	v_fma_f64 v[16:17], s[10:11], s[6:7], -v[3:4]
	v_cndmask_b32_e32 v4, v4, v17, vcc_lo
	v_cndmask_b32_e32 v3, v3, v16, vcc_lo
	v_bfi_b32 v4, 0x7fffffff, v4, v15
.LBB1_15:
	s_or_b32 exec_lo, exec_lo, s1
	s_waitcnt vmcnt(0)
	v_or_b32_e32 v14, 0x200, v0
	s_mov_b32 s1, exec_lo
	v_cmpx_gt_i32_e64 s3, v14
	s_cbranch_execz .LBB1_17
; %bb.16:
	v_and_b32_e32 v6, 0x7fffffff, v13
	v_mov_b32_e32 v5, v12
	s_mov_b32 s6, 0xbd3237f4
	s_mov_b32 s10, 0xb5e68a13
	s_mov_b32 s7, 0xbf23e260
	s_mov_b32 s11, 0x3eeba404
	v_div_scale_f64 v[14:15], null, v[5:6], v[5:6], 1.0
	v_div_scale_f64 v[21:22], vcc_lo, 1.0, v[5:6], 1.0
	v_rcp_f64_e32 v[16:17], v[14:15]
	v_fma_f64 v[19:20], -v[14:15], v[16:17], 1.0
	v_fma_f64 v[16:17], v[16:17], v[19:20], v[16:17]
	v_fma_f64 v[19:20], -v[14:15], v[16:17], 1.0
	v_fma_f64 v[16:17], v[16:17], v[19:20], v[16:17]
	v_mul_f64 v[19:20], v[21:22], v[16:17]
	v_fma_f64 v[14:15], -v[14:15], v[19:20], v[21:22]
	v_div_fmas_f64 v[14:15], v[14:15], v[16:17], v[19:20]
	v_cmp_gt_f64_e64 vcc_lo, |v[12:13]|, 1.0
	v_div_fixup_f64 v[14:15], v[14:15], |v[12:13]|, 1.0
	v_cndmask_b32_e32 v6, v6, v15, vcc_lo
	v_cndmask_b32_e32 v5, v12, v14, vcc_lo
	v_mul_f64 v[14:15], v[5:6], v[5:6]
	v_fma_f64 v[16:17], v[14:15], s[10:11], s[6:7]
	s_mov_b32 s6, 0x69efb384
	s_mov_b32 s7, 0x3f4b2bb0
	;; [unrolled: 1-line block ×4, first 2 shown]
	v_fma_f64 v[16:17], v[14:15], v[16:17], s[6:7]
	s_mov_b32 s6, 0xaf56de9b
	s_mov_b32 s7, 0xbf67952d
	v_fma_f64 v[16:17], v[14:15], v[16:17], s[6:7]
	s_mov_b32 s6, 0xa595c56f
	s_mov_b32 s7, 0x3f7d6d43
	v_fma_f64 v[16:17], v[14:15], v[16:17], s[6:7]
	s_mov_b32 s6, 0xa57d9582
	s_mov_b32 s7, 0xbf8c6ea4
	v_fma_f64 v[16:17], v[14:15], v[16:17], s[6:7]
	s_mov_b32 s6, 0x5f08b19f
	s_mov_b32 s7, 0x3f967e29
	v_fma_f64 v[16:17], v[14:15], v[16:17], s[6:7]
	s_mov_b32 s6, 0xfc27006a
	s_mov_b32 s7, 0xbf9e9ae6
	v_fma_f64 v[16:17], v[14:15], v[16:17], s[6:7]
	s_mov_b32 s6, 0x5711927a
	s_mov_b32 s7, 0x3fa2c15b
	v_fma_f64 v[16:17], v[14:15], v[16:17], s[6:7]
	s_mov_b32 s6, 0xe82d3ff0
	s_mov_b32 s7, 0xbfa59976
	v_fma_f64 v[16:17], v[14:15], v[16:17], s[6:7]
	s_mov_b32 s6, 0x6ef28734
	s_mov_b32 s7, 0x3fa82d5d
	v_fma_f64 v[16:17], v[14:15], v[16:17], s[6:7]
	s_mov_b32 s6, 0x6a214619
	s_mov_b32 s7, 0xbfaae5ce
	v_fma_f64 v[16:17], v[14:15], v[16:17], s[6:7]
	s_mov_b32 s6, 0x8427b883
	s_mov_b32 s7, 0x3fae1bb4
	v_fma_f64 v[16:17], v[14:15], v[16:17], s[6:7]
	s_mov_b32 s6, 0x8b207f05
	s_mov_b32 s7, 0xbfb110e4
	v_fma_f64 v[16:17], v[14:15], v[16:17], s[6:7]
	s_mov_b32 s6, 0x57b87036
	s_mov_b32 s7, 0x3fb3b136
	v_fma_f64 v[16:17], v[14:15], v[16:17], s[6:7]
	s_mov_b32 s6, 0x19378e4f
	s_mov_b32 s7, 0xbfb745d1
	v_fma_f64 v[16:17], v[14:15], v[16:17], s[6:7]
	s_mov_b32 s6, 0x17e1913c
	s_mov_b32 s7, 0x3fbc71c7
	v_fma_f64 v[16:17], v[14:15], v[16:17], s[6:7]
	s_mov_b32 s6, 0x92376b7d
	s_mov_b32 s7, 0xbfc24924
	v_fma_f64 v[16:17], v[14:15], v[16:17], s[6:7]
	s_mov_b32 s6, 0x999952cc
	s_mov_b32 s7, 0x3fc99999
	v_fma_f64 v[16:17], v[14:15], v[16:17], s[6:7]
	s_mov_b32 s6, 0x55555523
	s_mov_b32 s7, 0xbfd55555
	v_fma_f64 v[16:17], v[14:15], v[16:17], s[6:7]
	s_mov_b32 s6, 0xeeb562d6
	s_mov_b32 s7, 0x3ffaf154
	v_mul_f64 v[14:15], v[14:15], v[16:17]
	v_fma_f64 v[5:6], v[5:6], v[14:15], v[5:6]
	v_fma_f64 v[14:15], s[10:11], s[6:7], -v[5:6]
	v_cndmask_b32_e32 v6, v6, v15, vcc_lo
	v_cndmask_b32_e32 v5, v5, v14, vcc_lo
	v_bfi_b32 v6, 0x7fffffff, v6, v13
.LBB1_17:
	s_or_b32 exec_lo, exec_lo, s1
	v_or_b32_e32 v12, 0x300, v0
	s_mov_b32 s1, exec_lo
	v_cmpx_gt_i32_e64 s3, v12
	s_cbranch_execnz .LBB1_24
; %bb.18:
	s_or_b32 exec_lo, exec_lo, s1
	s_and_saveexec_b32 s1, s0
	s_xor_b32 s0, exec_lo, s1
	s_cbranch_execnz .LBB1_25
.LBB1_19:
	s_or_b32 exec_lo, exec_lo, s0
	s_mov_b32 s0, exec_lo
	v_cmpx_gt_i32_e64 s3, v0
	s_cbranch_execnz .LBB1_26
.LBB1_20:
	s_or_b32 exec_lo, exec_lo, s0
	s_mov_b32 s0, exec_lo
	v_cmpx_gt_i32_e64 s3, v0
	s_cbranch_execnz .LBB1_27
.LBB1_21:
	s_or_b32 exec_lo, exec_lo, s0
	s_mov_b32 s0, exec_lo
	v_cmpx_gt_i32_e64 s3, v0
	s_cbranch_execz .LBB1_23
.LBB1_22:
	v_add_nc_u32_e32 v0, s4, v0
	v_mov_b32_e32 v1, 0
	v_lshlrev_b64 v[0:1], 3, v[0:1]
	v_add_co_u32 v0, vcc_lo, s8, v0
	v_add_co_ci_u32_e64 v1, null, s9, v1, vcc_lo
	global_store_dwordx2 v[0:1], v[7:8], off
.LBB1_23:
	s_endpgm
.LBB1_24:
	v_and_b32_e32 v8, 0x7fffffff, v11
	v_mov_b32_e32 v7, v10
	s_mov_b32 s6, 0xbd3237f4
	s_mov_b32 s10, 0xb5e68a13
	;; [unrolled: 1-line block ×4, first 2 shown]
	v_div_scale_f64 v[12:13], null, v[7:8], v[7:8], 1.0
	v_div_scale_f64 v[19:20], vcc_lo, 1.0, v[7:8], 1.0
	v_rcp_f64_e32 v[14:15], v[12:13]
	v_fma_f64 v[16:17], -v[12:13], v[14:15], 1.0
	v_fma_f64 v[14:15], v[14:15], v[16:17], v[14:15]
	v_fma_f64 v[16:17], -v[12:13], v[14:15], 1.0
	v_fma_f64 v[14:15], v[14:15], v[16:17], v[14:15]
	v_mul_f64 v[16:17], v[19:20], v[14:15]
	v_fma_f64 v[12:13], -v[12:13], v[16:17], v[19:20]
	v_div_fmas_f64 v[12:13], v[12:13], v[14:15], v[16:17]
	v_cmp_gt_f64_e64 vcc_lo, |v[10:11]|, 1.0
	v_div_fixup_f64 v[12:13], v[12:13], |v[10:11]|, 1.0
	v_cndmask_b32_e32 v8, v8, v13, vcc_lo
	v_cndmask_b32_e32 v7, v10, v12, vcc_lo
	v_mul_f64 v[12:13], v[7:8], v[7:8]
	v_fma_f64 v[14:15], v[12:13], s[10:11], s[6:7]
	s_mov_b32 s6, 0x69efb384
	s_mov_b32 s7, 0x3f4b2bb0
	;; [unrolled: 1-line block ×4, first 2 shown]
	v_fma_f64 v[14:15], v[12:13], v[14:15], s[6:7]
	s_mov_b32 s6, 0xaf56de9b
	s_mov_b32 s7, 0xbf67952d
	v_fma_f64 v[14:15], v[12:13], v[14:15], s[6:7]
	s_mov_b32 s6, 0xa595c56f
	s_mov_b32 s7, 0x3f7d6d43
	;; [unrolled: 3-line block ×18, first 2 shown]
	v_mul_f64 v[12:13], v[12:13], v[14:15]
	v_fma_f64 v[7:8], v[7:8], v[12:13], v[7:8]
	v_fma_f64 v[12:13], s[10:11], s[6:7], -v[7:8]
	v_cndmask_b32_e32 v8, v8, v13, vcc_lo
	v_cndmask_b32_e32 v7, v7, v12, vcc_lo
	v_bfi_b32 v8, 0x7fffffff, v8, v11
	s_or_b32 exec_lo, exec_lo, s1
	s_and_saveexec_b32 s1, s0
	s_xor_b32 s0, exec_lo, s1
	s_cbranch_execz .LBB1_19
.LBB1_25:
	v_mov_b32_e32 v10, 0
	v_mov_b32_e32 v0, v18
	v_lshlrev_b64 v[9:10], 3, v[9:10]
	v_add_co_u32 v9, vcc_lo, s8, v9
	v_add_co_ci_u32_e64 v10, null, s9, v10, vcc_lo
	global_store_dwordx2 v[9:10], v[1:2], off
	s_or_b32 exec_lo, exec_lo, s0
	s_mov_b32 s0, exec_lo
	v_cmpx_gt_i32_e64 s3, v0
	s_cbranch_execz .LBB1_20
.LBB1_26:
	v_add_nc_u32_e32 v1, s4, v0
	v_mov_b32_e32 v2, 0
	v_add_nc_u32_e32 v0, 0x100, v0
	v_lshlrev_b64 v[1:2], 3, v[1:2]
	v_add_co_u32 v1, vcc_lo, s8, v1
	v_add_co_ci_u32_e64 v2, null, s9, v2, vcc_lo
	global_store_dwordx2 v[1:2], v[3:4], off
	s_or_b32 exec_lo, exec_lo, s0
	s_mov_b32 s0, exec_lo
	v_cmpx_gt_i32_e64 s3, v0
	s_cbranch_execz .LBB1_21
.LBB1_27:
	v_add_nc_u32_e32 v1, s4, v0
	v_mov_b32_e32 v2, 0
	v_add_nc_u32_e32 v0, 0x100, v0
	v_lshlrev_b64 v[1:2], 3, v[1:2]
	v_add_co_u32 v1, vcc_lo, s8, v1
	v_add_co_ci_u32_e64 v2, null, s9, v2, vcc_lo
	global_store_dwordx2 v[1:2], v[5:6], off
	s_or_b32 exec_lo, exec_lo, s0
	s_mov_b32 s0, exec_lo
	v_cmpx_gt_i32_e64 s3, v0
	s_cbranch_execnz .LBB1_22
	s_branch .LBB1_23
	.section	.rodata,"a",@progbits
	.p2align	6, 0x0
	.amdhsa_kernel _ZN2at6native29vectorized_elementwise_kernelILi8EZZZNS0_16atan_kernel_cudaERNS_18TensorIteratorBaseEENKUlvE0_clEvENKUlvE_clEvEUldE_St5arrayIPcLm2EEEEviT0_T1_
		.amdhsa_group_segment_fixed_size 0
		.amdhsa_private_segment_fixed_size 0
		.amdhsa_kernarg_size 24
		.amdhsa_user_sgpr_count 6
		.amdhsa_user_sgpr_private_segment_buffer 1
		.amdhsa_user_sgpr_dispatch_ptr 0
		.amdhsa_user_sgpr_queue_ptr 0
		.amdhsa_user_sgpr_kernarg_segment_ptr 1
		.amdhsa_user_sgpr_dispatch_id 0
		.amdhsa_user_sgpr_flat_scratch_init 0
		.amdhsa_user_sgpr_private_segment_size 0
		.amdhsa_wavefront_size32 1
		.amdhsa_uses_dynamic_stack 0
		.amdhsa_system_sgpr_private_segment_wavefront_offset 0
		.amdhsa_system_sgpr_workgroup_id_x 1
		.amdhsa_system_sgpr_workgroup_id_y 0
		.amdhsa_system_sgpr_workgroup_id_z 0
		.amdhsa_system_sgpr_workgroup_info 0
		.amdhsa_system_vgpr_workitem_id 0
		.amdhsa_next_free_vgpr 50
		.amdhsa_next_free_sgpr 16
		.amdhsa_reserve_vcc 1
		.amdhsa_reserve_flat_scratch 0
		.amdhsa_float_round_mode_32 0
		.amdhsa_float_round_mode_16_64 0
		.amdhsa_float_denorm_mode_32 3
		.amdhsa_float_denorm_mode_16_64 3
		.amdhsa_dx10_clamp 1
		.amdhsa_ieee_mode 1
		.amdhsa_fp16_overflow 0
		.amdhsa_workgroup_processor_mode 1
		.amdhsa_memory_ordered 1
		.amdhsa_forward_progress 1
		.amdhsa_shared_vgpr_count 0
		.amdhsa_exception_fp_ieee_invalid_op 0
		.amdhsa_exception_fp_denorm_src 0
		.amdhsa_exception_fp_ieee_div_zero 0
		.amdhsa_exception_fp_ieee_overflow 0
		.amdhsa_exception_fp_ieee_underflow 0
		.amdhsa_exception_fp_ieee_inexact 0
		.amdhsa_exception_int_div_zero 0
	.end_amdhsa_kernel
	.section	.text._ZN2at6native29vectorized_elementwise_kernelILi8EZZZNS0_16atan_kernel_cudaERNS_18TensorIteratorBaseEENKUlvE0_clEvENKUlvE_clEvEUldE_St5arrayIPcLm2EEEEviT0_T1_,"axG",@progbits,_ZN2at6native29vectorized_elementwise_kernelILi8EZZZNS0_16atan_kernel_cudaERNS_18TensorIteratorBaseEENKUlvE0_clEvENKUlvE_clEvEUldE_St5arrayIPcLm2EEEEviT0_T1_,comdat
.Lfunc_end1:
	.size	_ZN2at6native29vectorized_elementwise_kernelILi8EZZZNS0_16atan_kernel_cudaERNS_18TensorIteratorBaseEENKUlvE0_clEvENKUlvE_clEvEUldE_St5arrayIPcLm2EEEEviT0_T1_, .Lfunc_end1-_ZN2at6native29vectorized_elementwise_kernelILi8EZZZNS0_16atan_kernel_cudaERNS_18TensorIteratorBaseEENKUlvE0_clEvENKUlvE_clEvEUldE_St5arrayIPcLm2EEEEviT0_T1_
                                        ; -- End function
	.set _ZN2at6native29vectorized_elementwise_kernelILi8EZZZNS0_16atan_kernel_cudaERNS_18TensorIteratorBaseEENKUlvE0_clEvENKUlvE_clEvEUldE_St5arrayIPcLm2EEEEviT0_T1_.num_vgpr, 50
	.set _ZN2at6native29vectorized_elementwise_kernelILi8EZZZNS0_16atan_kernel_cudaERNS_18TensorIteratorBaseEENKUlvE0_clEvENKUlvE_clEvEUldE_St5arrayIPcLm2EEEEviT0_T1_.num_agpr, 0
	.set _ZN2at6native29vectorized_elementwise_kernelILi8EZZZNS0_16atan_kernel_cudaERNS_18TensorIteratorBaseEENKUlvE0_clEvENKUlvE_clEvEUldE_St5arrayIPcLm2EEEEviT0_T1_.numbered_sgpr, 16
	.set _ZN2at6native29vectorized_elementwise_kernelILi8EZZZNS0_16atan_kernel_cudaERNS_18TensorIteratorBaseEENKUlvE0_clEvENKUlvE_clEvEUldE_St5arrayIPcLm2EEEEviT0_T1_.num_named_barrier, 0
	.set _ZN2at6native29vectorized_elementwise_kernelILi8EZZZNS0_16atan_kernel_cudaERNS_18TensorIteratorBaseEENKUlvE0_clEvENKUlvE_clEvEUldE_St5arrayIPcLm2EEEEviT0_T1_.private_seg_size, 0
	.set _ZN2at6native29vectorized_elementwise_kernelILi8EZZZNS0_16atan_kernel_cudaERNS_18TensorIteratorBaseEENKUlvE0_clEvENKUlvE_clEvEUldE_St5arrayIPcLm2EEEEviT0_T1_.uses_vcc, 1
	.set _ZN2at6native29vectorized_elementwise_kernelILi8EZZZNS0_16atan_kernel_cudaERNS_18TensorIteratorBaseEENKUlvE0_clEvENKUlvE_clEvEUldE_St5arrayIPcLm2EEEEviT0_T1_.uses_flat_scratch, 0
	.set _ZN2at6native29vectorized_elementwise_kernelILi8EZZZNS0_16atan_kernel_cudaERNS_18TensorIteratorBaseEENKUlvE0_clEvENKUlvE_clEvEUldE_St5arrayIPcLm2EEEEviT0_T1_.has_dyn_sized_stack, 0
	.set _ZN2at6native29vectorized_elementwise_kernelILi8EZZZNS0_16atan_kernel_cudaERNS_18TensorIteratorBaseEENKUlvE0_clEvENKUlvE_clEvEUldE_St5arrayIPcLm2EEEEviT0_T1_.has_recursion, 0
	.set _ZN2at6native29vectorized_elementwise_kernelILi8EZZZNS0_16atan_kernel_cudaERNS_18TensorIteratorBaseEENKUlvE0_clEvENKUlvE_clEvEUldE_St5arrayIPcLm2EEEEviT0_T1_.has_indirect_call, 0
	.section	.AMDGPU.csdata,"",@progbits
; Kernel info:
; codeLenInByte = 5304
; TotalNumSgprs: 18
; NumVgprs: 50
; ScratchSize: 0
; MemoryBound: 0
; FloatMode: 240
; IeeeMode: 1
; LDSByteSize: 0 bytes/workgroup (compile time only)
; SGPRBlocks: 0
; VGPRBlocks: 6
; NumSGPRsForWavesPerEU: 18
; NumVGPRsForWavesPerEU: 50
; Occupancy: 16
; WaveLimiterHint : 0
; COMPUTE_PGM_RSRC2:SCRATCH_EN: 0
; COMPUTE_PGM_RSRC2:USER_SGPR: 6
; COMPUTE_PGM_RSRC2:TRAP_HANDLER: 0
; COMPUTE_PGM_RSRC2:TGID_X_EN: 1
; COMPUTE_PGM_RSRC2:TGID_Y_EN: 0
; COMPUTE_PGM_RSRC2:TGID_Z_EN: 0
; COMPUTE_PGM_RSRC2:TIDIG_COMP_CNT: 0
	.section	.text._ZN2at6native29vectorized_elementwise_kernelILi4EZZZNS0_16atan_kernel_cudaERNS_18TensorIteratorBaseEENKUlvE0_clEvENKUlvE_clEvEUldE_St5arrayIPcLm2EEEEviT0_T1_,"axG",@progbits,_ZN2at6native29vectorized_elementwise_kernelILi4EZZZNS0_16atan_kernel_cudaERNS_18TensorIteratorBaseEENKUlvE0_clEvENKUlvE_clEvEUldE_St5arrayIPcLm2EEEEviT0_T1_,comdat
	.globl	_ZN2at6native29vectorized_elementwise_kernelILi4EZZZNS0_16atan_kernel_cudaERNS_18TensorIteratorBaseEENKUlvE0_clEvENKUlvE_clEvEUldE_St5arrayIPcLm2EEEEviT0_T1_ ; -- Begin function _ZN2at6native29vectorized_elementwise_kernelILi4EZZZNS0_16atan_kernel_cudaERNS_18TensorIteratorBaseEENKUlvE0_clEvENKUlvE_clEvEUldE_St5arrayIPcLm2EEEEviT0_T1_
	.p2align	8
	.type	_ZN2at6native29vectorized_elementwise_kernelILi4EZZZNS0_16atan_kernel_cudaERNS_18TensorIteratorBaseEENKUlvE0_clEvENKUlvE_clEvEUldE_St5arrayIPcLm2EEEEviT0_T1_,@function
_ZN2at6native29vectorized_elementwise_kernelILi4EZZZNS0_16atan_kernel_cudaERNS_18TensorIteratorBaseEENKUlvE0_clEvENKUlvE_clEvEUldE_St5arrayIPcLm2EEEEviT0_T1_: ; @_ZN2at6native29vectorized_elementwise_kernelILi4EZZZNS0_16atan_kernel_cudaERNS_18TensorIteratorBaseEENKUlvE0_clEvENKUlvE_clEvEUldE_St5arrayIPcLm2EEEEviT0_T1_
; %bb.0:
	s_clause 0x1
	s_load_dword s0, s[4:5], 0x0
	s_load_dwordx4 s[8:11], s[4:5], 0x8
	s_lshl_b32 s4, s6, 10
	s_waitcnt lgkmcnt(0)
	s_sub_i32 s3, s0, s4
	s_mov_b32 s0, -1
	s_cmpk_gt_i32 s3, 0x3ff
	s_cbranch_scc0 .LBB2_2
; %bb.1:
	s_ashr_i32 s5, s4, 31
	v_lshlrev_b32_e32 v49, 5, v0
	s_lshl_b64 s[6:7], s[4:5], 3
	s_mov_b32 s12, 0xbd3237f4
	s_add_u32 s0, s10, s6
	s_addc_u32 s1, s11, s7
	s_mov_b32 s14, 0xb5e68a13
	s_clause 0x1
	global_load_dwordx4 v[1:4], v49, s[0:1]
	global_load_dwordx4 v[5:8], v49, s[0:1] offset:16
	s_mov_b32 s13, 0xbf23e260
	s_mov_b32 s15, 0x3eeba404
	s_add_u32 s6, s8, s6
	s_addc_u32 s7, s9, s7
	s_waitcnt vmcnt(1)
	v_and_b32_e32 v10, 0x7fffffff, v2
	v_mov_b32_e32 v9, v1
	v_and_b32_e32 v12, 0x7fffffff, v4
	v_mov_b32_e32 v11, v3
	s_waitcnt vmcnt(0)
	v_and_b32_e32 v14, 0x7fffffff, v6
	v_mov_b32_e32 v13, v5
	v_div_scale_f64 v[15:16], null, v[9:10], v[9:10], 1.0
	v_and_b32_e32 v18, 0x7fffffff, v8
	v_mov_b32_e32 v17, v7
	v_div_scale_f64 v[19:20], null, v[11:12], v[11:12], 1.0
	v_div_scale_f64 v[21:22], null, v[13:14], v[13:14], 1.0
	;; [unrolled: 1-line block ×3, first 2 shown]
	v_div_scale_f64 v[41:42], vcc_lo, 1.0, v[9:10], 1.0
	v_rcp_f64_e32 v[25:26], v[15:16]
	v_rcp_f64_e32 v[27:28], v[19:20]
	v_rcp_f64_e32 v[29:30], v[21:22]
	v_rcp_f64_e32 v[31:32], v[23:24]
	v_fma_f64 v[33:34], -v[15:16], v[25:26], 1.0
	v_fma_f64 v[35:36], -v[19:20], v[27:28], 1.0
	;; [unrolled: 1-line block ×4, first 2 shown]
	v_fma_f64 v[25:26], v[25:26], v[33:34], v[25:26]
	v_fma_f64 v[27:28], v[27:28], v[35:36], v[27:28]
	;; [unrolled: 1-line block ×4, first 2 shown]
	v_fma_f64 v[33:34], -v[15:16], v[25:26], 1.0
	v_fma_f64 v[35:36], -v[19:20], v[27:28], 1.0
	v_fma_f64 v[37:38], -v[21:22], v[29:30], 1.0
	v_fma_f64 v[39:40], -v[23:24], v[31:32], 1.0
	v_fma_f64 v[25:26], v[25:26], v[33:34], v[25:26]
	v_div_scale_f64 v[33:34], s0, 1.0, v[11:12], 1.0
	v_fma_f64 v[27:28], v[27:28], v[35:36], v[27:28]
	v_div_scale_f64 v[35:36], s1, 1.0, v[13:14], 1.0
	;; [unrolled: 2-line block ×3, first 2 shown]
	v_fma_f64 v[31:32], v[31:32], v[39:40], v[31:32]
	v_mul_f64 v[39:40], v[41:42], v[25:26]
	v_mul_f64 v[43:44], v[33:34], v[27:28]
	;; [unrolled: 1-line block ×4, first 2 shown]
	v_fma_f64 v[15:16], -v[15:16], v[39:40], v[41:42]
	v_fma_f64 v[19:20], -v[19:20], v[43:44], v[33:34]
	;; [unrolled: 1-line block ×4, first 2 shown]
	v_div_fmas_f64 v[15:16], v[15:16], v[25:26], v[39:40]
	s_mov_b32 vcc_lo, s0
	v_cmp_gt_f64_e64 s0, |v[3:4]|, 1.0
	v_div_fmas_f64 v[19:20], v[19:20], v[27:28], v[43:44]
	s_mov_b32 vcc_lo, s1
	v_cmp_gt_f64_e64 s1, |v[5:6]|, 1.0
	;; [unrolled: 3-line block ×3, first 2 shown]
	v_div_fmas_f64 v[23:24], v[23:24], v[31:32], v[47:48]
	v_cmp_gt_f64_e64 vcc_lo, |v[1:2]|, 1.0
	v_div_fixup_f64 v[15:16], v[15:16], |v[1:2]|, 1.0
	v_div_fixup_f64 v[19:20], v[19:20], |v[3:4]|, 1.0
	;; [unrolled: 1-line block ×4, first 2 shown]
	v_cndmask_b32_e32 v10, v10, v16, vcc_lo
	v_cndmask_b32_e32 v9, v1, v15, vcc_lo
	v_cndmask_b32_e64 v12, v12, v20, s0
	v_cndmask_b32_e64 v11, v3, v19, s0
	v_mul_f64 v[15:16], v[9:10], v[9:10]
	v_cndmask_b32_e64 v14, v14, v22, s1
	v_cndmask_b32_e64 v13, v5, v21, s1
	;; [unrolled: 1-line block ×4, first 2 shown]
	v_mul_f64 v[19:20], v[11:12], v[11:12]
	v_mul_f64 v[21:22], v[13:14], v[13:14]
	;; [unrolled: 1-line block ×3, first 2 shown]
	v_fma_f64 v[25:26], v[15:16], s[14:15], s[12:13]
	v_fma_f64 v[27:28], v[19:20], s[14:15], s[12:13]
	;; [unrolled: 1-line block ×4, first 2 shown]
	s_mov_b32 s12, 0x69efb384
	s_mov_b32 s13, 0x3f4b2bb0
	;; [unrolled: 1-line block ×4, first 2 shown]
	v_fma_f64 v[25:26], v[15:16], v[25:26], s[12:13]
	v_fma_f64 v[27:28], v[19:20], v[27:28], s[12:13]
	v_fma_f64 v[29:30], v[21:22], v[29:30], s[12:13]
	v_fma_f64 v[31:32], v[23:24], v[31:32], s[12:13]
	s_mov_b32 s12, 0xaf56de9b
	s_mov_b32 s13, 0xbf67952d
	v_fma_f64 v[25:26], v[15:16], v[25:26], s[12:13]
	v_fma_f64 v[27:28], v[19:20], v[27:28], s[12:13]
	v_fma_f64 v[29:30], v[21:22], v[29:30], s[12:13]
	v_fma_f64 v[31:32], v[23:24], v[31:32], s[12:13]
	s_mov_b32 s12, 0xa595c56f
	s_mov_b32 s13, 0x3f7d6d43
	;; [unrolled: 6-line block ×18, first 2 shown]
	v_mul_f64 v[15:16], v[15:16], v[25:26]
	v_mul_f64 v[19:20], v[19:20], v[27:28]
	;; [unrolled: 1-line block ×4, first 2 shown]
	v_fma_f64 v[9:10], v[9:10], v[15:16], v[9:10]
	v_fma_f64 v[11:12], v[11:12], v[19:20], v[11:12]
	;; [unrolled: 1-line block ×4, first 2 shown]
	v_fma_f64 v[17:18], s[14:15], s[12:13], -v[9:10]
	v_fma_f64 v[19:20], s[14:15], s[12:13], -v[11:12]
	v_fma_f64 v[21:22], s[14:15], s[12:13], -v[13:14]
	v_fma_f64 v[23:24], s[14:15], s[12:13], -v[15:16]
	v_cndmask_b32_e32 v1, v9, v17, vcc_lo
	v_cndmask_b32_e32 v7, v10, v18, vcc_lo
	v_cndmask_b32_e64 v3, v11, v19, s0
	v_cndmask_b32_e64 v9, v12, v20, s0
	;; [unrolled: 1-line block ×5, first 2 shown]
	v_bfi_b32 v2, 0x7fffffff, v7, v2
	v_cndmask_b32_e64 v7, v15, v23, s2
	v_bfi_b32 v4, 0x7fffffff, v9, v4
	v_bfi_b32 v6, 0x7fffffff, v10, v6
	;; [unrolled: 1-line block ×3, first 2 shown]
	s_mov_b32 s0, 0
	global_store_dwordx4 v49, v[1:4], s[6:7]
	global_store_dwordx4 v49, v[5:8], s[6:7] offset:16
.LBB2_2:
	s_andn2_b32 vcc_lo, exec_lo, s0
	s_cbranch_vccnz .LBB2_23
; %bb.3:
	v_mov_b32_e32 v14, 0
	v_mov_b32_e32 v16, 0
	v_cmp_gt_i32_e64 s0, s3, v0
	v_mov_b32_e32 v15, 0
	v_or_b32_e32 v9, s4, v0
	v_or_b32_e32 v18, 0x100, v0
	v_mov_b32_e32 v17, 0
	v_mov_b32_e32 v1, v0
	s_and_saveexec_b32 s1, s0
	s_cbranch_execz .LBB2_5
; %bb.4:
	v_mov_b32_e32 v10, 0
	v_lshlrev_b64 v[1:2], 3, v[9:10]
	v_add_co_u32 v1, vcc_lo, s10, v1
	v_add_co_ci_u32_e64 v2, null, s11, v2, vcc_lo
	global_load_dwordx2 v[16:17], v[1:2], off
	v_or_b32_e32 v1, 0x100, v0
.LBB2_5:
	s_or_b32 exec_lo, exec_lo, s1
	s_mov_b32 s1, exec_lo
	v_cmpx_gt_i32_e64 s3, v1
	s_cbranch_execz .LBB2_7
; %bb.6:
	v_add_nc_u32_e32 v2, s4, v1
	v_mov_b32_e32 v3, 0
	v_add_nc_u32_e32 v1, 0x100, v1
	v_lshlrev_b64 v[2:3], 3, v[2:3]
	v_add_co_u32 v2, vcc_lo, s10, v2
	v_add_co_ci_u32_e64 v3, null, s11, v3, vcc_lo
	global_load_dwordx2 v[14:15], v[2:3], off
.LBB2_7:
	s_or_b32 exec_lo, exec_lo, s1
	v_mov_b32_e32 v10, 0
	v_mov_b32_e32 v12, 0
	;; [unrolled: 1-line block ×4, first 2 shown]
	s_mov_b32 s1, exec_lo
	v_cmpx_gt_i32_e64 s3, v1
	s_cbranch_execz .LBB2_9
; %bb.8:
	v_add_nc_u32_e32 v2, s4, v1
	v_mov_b32_e32 v3, 0
	v_add_nc_u32_e32 v1, 0x100, v1
	v_lshlrev_b64 v[2:3], 3, v[2:3]
	v_add_co_u32 v2, vcc_lo, s10, v2
	v_add_co_ci_u32_e64 v3, null, s11, v3, vcc_lo
	global_load_dwordx2 v[12:13], v[2:3], off
.LBB2_9:
	s_or_b32 exec_lo, exec_lo, s1
	s_mov_b32 s1, exec_lo
	v_cmpx_gt_i32_e64 s3, v1
	s_cbranch_execz .LBB2_11
; %bb.10:
	v_add_nc_u32_e32 v1, s4, v1
	v_mov_b32_e32 v2, 0
	v_lshlrev_b64 v[1:2], 3, v[1:2]
	v_add_co_u32 v1, vcc_lo, s10, v1
	v_add_co_ci_u32_e64 v2, null, s11, v2, vcc_lo
	global_load_dwordx2 v[10:11], v[1:2], off
.LBB2_11:
	s_or_b32 exec_lo, exec_lo, s1
	v_mov_b32_e32 v1, 0
	v_mov_b32_e32 v2, v1
	;; [unrolled: 1-line block ×8, first 2 shown]
	s_and_saveexec_b32 s1, s0
	s_cbranch_execz .LBB2_13
; %bb.12:
	s_waitcnt vmcnt(0)
	v_and_b32_e32 v3, 0x7fffffff, v17
	v_mov_b32_e32 v2, v16
	s_mov_b32 s6, 0xbd3237f4
	s_mov_b32 s10, 0xb5e68a13
	;; [unrolled: 1-line block ×4, first 2 shown]
	v_div_scale_f64 v[4:5], null, v[2:3], v[2:3], 1.0
	v_div_scale_f64 v[21:22], vcc_lo, 1.0, v[2:3], 1.0
	v_mov_b32_e32 v23, v1
	v_mov_b32_e32 v24, v1
	;; [unrolled: 1-line block ×4, first 2 shown]
	v_rcp_f64_e32 v[6:7], v[4:5]
	v_fma_f64 v[19:20], -v[4:5], v[6:7], 1.0
	v_fma_f64 v[6:7], v[6:7], v[19:20], v[6:7]
	v_fma_f64 v[19:20], -v[4:5], v[6:7], 1.0
	v_fma_f64 v[6:7], v[6:7], v[19:20], v[6:7]
	v_mul_f64 v[19:20], v[21:22], v[6:7]
	v_fma_f64 v[4:5], -v[4:5], v[19:20], v[21:22]
	v_mov_b32_e32 v21, v1
	v_mov_b32_e32 v22, v1
	v_div_fmas_f64 v[4:5], v[4:5], v[6:7], v[19:20]
	v_cmp_gt_f64_e64 vcc_lo, |v[16:17]|, 1.0
	v_div_fixup_f64 v[4:5], v[4:5], |v[16:17]|, 1.0
	v_cndmask_b32_e32 v3, v3, v5, vcc_lo
	v_cndmask_b32_e32 v2, v16, v4, vcc_lo
	v_mul_f64 v[4:5], v[2:3], v[2:3]
	v_fma_f64 v[6:7], v[4:5], s[10:11], s[6:7]
	s_mov_b32 s6, 0x69efb384
	s_mov_b32 s7, 0x3f4b2bb0
	;; [unrolled: 1-line block ×4, first 2 shown]
	v_fma_f64 v[6:7], v[4:5], v[6:7], s[6:7]
	s_mov_b32 s6, 0xaf56de9b
	s_mov_b32 s7, 0xbf67952d
	v_fma_f64 v[6:7], v[4:5], v[6:7], s[6:7]
	s_mov_b32 s6, 0xa595c56f
	s_mov_b32 s7, 0x3f7d6d43
	;; [unrolled: 3-line block ×18, first 2 shown]
	v_mul_f64 v[4:5], v[4:5], v[6:7]
	v_fma_f64 v[2:3], v[2:3], v[4:5], v[2:3]
	v_fma_f64 v[4:5], s[10:11], s[6:7], -v[2:3]
	v_cndmask_b32_e32 v3, v3, v5, vcc_lo
	v_cndmask_b32_e32 v19, v2, v4, vcc_lo
	v_bfi_b32 v20, 0x7fffffff, v3, v17
	v_mov_b32_e32 v1, v19
	v_mov_b32_e32 v3, v21
	;; [unrolled: 1-line block ×8, first 2 shown]
.LBB2_13:
	s_or_b32 exec_lo, exec_lo, s1
	s_mov_b32 s1, exec_lo
	v_cmpx_gt_i32_e64 s3, v18
	s_cbranch_execz .LBB2_15
; %bb.14:
	s_waitcnt vmcnt(0)
	v_and_b32_e32 v4, 0x7fffffff, v15
	v_mov_b32_e32 v3, v14
	s_mov_b32 s6, 0xbd3237f4
	s_mov_b32 s10, 0xb5e68a13
	;; [unrolled: 1-line block ×4, first 2 shown]
	v_div_scale_f64 v[16:17], null, v[3:4], v[3:4], 1.0
	v_div_scale_f64 v[23:24], vcc_lo, 1.0, v[3:4], 1.0
	v_rcp_f64_e32 v[19:20], v[16:17]
	v_fma_f64 v[21:22], -v[16:17], v[19:20], 1.0
	v_fma_f64 v[19:20], v[19:20], v[21:22], v[19:20]
	v_fma_f64 v[21:22], -v[16:17], v[19:20], 1.0
	v_fma_f64 v[19:20], v[19:20], v[21:22], v[19:20]
	v_mul_f64 v[21:22], v[23:24], v[19:20]
	v_fma_f64 v[16:17], -v[16:17], v[21:22], v[23:24]
	v_div_fmas_f64 v[16:17], v[16:17], v[19:20], v[21:22]
	v_cmp_gt_f64_e64 vcc_lo, |v[14:15]|, 1.0
	v_div_fixup_f64 v[16:17], v[16:17], |v[14:15]|, 1.0
	v_cndmask_b32_e32 v4, v4, v17, vcc_lo
	v_cndmask_b32_e32 v3, v14, v16, vcc_lo
	v_mul_f64 v[16:17], v[3:4], v[3:4]
	v_fma_f64 v[19:20], v[16:17], s[10:11], s[6:7]
	s_mov_b32 s6, 0x69efb384
	s_mov_b32 s7, 0x3f4b2bb0
	;; [unrolled: 1-line block ×4, first 2 shown]
	v_fma_f64 v[19:20], v[16:17], v[19:20], s[6:7]
	s_mov_b32 s6, 0xaf56de9b
	s_mov_b32 s7, 0xbf67952d
	v_fma_f64 v[19:20], v[16:17], v[19:20], s[6:7]
	s_mov_b32 s6, 0xa595c56f
	s_mov_b32 s7, 0x3f7d6d43
	;; [unrolled: 3-line block ×18, first 2 shown]
	v_mul_f64 v[16:17], v[16:17], v[19:20]
	v_fma_f64 v[3:4], v[3:4], v[16:17], v[3:4]
	v_fma_f64 v[16:17], s[10:11], s[6:7], -v[3:4]
	v_cndmask_b32_e32 v4, v4, v17, vcc_lo
	v_cndmask_b32_e32 v3, v3, v16, vcc_lo
	v_bfi_b32 v4, 0x7fffffff, v4, v15
.LBB2_15:
	s_or_b32 exec_lo, exec_lo, s1
	s_waitcnt vmcnt(0)
	v_or_b32_e32 v14, 0x200, v0
	s_mov_b32 s1, exec_lo
	v_cmpx_gt_i32_e64 s3, v14
	s_cbranch_execz .LBB2_17
; %bb.16:
	v_and_b32_e32 v6, 0x7fffffff, v13
	v_mov_b32_e32 v5, v12
	s_mov_b32 s6, 0xbd3237f4
	s_mov_b32 s10, 0xb5e68a13
	;; [unrolled: 1-line block ×4, first 2 shown]
	v_div_scale_f64 v[14:15], null, v[5:6], v[5:6], 1.0
	v_div_scale_f64 v[21:22], vcc_lo, 1.0, v[5:6], 1.0
	v_rcp_f64_e32 v[16:17], v[14:15]
	v_fma_f64 v[19:20], -v[14:15], v[16:17], 1.0
	v_fma_f64 v[16:17], v[16:17], v[19:20], v[16:17]
	v_fma_f64 v[19:20], -v[14:15], v[16:17], 1.0
	v_fma_f64 v[16:17], v[16:17], v[19:20], v[16:17]
	v_mul_f64 v[19:20], v[21:22], v[16:17]
	v_fma_f64 v[14:15], -v[14:15], v[19:20], v[21:22]
	v_div_fmas_f64 v[14:15], v[14:15], v[16:17], v[19:20]
	v_cmp_gt_f64_e64 vcc_lo, |v[12:13]|, 1.0
	v_div_fixup_f64 v[14:15], v[14:15], |v[12:13]|, 1.0
	v_cndmask_b32_e32 v6, v6, v15, vcc_lo
	v_cndmask_b32_e32 v5, v12, v14, vcc_lo
	v_mul_f64 v[14:15], v[5:6], v[5:6]
	v_fma_f64 v[16:17], v[14:15], s[10:11], s[6:7]
	s_mov_b32 s6, 0x69efb384
	s_mov_b32 s7, 0x3f4b2bb0
	;; [unrolled: 1-line block ×4, first 2 shown]
	v_fma_f64 v[16:17], v[14:15], v[16:17], s[6:7]
	s_mov_b32 s6, 0xaf56de9b
	s_mov_b32 s7, 0xbf67952d
	v_fma_f64 v[16:17], v[14:15], v[16:17], s[6:7]
	s_mov_b32 s6, 0xa595c56f
	s_mov_b32 s7, 0x3f7d6d43
	;; [unrolled: 3-line block ×18, first 2 shown]
	v_mul_f64 v[14:15], v[14:15], v[16:17]
	v_fma_f64 v[5:6], v[5:6], v[14:15], v[5:6]
	v_fma_f64 v[14:15], s[10:11], s[6:7], -v[5:6]
	v_cndmask_b32_e32 v6, v6, v15, vcc_lo
	v_cndmask_b32_e32 v5, v5, v14, vcc_lo
	v_bfi_b32 v6, 0x7fffffff, v6, v13
.LBB2_17:
	s_or_b32 exec_lo, exec_lo, s1
	v_or_b32_e32 v12, 0x300, v0
	s_mov_b32 s1, exec_lo
	v_cmpx_gt_i32_e64 s3, v12
	s_cbranch_execnz .LBB2_24
; %bb.18:
	s_or_b32 exec_lo, exec_lo, s1
	s_and_saveexec_b32 s1, s0
	s_xor_b32 s0, exec_lo, s1
	s_cbranch_execnz .LBB2_25
.LBB2_19:
	s_or_b32 exec_lo, exec_lo, s0
	s_mov_b32 s0, exec_lo
	v_cmpx_gt_i32_e64 s3, v0
	s_cbranch_execnz .LBB2_26
.LBB2_20:
	s_or_b32 exec_lo, exec_lo, s0
	s_mov_b32 s0, exec_lo
	v_cmpx_gt_i32_e64 s3, v0
	s_cbranch_execnz .LBB2_27
.LBB2_21:
	s_or_b32 exec_lo, exec_lo, s0
	s_mov_b32 s0, exec_lo
	v_cmpx_gt_i32_e64 s3, v0
	s_cbranch_execz .LBB2_23
.LBB2_22:
	v_add_nc_u32_e32 v0, s4, v0
	v_mov_b32_e32 v1, 0
	v_lshlrev_b64 v[0:1], 3, v[0:1]
	v_add_co_u32 v0, vcc_lo, s8, v0
	v_add_co_ci_u32_e64 v1, null, s9, v1, vcc_lo
	global_store_dwordx2 v[0:1], v[7:8], off
.LBB2_23:
	s_endpgm
.LBB2_24:
	v_and_b32_e32 v8, 0x7fffffff, v11
	v_mov_b32_e32 v7, v10
	s_mov_b32 s6, 0xbd3237f4
	s_mov_b32 s10, 0xb5e68a13
	;; [unrolled: 1-line block ×4, first 2 shown]
	v_div_scale_f64 v[12:13], null, v[7:8], v[7:8], 1.0
	v_div_scale_f64 v[19:20], vcc_lo, 1.0, v[7:8], 1.0
	v_rcp_f64_e32 v[14:15], v[12:13]
	v_fma_f64 v[16:17], -v[12:13], v[14:15], 1.0
	v_fma_f64 v[14:15], v[14:15], v[16:17], v[14:15]
	v_fma_f64 v[16:17], -v[12:13], v[14:15], 1.0
	v_fma_f64 v[14:15], v[14:15], v[16:17], v[14:15]
	v_mul_f64 v[16:17], v[19:20], v[14:15]
	v_fma_f64 v[12:13], -v[12:13], v[16:17], v[19:20]
	v_div_fmas_f64 v[12:13], v[12:13], v[14:15], v[16:17]
	v_cmp_gt_f64_e64 vcc_lo, |v[10:11]|, 1.0
	v_div_fixup_f64 v[12:13], v[12:13], |v[10:11]|, 1.0
	v_cndmask_b32_e32 v8, v8, v13, vcc_lo
	v_cndmask_b32_e32 v7, v10, v12, vcc_lo
	v_mul_f64 v[12:13], v[7:8], v[7:8]
	v_fma_f64 v[14:15], v[12:13], s[10:11], s[6:7]
	s_mov_b32 s6, 0x69efb384
	s_mov_b32 s7, 0x3f4b2bb0
	;; [unrolled: 1-line block ×4, first 2 shown]
	v_fma_f64 v[14:15], v[12:13], v[14:15], s[6:7]
	s_mov_b32 s6, 0xaf56de9b
	s_mov_b32 s7, 0xbf67952d
	v_fma_f64 v[14:15], v[12:13], v[14:15], s[6:7]
	s_mov_b32 s6, 0xa595c56f
	s_mov_b32 s7, 0x3f7d6d43
	;; [unrolled: 3-line block ×18, first 2 shown]
	v_mul_f64 v[12:13], v[12:13], v[14:15]
	v_fma_f64 v[7:8], v[7:8], v[12:13], v[7:8]
	v_fma_f64 v[12:13], s[10:11], s[6:7], -v[7:8]
	v_cndmask_b32_e32 v8, v8, v13, vcc_lo
	v_cndmask_b32_e32 v7, v7, v12, vcc_lo
	v_bfi_b32 v8, 0x7fffffff, v8, v11
	s_or_b32 exec_lo, exec_lo, s1
	s_and_saveexec_b32 s1, s0
	s_xor_b32 s0, exec_lo, s1
	s_cbranch_execz .LBB2_19
.LBB2_25:
	v_mov_b32_e32 v10, 0
	v_mov_b32_e32 v0, v18
	v_lshlrev_b64 v[9:10], 3, v[9:10]
	v_add_co_u32 v9, vcc_lo, s8, v9
	v_add_co_ci_u32_e64 v10, null, s9, v10, vcc_lo
	global_store_dwordx2 v[9:10], v[1:2], off
	s_or_b32 exec_lo, exec_lo, s0
	s_mov_b32 s0, exec_lo
	v_cmpx_gt_i32_e64 s3, v0
	s_cbranch_execz .LBB2_20
.LBB2_26:
	v_add_nc_u32_e32 v1, s4, v0
	v_mov_b32_e32 v2, 0
	v_add_nc_u32_e32 v0, 0x100, v0
	v_lshlrev_b64 v[1:2], 3, v[1:2]
	v_add_co_u32 v1, vcc_lo, s8, v1
	v_add_co_ci_u32_e64 v2, null, s9, v2, vcc_lo
	global_store_dwordx2 v[1:2], v[3:4], off
	s_or_b32 exec_lo, exec_lo, s0
	s_mov_b32 s0, exec_lo
	v_cmpx_gt_i32_e64 s3, v0
	s_cbranch_execz .LBB2_21
.LBB2_27:
	v_add_nc_u32_e32 v1, s4, v0
	v_mov_b32_e32 v2, 0
	v_add_nc_u32_e32 v0, 0x100, v0
	v_lshlrev_b64 v[1:2], 3, v[1:2]
	v_add_co_u32 v1, vcc_lo, s8, v1
	v_add_co_ci_u32_e64 v2, null, s9, v2, vcc_lo
	global_store_dwordx2 v[1:2], v[5:6], off
	s_or_b32 exec_lo, exec_lo, s0
	s_mov_b32 s0, exec_lo
	v_cmpx_gt_i32_e64 s3, v0
	s_cbranch_execnz .LBB2_22
	s_branch .LBB2_23
	.section	.rodata,"a",@progbits
	.p2align	6, 0x0
	.amdhsa_kernel _ZN2at6native29vectorized_elementwise_kernelILi4EZZZNS0_16atan_kernel_cudaERNS_18TensorIteratorBaseEENKUlvE0_clEvENKUlvE_clEvEUldE_St5arrayIPcLm2EEEEviT0_T1_
		.amdhsa_group_segment_fixed_size 0
		.amdhsa_private_segment_fixed_size 0
		.amdhsa_kernarg_size 24
		.amdhsa_user_sgpr_count 6
		.amdhsa_user_sgpr_private_segment_buffer 1
		.amdhsa_user_sgpr_dispatch_ptr 0
		.amdhsa_user_sgpr_queue_ptr 0
		.amdhsa_user_sgpr_kernarg_segment_ptr 1
		.amdhsa_user_sgpr_dispatch_id 0
		.amdhsa_user_sgpr_flat_scratch_init 0
		.amdhsa_user_sgpr_private_segment_size 0
		.amdhsa_wavefront_size32 1
		.amdhsa_uses_dynamic_stack 0
		.amdhsa_system_sgpr_private_segment_wavefront_offset 0
		.amdhsa_system_sgpr_workgroup_id_x 1
		.amdhsa_system_sgpr_workgroup_id_y 0
		.amdhsa_system_sgpr_workgroup_id_z 0
		.amdhsa_system_sgpr_workgroup_info 0
		.amdhsa_system_vgpr_workitem_id 0
		.amdhsa_next_free_vgpr 50
		.amdhsa_next_free_sgpr 16
		.amdhsa_reserve_vcc 1
		.amdhsa_reserve_flat_scratch 0
		.amdhsa_float_round_mode_32 0
		.amdhsa_float_round_mode_16_64 0
		.amdhsa_float_denorm_mode_32 3
		.amdhsa_float_denorm_mode_16_64 3
		.amdhsa_dx10_clamp 1
		.amdhsa_ieee_mode 1
		.amdhsa_fp16_overflow 0
		.amdhsa_workgroup_processor_mode 1
		.amdhsa_memory_ordered 1
		.amdhsa_forward_progress 1
		.amdhsa_shared_vgpr_count 0
		.amdhsa_exception_fp_ieee_invalid_op 0
		.amdhsa_exception_fp_denorm_src 0
		.amdhsa_exception_fp_ieee_div_zero 0
		.amdhsa_exception_fp_ieee_overflow 0
		.amdhsa_exception_fp_ieee_underflow 0
		.amdhsa_exception_fp_ieee_inexact 0
		.amdhsa_exception_int_div_zero 0
	.end_amdhsa_kernel
	.section	.text._ZN2at6native29vectorized_elementwise_kernelILi4EZZZNS0_16atan_kernel_cudaERNS_18TensorIteratorBaseEENKUlvE0_clEvENKUlvE_clEvEUldE_St5arrayIPcLm2EEEEviT0_T1_,"axG",@progbits,_ZN2at6native29vectorized_elementwise_kernelILi4EZZZNS0_16atan_kernel_cudaERNS_18TensorIteratorBaseEENKUlvE0_clEvENKUlvE_clEvEUldE_St5arrayIPcLm2EEEEviT0_T1_,comdat
.Lfunc_end2:
	.size	_ZN2at6native29vectorized_elementwise_kernelILi4EZZZNS0_16atan_kernel_cudaERNS_18TensorIteratorBaseEENKUlvE0_clEvENKUlvE_clEvEUldE_St5arrayIPcLm2EEEEviT0_T1_, .Lfunc_end2-_ZN2at6native29vectorized_elementwise_kernelILi4EZZZNS0_16atan_kernel_cudaERNS_18TensorIteratorBaseEENKUlvE0_clEvENKUlvE_clEvEUldE_St5arrayIPcLm2EEEEviT0_T1_
                                        ; -- End function
	.set _ZN2at6native29vectorized_elementwise_kernelILi4EZZZNS0_16atan_kernel_cudaERNS_18TensorIteratorBaseEENKUlvE0_clEvENKUlvE_clEvEUldE_St5arrayIPcLm2EEEEviT0_T1_.num_vgpr, 50
	.set _ZN2at6native29vectorized_elementwise_kernelILi4EZZZNS0_16atan_kernel_cudaERNS_18TensorIteratorBaseEENKUlvE0_clEvENKUlvE_clEvEUldE_St5arrayIPcLm2EEEEviT0_T1_.num_agpr, 0
	.set _ZN2at6native29vectorized_elementwise_kernelILi4EZZZNS0_16atan_kernel_cudaERNS_18TensorIteratorBaseEENKUlvE0_clEvENKUlvE_clEvEUldE_St5arrayIPcLm2EEEEviT0_T1_.numbered_sgpr, 16
	.set _ZN2at6native29vectorized_elementwise_kernelILi4EZZZNS0_16atan_kernel_cudaERNS_18TensorIteratorBaseEENKUlvE0_clEvENKUlvE_clEvEUldE_St5arrayIPcLm2EEEEviT0_T1_.num_named_barrier, 0
	.set _ZN2at6native29vectorized_elementwise_kernelILi4EZZZNS0_16atan_kernel_cudaERNS_18TensorIteratorBaseEENKUlvE0_clEvENKUlvE_clEvEUldE_St5arrayIPcLm2EEEEviT0_T1_.private_seg_size, 0
	.set _ZN2at6native29vectorized_elementwise_kernelILi4EZZZNS0_16atan_kernel_cudaERNS_18TensorIteratorBaseEENKUlvE0_clEvENKUlvE_clEvEUldE_St5arrayIPcLm2EEEEviT0_T1_.uses_vcc, 1
	.set _ZN2at6native29vectorized_elementwise_kernelILi4EZZZNS0_16atan_kernel_cudaERNS_18TensorIteratorBaseEENKUlvE0_clEvENKUlvE_clEvEUldE_St5arrayIPcLm2EEEEviT0_T1_.uses_flat_scratch, 0
	.set _ZN2at6native29vectorized_elementwise_kernelILi4EZZZNS0_16atan_kernel_cudaERNS_18TensorIteratorBaseEENKUlvE0_clEvENKUlvE_clEvEUldE_St5arrayIPcLm2EEEEviT0_T1_.has_dyn_sized_stack, 0
	.set _ZN2at6native29vectorized_elementwise_kernelILi4EZZZNS0_16atan_kernel_cudaERNS_18TensorIteratorBaseEENKUlvE0_clEvENKUlvE_clEvEUldE_St5arrayIPcLm2EEEEviT0_T1_.has_recursion, 0
	.set _ZN2at6native29vectorized_elementwise_kernelILi4EZZZNS0_16atan_kernel_cudaERNS_18TensorIteratorBaseEENKUlvE0_clEvENKUlvE_clEvEUldE_St5arrayIPcLm2EEEEviT0_T1_.has_indirect_call, 0
	.section	.AMDGPU.csdata,"",@progbits
; Kernel info:
; codeLenInByte = 5304
; TotalNumSgprs: 18
; NumVgprs: 50
; ScratchSize: 0
; MemoryBound: 0
; FloatMode: 240
; IeeeMode: 1
; LDSByteSize: 0 bytes/workgroup (compile time only)
; SGPRBlocks: 0
; VGPRBlocks: 6
; NumSGPRsForWavesPerEU: 18
; NumVGPRsForWavesPerEU: 50
; Occupancy: 16
; WaveLimiterHint : 0
; COMPUTE_PGM_RSRC2:SCRATCH_EN: 0
; COMPUTE_PGM_RSRC2:USER_SGPR: 6
; COMPUTE_PGM_RSRC2:TRAP_HANDLER: 0
; COMPUTE_PGM_RSRC2:TGID_X_EN: 1
; COMPUTE_PGM_RSRC2:TGID_Y_EN: 0
; COMPUTE_PGM_RSRC2:TGID_Z_EN: 0
; COMPUTE_PGM_RSRC2:TIDIG_COMP_CNT: 0
	.section	.text._ZN2at6native29vectorized_elementwise_kernelILi2EZZZNS0_16atan_kernel_cudaERNS_18TensorIteratorBaseEENKUlvE0_clEvENKUlvE_clEvEUldE_St5arrayIPcLm2EEEEviT0_T1_,"axG",@progbits,_ZN2at6native29vectorized_elementwise_kernelILi2EZZZNS0_16atan_kernel_cudaERNS_18TensorIteratorBaseEENKUlvE0_clEvENKUlvE_clEvEUldE_St5arrayIPcLm2EEEEviT0_T1_,comdat
	.globl	_ZN2at6native29vectorized_elementwise_kernelILi2EZZZNS0_16atan_kernel_cudaERNS_18TensorIteratorBaseEENKUlvE0_clEvENKUlvE_clEvEUldE_St5arrayIPcLm2EEEEviT0_T1_ ; -- Begin function _ZN2at6native29vectorized_elementwise_kernelILi2EZZZNS0_16atan_kernel_cudaERNS_18TensorIteratorBaseEENKUlvE0_clEvENKUlvE_clEvEUldE_St5arrayIPcLm2EEEEviT0_T1_
	.p2align	8
	.type	_ZN2at6native29vectorized_elementwise_kernelILi2EZZZNS0_16atan_kernel_cudaERNS_18TensorIteratorBaseEENKUlvE0_clEvENKUlvE_clEvEUldE_St5arrayIPcLm2EEEEviT0_T1_,@function
_ZN2at6native29vectorized_elementwise_kernelILi2EZZZNS0_16atan_kernel_cudaERNS_18TensorIteratorBaseEENKUlvE0_clEvENKUlvE_clEvEUldE_St5arrayIPcLm2EEEEviT0_T1_: ; @_ZN2at6native29vectorized_elementwise_kernelILi2EZZZNS0_16atan_kernel_cudaERNS_18TensorIteratorBaseEENKUlvE0_clEvENKUlvE_clEvEUldE_St5arrayIPcLm2EEEEviT0_T1_
; %bb.0:
	s_clause 0x1
	s_load_dword s0, s[4:5], 0x0
	s_load_dwordx4 s[8:11], s[4:5], 0x8
	s_lshl_b32 s4, s6, 10
	s_waitcnt lgkmcnt(0)
	s_sub_i32 s3, s0, s4
	s_mov_b32 s0, -1
	s_cmpk_gt_i32 s3, 0x3ff
	s_cbranch_scc0 .LBB3_2
; %bb.1:
	s_ashr_i32 s5, s4, 31
	v_lshlrev_b32_e32 v49, 4, v0
	s_lshl_b64 s[6:7], s[4:5], 3
	s_mov_b32 s12, 0xbd3237f4
	s_add_u32 s0, s10, s6
	s_addc_u32 s1, s11, s7
	v_add_co_u32 v5, s2, s0, v49
	v_add_co_ci_u32_e64 v6, null, s1, 0, s2
	global_load_dwordx4 v[1:4], v49, s[0:1]
	v_add_co_u32 v5, vcc_lo, 0x1000, v5
	v_add_co_ci_u32_e64 v6, null, 0, v6, vcc_lo
	s_mov_b32 s14, 0xb5e68a13
	s_mov_b32 s13, 0xbf23e260
	;; [unrolled: 1-line block ×3, first 2 shown]
	global_load_dwordx4 v[5:8], v[5:6], off
	s_add_u32 s6, s8, s6
	s_addc_u32 s7, s9, s7
	s_waitcnt vmcnt(1)
	v_and_b32_e32 v10, 0x7fffffff, v2
	v_mov_b32_e32 v9, v1
	v_and_b32_e32 v12, 0x7fffffff, v4
	v_mov_b32_e32 v11, v3
	v_div_scale_f64 v[13:14], null, v[9:10], v[9:10], 1.0
	s_waitcnt vmcnt(0)
	v_and_b32_e32 v16, 0x7fffffff, v6
	v_mov_b32_e32 v15, v5
	v_and_b32_e32 v20, 0x7fffffff, v8
	v_mov_b32_e32 v19, v7
	v_div_scale_f64 v[17:18], null, v[11:12], v[11:12], 1.0
	v_div_scale_f64 v[21:22], null, v[15:16], v[15:16], 1.0
	;; [unrolled: 1-line block ×3, first 2 shown]
	v_div_scale_f64 v[41:42], vcc_lo, 1.0, v[9:10], 1.0
	v_rcp_f64_e32 v[25:26], v[13:14]
	v_rcp_f64_e32 v[27:28], v[17:18]
	;; [unrolled: 1-line block ×4, first 2 shown]
	v_fma_f64 v[33:34], -v[13:14], v[25:26], 1.0
	v_fma_f64 v[35:36], -v[17:18], v[27:28], 1.0
	;; [unrolled: 1-line block ×4, first 2 shown]
	v_fma_f64 v[25:26], v[25:26], v[33:34], v[25:26]
	v_fma_f64 v[27:28], v[27:28], v[35:36], v[27:28]
	;; [unrolled: 1-line block ×4, first 2 shown]
	v_fma_f64 v[33:34], -v[13:14], v[25:26], 1.0
	v_fma_f64 v[35:36], -v[17:18], v[27:28], 1.0
	;; [unrolled: 1-line block ×4, first 2 shown]
	v_fma_f64 v[25:26], v[25:26], v[33:34], v[25:26]
	v_div_scale_f64 v[33:34], s0, 1.0, v[11:12], 1.0
	v_fma_f64 v[27:28], v[27:28], v[35:36], v[27:28]
	v_div_scale_f64 v[35:36], s1, 1.0, v[15:16], 1.0
	;; [unrolled: 2-line block ×3, first 2 shown]
	v_fma_f64 v[31:32], v[31:32], v[39:40], v[31:32]
	v_mul_f64 v[39:40], v[41:42], v[25:26]
	v_mul_f64 v[43:44], v[33:34], v[27:28]
	v_mul_f64 v[45:46], v[35:36], v[29:30]
	v_mul_f64 v[47:48], v[37:38], v[31:32]
	v_fma_f64 v[13:14], -v[13:14], v[39:40], v[41:42]
	v_fma_f64 v[17:18], -v[17:18], v[43:44], v[33:34]
	;; [unrolled: 1-line block ×4, first 2 shown]
	v_div_fmas_f64 v[13:14], v[13:14], v[25:26], v[39:40]
	s_mov_b32 vcc_lo, s0
	v_cmp_gt_f64_e64 s0, |v[3:4]|, 1.0
	v_div_fmas_f64 v[17:18], v[17:18], v[27:28], v[43:44]
	s_mov_b32 vcc_lo, s1
	v_cmp_gt_f64_e64 s1, |v[5:6]|, 1.0
	;; [unrolled: 3-line block ×3, first 2 shown]
	v_div_fmas_f64 v[23:24], v[23:24], v[31:32], v[47:48]
	v_cmp_gt_f64_e64 vcc_lo, |v[1:2]|, 1.0
	v_div_fixup_f64 v[13:14], v[13:14], |v[1:2]|, 1.0
	v_div_fixup_f64 v[17:18], v[17:18], |v[3:4]|, 1.0
	;; [unrolled: 1-line block ×4, first 2 shown]
	v_cndmask_b32_e32 v10, v10, v14, vcc_lo
	v_cndmask_b32_e32 v9, v1, v13, vcc_lo
	v_cndmask_b32_e64 v12, v12, v18, s0
	v_cndmask_b32_e64 v11, v3, v17, s0
	v_mul_f64 v[13:14], v[9:10], v[9:10]
	v_cndmask_b32_e64 v16, v16, v22, s1
	v_cndmask_b32_e64 v15, v5, v21, s1
	;; [unrolled: 1-line block ×4, first 2 shown]
	v_mul_f64 v[19:20], v[11:12], v[11:12]
	v_mul_f64 v[21:22], v[15:16], v[15:16]
	;; [unrolled: 1-line block ×3, first 2 shown]
	v_fma_f64 v[25:26], v[13:14], s[14:15], s[12:13]
	v_fma_f64 v[27:28], v[19:20], s[14:15], s[12:13]
	;; [unrolled: 1-line block ×4, first 2 shown]
	s_mov_b32 s12, 0x69efb384
	s_mov_b32 s13, 0x3f4b2bb0
	;; [unrolled: 1-line block ×4, first 2 shown]
	v_fma_f64 v[25:26], v[13:14], v[25:26], s[12:13]
	v_fma_f64 v[27:28], v[19:20], v[27:28], s[12:13]
	v_fma_f64 v[29:30], v[21:22], v[29:30], s[12:13]
	v_fma_f64 v[31:32], v[23:24], v[31:32], s[12:13]
	s_mov_b32 s12, 0xaf56de9b
	s_mov_b32 s13, 0xbf67952d
	v_fma_f64 v[25:26], v[13:14], v[25:26], s[12:13]
	v_fma_f64 v[27:28], v[19:20], v[27:28], s[12:13]
	v_fma_f64 v[29:30], v[21:22], v[29:30], s[12:13]
	v_fma_f64 v[31:32], v[23:24], v[31:32], s[12:13]
	s_mov_b32 s12, 0xa595c56f
	s_mov_b32 s13, 0x3f7d6d43
	;; [unrolled: 6-line block ×18, first 2 shown]
	v_mul_f64 v[13:14], v[13:14], v[25:26]
	v_mul_f64 v[19:20], v[19:20], v[27:28]
	;; [unrolled: 1-line block ×4, first 2 shown]
	v_fma_f64 v[9:10], v[9:10], v[13:14], v[9:10]
	v_fma_f64 v[11:12], v[11:12], v[19:20], v[11:12]
	;; [unrolled: 1-line block ×4, first 2 shown]
	v_fma_f64 v[17:18], s[14:15], s[12:13], -v[9:10]
	v_fma_f64 v[19:20], s[14:15], s[12:13], -v[11:12]
	;; [unrolled: 1-line block ×4, first 2 shown]
	v_cndmask_b32_e32 v5, v10, v18, vcc_lo
	v_add_co_u32 v10, s5, s6, v49
	v_cndmask_b32_e32 v1, v9, v17, vcc_lo
	v_add_co_ci_u32_e64 v18, null, s7, 0, s5
	v_cndmask_b32_e64 v7, v12, v20, s0
	v_cndmask_b32_e64 v9, v14, v22, s1
	;; [unrolled: 1-line block ×3, first 2 shown]
	v_bfi_b32 v2, 0x7fffffff, v5, v2
	v_cndmask_b32_e64 v11, v16, v24, s2
	v_bfi_b32 v4, 0x7fffffff, v7, v4
	v_bfi_b32 v6, 0x7fffffff, v9, v6
	v_add_co_u32 v9, vcc_lo, 0x1000, v10
	v_cndmask_b32_e64 v5, v13, v21, s1
	v_cndmask_b32_e64 v7, v15, v23, s2
	v_bfi_b32 v8, 0x7fffffff, v11, v8
	v_add_co_ci_u32_e64 v10, null, 0, v18, vcc_lo
	s_mov_b32 s0, 0
	global_store_dwordx4 v49, v[1:4], s[6:7]
	global_store_dwordx4 v[9:10], v[5:8], off
.LBB3_2:
	s_andn2_b32 vcc_lo, exec_lo, s0
	s_cbranch_vccnz .LBB3_23
; %bb.3:
	v_mov_b32_e32 v14, 0
	v_mov_b32_e32 v16, 0
	v_cmp_gt_i32_e64 s0, s3, v0
	v_mov_b32_e32 v15, 0
	v_or_b32_e32 v9, s4, v0
	v_or_b32_e32 v18, 0x100, v0
	v_mov_b32_e32 v17, 0
	v_mov_b32_e32 v1, v0
	s_and_saveexec_b32 s1, s0
	s_cbranch_execz .LBB3_5
; %bb.4:
	v_mov_b32_e32 v10, 0
	v_lshlrev_b64 v[1:2], 3, v[9:10]
	v_add_co_u32 v1, vcc_lo, s10, v1
	v_add_co_ci_u32_e64 v2, null, s11, v2, vcc_lo
	global_load_dwordx2 v[16:17], v[1:2], off
	v_or_b32_e32 v1, 0x100, v0
.LBB3_5:
	s_or_b32 exec_lo, exec_lo, s1
	s_mov_b32 s1, exec_lo
	v_cmpx_gt_i32_e64 s3, v1
	s_cbranch_execz .LBB3_7
; %bb.6:
	v_add_nc_u32_e32 v2, s4, v1
	v_mov_b32_e32 v3, 0
	v_add_nc_u32_e32 v1, 0x100, v1
	v_lshlrev_b64 v[2:3], 3, v[2:3]
	v_add_co_u32 v2, vcc_lo, s10, v2
	v_add_co_ci_u32_e64 v3, null, s11, v3, vcc_lo
	global_load_dwordx2 v[14:15], v[2:3], off
.LBB3_7:
	s_or_b32 exec_lo, exec_lo, s1
	v_mov_b32_e32 v10, 0
	v_mov_b32_e32 v12, 0
	;; [unrolled: 1-line block ×4, first 2 shown]
	s_mov_b32 s1, exec_lo
	v_cmpx_gt_i32_e64 s3, v1
	s_cbranch_execz .LBB3_9
; %bb.8:
	v_add_nc_u32_e32 v2, s4, v1
	v_mov_b32_e32 v3, 0
	v_add_nc_u32_e32 v1, 0x100, v1
	v_lshlrev_b64 v[2:3], 3, v[2:3]
	v_add_co_u32 v2, vcc_lo, s10, v2
	v_add_co_ci_u32_e64 v3, null, s11, v3, vcc_lo
	global_load_dwordx2 v[12:13], v[2:3], off
.LBB3_9:
	s_or_b32 exec_lo, exec_lo, s1
	s_mov_b32 s1, exec_lo
	v_cmpx_gt_i32_e64 s3, v1
	s_cbranch_execz .LBB3_11
; %bb.10:
	v_add_nc_u32_e32 v1, s4, v1
	v_mov_b32_e32 v2, 0
	v_lshlrev_b64 v[1:2], 3, v[1:2]
	v_add_co_u32 v1, vcc_lo, s10, v1
	v_add_co_ci_u32_e64 v2, null, s11, v2, vcc_lo
	global_load_dwordx2 v[10:11], v[1:2], off
.LBB3_11:
	s_or_b32 exec_lo, exec_lo, s1
	v_mov_b32_e32 v1, 0
	v_mov_b32_e32 v2, v1
	;; [unrolled: 1-line block ×8, first 2 shown]
	s_and_saveexec_b32 s1, s0
	s_cbranch_execz .LBB3_13
; %bb.12:
	s_waitcnt vmcnt(0)
	v_and_b32_e32 v3, 0x7fffffff, v17
	v_mov_b32_e32 v2, v16
	s_mov_b32 s6, 0xbd3237f4
	s_mov_b32 s10, 0xb5e68a13
	;; [unrolled: 1-line block ×4, first 2 shown]
	v_div_scale_f64 v[4:5], null, v[2:3], v[2:3], 1.0
	v_div_scale_f64 v[21:22], vcc_lo, 1.0, v[2:3], 1.0
	v_mov_b32_e32 v23, v1
	v_mov_b32_e32 v24, v1
	;; [unrolled: 1-line block ×4, first 2 shown]
	v_rcp_f64_e32 v[6:7], v[4:5]
	v_fma_f64 v[19:20], -v[4:5], v[6:7], 1.0
	v_fma_f64 v[6:7], v[6:7], v[19:20], v[6:7]
	v_fma_f64 v[19:20], -v[4:5], v[6:7], 1.0
	v_fma_f64 v[6:7], v[6:7], v[19:20], v[6:7]
	v_mul_f64 v[19:20], v[21:22], v[6:7]
	v_fma_f64 v[4:5], -v[4:5], v[19:20], v[21:22]
	v_mov_b32_e32 v21, v1
	v_mov_b32_e32 v22, v1
	v_div_fmas_f64 v[4:5], v[4:5], v[6:7], v[19:20]
	v_cmp_gt_f64_e64 vcc_lo, |v[16:17]|, 1.0
	v_div_fixup_f64 v[4:5], v[4:5], |v[16:17]|, 1.0
	v_cndmask_b32_e32 v3, v3, v5, vcc_lo
	v_cndmask_b32_e32 v2, v16, v4, vcc_lo
	v_mul_f64 v[4:5], v[2:3], v[2:3]
	v_fma_f64 v[6:7], v[4:5], s[10:11], s[6:7]
	s_mov_b32 s6, 0x69efb384
	s_mov_b32 s7, 0x3f4b2bb0
	;; [unrolled: 1-line block ×4, first 2 shown]
	v_fma_f64 v[6:7], v[4:5], v[6:7], s[6:7]
	s_mov_b32 s6, 0xaf56de9b
	s_mov_b32 s7, 0xbf67952d
	v_fma_f64 v[6:7], v[4:5], v[6:7], s[6:7]
	s_mov_b32 s6, 0xa595c56f
	s_mov_b32 s7, 0x3f7d6d43
	;; [unrolled: 3-line block ×18, first 2 shown]
	v_mul_f64 v[4:5], v[4:5], v[6:7]
	v_fma_f64 v[2:3], v[2:3], v[4:5], v[2:3]
	v_fma_f64 v[4:5], s[10:11], s[6:7], -v[2:3]
	v_cndmask_b32_e32 v3, v3, v5, vcc_lo
	v_cndmask_b32_e32 v19, v2, v4, vcc_lo
	v_bfi_b32 v20, 0x7fffffff, v3, v17
	v_mov_b32_e32 v1, v19
	v_mov_b32_e32 v3, v21
	;; [unrolled: 1-line block ×8, first 2 shown]
.LBB3_13:
	s_or_b32 exec_lo, exec_lo, s1
	s_mov_b32 s1, exec_lo
	v_cmpx_gt_i32_e64 s3, v18
	s_cbranch_execz .LBB3_15
; %bb.14:
	s_waitcnt vmcnt(0)
	v_and_b32_e32 v4, 0x7fffffff, v15
	v_mov_b32_e32 v3, v14
	s_mov_b32 s6, 0xbd3237f4
	s_mov_b32 s10, 0xb5e68a13
	;; [unrolled: 1-line block ×4, first 2 shown]
	v_div_scale_f64 v[16:17], null, v[3:4], v[3:4], 1.0
	v_div_scale_f64 v[23:24], vcc_lo, 1.0, v[3:4], 1.0
	v_rcp_f64_e32 v[19:20], v[16:17]
	v_fma_f64 v[21:22], -v[16:17], v[19:20], 1.0
	v_fma_f64 v[19:20], v[19:20], v[21:22], v[19:20]
	v_fma_f64 v[21:22], -v[16:17], v[19:20], 1.0
	v_fma_f64 v[19:20], v[19:20], v[21:22], v[19:20]
	v_mul_f64 v[21:22], v[23:24], v[19:20]
	v_fma_f64 v[16:17], -v[16:17], v[21:22], v[23:24]
	v_div_fmas_f64 v[16:17], v[16:17], v[19:20], v[21:22]
	v_cmp_gt_f64_e64 vcc_lo, |v[14:15]|, 1.0
	v_div_fixup_f64 v[16:17], v[16:17], |v[14:15]|, 1.0
	v_cndmask_b32_e32 v4, v4, v17, vcc_lo
	v_cndmask_b32_e32 v3, v14, v16, vcc_lo
	v_mul_f64 v[16:17], v[3:4], v[3:4]
	v_fma_f64 v[19:20], v[16:17], s[10:11], s[6:7]
	s_mov_b32 s6, 0x69efb384
	s_mov_b32 s7, 0x3f4b2bb0
	;; [unrolled: 1-line block ×4, first 2 shown]
	v_fma_f64 v[19:20], v[16:17], v[19:20], s[6:7]
	s_mov_b32 s6, 0xaf56de9b
	s_mov_b32 s7, 0xbf67952d
	v_fma_f64 v[19:20], v[16:17], v[19:20], s[6:7]
	s_mov_b32 s6, 0xa595c56f
	s_mov_b32 s7, 0x3f7d6d43
	;; [unrolled: 3-line block ×18, first 2 shown]
	v_mul_f64 v[16:17], v[16:17], v[19:20]
	v_fma_f64 v[3:4], v[3:4], v[16:17], v[3:4]
	v_fma_f64 v[16:17], s[10:11], s[6:7], -v[3:4]
	v_cndmask_b32_e32 v4, v4, v17, vcc_lo
	v_cndmask_b32_e32 v3, v3, v16, vcc_lo
	v_bfi_b32 v4, 0x7fffffff, v4, v15
.LBB3_15:
	s_or_b32 exec_lo, exec_lo, s1
	s_waitcnt vmcnt(0)
	v_or_b32_e32 v14, 0x200, v0
	s_mov_b32 s1, exec_lo
	v_cmpx_gt_i32_e64 s3, v14
	s_cbranch_execz .LBB3_17
; %bb.16:
	v_and_b32_e32 v6, 0x7fffffff, v13
	v_mov_b32_e32 v5, v12
	s_mov_b32 s6, 0xbd3237f4
	s_mov_b32 s10, 0xb5e68a13
	;; [unrolled: 1-line block ×4, first 2 shown]
	v_div_scale_f64 v[14:15], null, v[5:6], v[5:6], 1.0
	v_div_scale_f64 v[21:22], vcc_lo, 1.0, v[5:6], 1.0
	v_rcp_f64_e32 v[16:17], v[14:15]
	v_fma_f64 v[19:20], -v[14:15], v[16:17], 1.0
	v_fma_f64 v[16:17], v[16:17], v[19:20], v[16:17]
	v_fma_f64 v[19:20], -v[14:15], v[16:17], 1.0
	v_fma_f64 v[16:17], v[16:17], v[19:20], v[16:17]
	v_mul_f64 v[19:20], v[21:22], v[16:17]
	v_fma_f64 v[14:15], -v[14:15], v[19:20], v[21:22]
	v_div_fmas_f64 v[14:15], v[14:15], v[16:17], v[19:20]
	v_cmp_gt_f64_e64 vcc_lo, |v[12:13]|, 1.0
	v_div_fixup_f64 v[14:15], v[14:15], |v[12:13]|, 1.0
	v_cndmask_b32_e32 v6, v6, v15, vcc_lo
	v_cndmask_b32_e32 v5, v12, v14, vcc_lo
	v_mul_f64 v[14:15], v[5:6], v[5:6]
	v_fma_f64 v[16:17], v[14:15], s[10:11], s[6:7]
	s_mov_b32 s6, 0x69efb384
	s_mov_b32 s7, 0x3f4b2bb0
	;; [unrolled: 1-line block ×4, first 2 shown]
	v_fma_f64 v[16:17], v[14:15], v[16:17], s[6:7]
	s_mov_b32 s6, 0xaf56de9b
	s_mov_b32 s7, 0xbf67952d
	v_fma_f64 v[16:17], v[14:15], v[16:17], s[6:7]
	s_mov_b32 s6, 0xa595c56f
	s_mov_b32 s7, 0x3f7d6d43
	;; [unrolled: 3-line block ×18, first 2 shown]
	v_mul_f64 v[14:15], v[14:15], v[16:17]
	v_fma_f64 v[5:6], v[5:6], v[14:15], v[5:6]
	v_fma_f64 v[14:15], s[10:11], s[6:7], -v[5:6]
	v_cndmask_b32_e32 v6, v6, v15, vcc_lo
	v_cndmask_b32_e32 v5, v5, v14, vcc_lo
	v_bfi_b32 v6, 0x7fffffff, v6, v13
.LBB3_17:
	s_or_b32 exec_lo, exec_lo, s1
	v_or_b32_e32 v12, 0x300, v0
	s_mov_b32 s1, exec_lo
	v_cmpx_gt_i32_e64 s3, v12
	s_cbranch_execnz .LBB3_24
; %bb.18:
	s_or_b32 exec_lo, exec_lo, s1
	s_and_saveexec_b32 s1, s0
	s_xor_b32 s0, exec_lo, s1
	s_cbranch_execnz .LBB3_25
.LBB3_19:
	s_or_b32 exec_lo, exec_lo, s0
	s_mov_b32 s0, exec_lo
	v_cmpx_gt_i32_e64 s3, v0
	s_cbranch_execnz .LBB3_26
.LBB3_20:
	s_or_b32 exec_lo, exec_lo, s0
	s_mov_b32 s0, exec_lo
	v_cmpx_gt_i32_e64 s3, v0
	s_cbranch_execnz .LBB3_27
.LBB3_21:
	s_or_b32 exec_lo, exec_lo, s0
	s_mov_b32 s0, exec_lo
	v_cmpx_gt_i32_e64 s3, v0
	s_cbranch_execz .LBB3_23
.LBB3_22:
	v_add_nc_u32_e32 v0, s4, v0
	v_mov_b32_e32 v1, 0
	v_lshlrev_b64 v[0:1], 3, v[0:1]
	v_add_co_u32 v0, vcc_lo, s8, v0
	v_add_co_ci_u32_e64 v1, null, s9, v1, vcc_lo
	global_store_dwordx2 v[0:1], v[7:8], off
.LBB3_23:
	s_endpgm
.LBB3_24:
	v_and_b32_e32 v8, 0x7fffffff, v11
	v_mov_b32_e32 v7, v10
	s_mov_b32 s6, 0xbd3237f4
	s_mov_b32 s10, 0xb5e68a13
	;; [unrolled: 1-line block ×4, first 2 shown]
	v_div_scale_f64 v[12:13], null, v[7:8], v[7:8], 1.0
	v_div_scale_f64 v[19:20], vcc_lo, 1.0, v[7:8], 1.0
	v_rcp_f64_e32 v[14:15], v[12:13]
	v_fma_f64 v[16:17], -v[12:13], v[14:15], 1.0
	v_fma_f64 v[14:15], v[14:15], v[16:17], v[14:15]
	v_fma_f64 v[16:17], -v[12:13], v[14:15], 1.0
	v_fma_f64 v[14:15], v[14:15], v[16:17], v[14:15]
	v_mul_f64 v[16:17], v[19:20], v[14:15]
	v_fma_f64 v[12:13], -v[12:13], v[16:17], v[19:20]
	v_div_fmas_f64 v[12:13], v[12:13], v[14:15], v[16:17]
	v_cmp_gt_f64_e64 vcc_lo, |v[10:11]|, 1.0
	v_div_fixup_f64 v[12:13], v[12:13], |v[10:11]|, 1.0
	v_cndmask_b32_e32 v8, v8, v13, vcc_lo
	v_cndmask_b32_e32 v7, v10, v12, vcc_lo
	v_mul_f64 v[12:13], v[7:8], v[7:8]
	v_fma_f64 v[14:15], v[12:13], s[10:11], s[6:7]
	s_mov_b32 s6, 0x69efb384
	s_mov_b32 s7, 0x3f4b2bb0
	;; [unrolled: 1-line block ×4, first 2 shown]
	v_fma_f64 v[14:15], v[12:13], v[14:15], s[6:7]
	s_mov_b32 s6, 0xaf56de9b
	s_mov_b32 s7, 0xbf67952d
	v_fma_f64 v[14:15], v[12:13], v[14:15], s[6:7]
	s_mov_b32 s6, 0xa595c56f
	s_mov_b32 s7, 0x3f7d6d43
	v_fma_f64 v[14:15], v[12:13], v[14:15], s[6:7]
	s_mov_b32 s6, 0xa57d9582
	s_mov_b32 s7, 0xbf8c6ea4
	v_fma_f64 v[14:15], v[12:13], v[14:15], s[6:7]
	s_mov_b32 s6, 0x5f08b19f
	s_mov_b32 s7, 0x3f967e29
	v_fma_f64 v[14:15], v[12:13], v[14:15], s[6:7]
	s_mov_b32 s6, 0xfc27006a
	s_mov_b32 s7, 0xbf9e9ae6
	v_fma_f64 v[14:15], v[12:13], v[14:15], s[6:7]
	s_mov_b32 s6, 0x5711927a
	s_mov_b32 s7, 0x3fa2c15b
	v_fma_f64 v[14:15], v[12:13], v[14:15], s[6:7]
	s_mov_b32 s6, 0xe82d3ff0
	s_mov_b32 s7, 0xbfa59976
	v_fma_f64 v[14:15], v[12:13], v[14:15], s[6:7]
	s_mov_b32 s6, 0x6ef28734
	s_mov_b32 s7, 0x3fa82d5d
	v_fma_f64 v[14:15], v[12:13], v[14:15], s[6:7]
	s_mov_b32 s6, 0x6a214619
	s_mov_b32 s7, 0xbfaae5ce
	v_fma_f64 v[14:15], v[12:13], v[14:15], s[6:7]
	s_mov_b32 s6, 0x8427b883
	s_mov_b32 s7, 0x3fae1bb4
	v_fma_f64 v[14:15], v[12:13], v[14:15], s[6:7]
	s_mov_b32 s6, 0x8b207f05
	s_mov_b32 s7, 0xbfb110e4
	v_fma_f64 v[14:15], v[12:13], v[14:15], s[6:7]
	s_mov_b32 s6, 0x57b87036
	s_mov_b32 s7, 0x3fb3b136
	v_fma_f64 v[14:15], v[12:13], v[14:15], s[6:7]
	s_mov_b32 s6, 0x19378e4f
	s_mov_b32 s7, 0xbfb745d1
	v_fma_f64 v[14:15], v[12:13], v[14:15], s[6:7]
	s_mov_b32 s6, 0x17e1913c
	s_mov_b32 s7, 0x3fbc71c7
	v_fma_f64 v[14:15], v[12:13], v[14:15], s[6:7]
	s_mov_b32 s6, 0x92376b7d
	s_mov_b32 s7, 0xbfc24924
	v_fma_f64 v[14:15], v[12:13], v[14:15], s[6:7]
	s_mov_b32 s6, 0x999952cc
	s_mov_b32 s7, 0x3fc99999
	v_fma_f64 v[14:15], v[12:13], v[14:15], s[6:7]
	s_mov_b32 s6, 0x55555523
	s_mov_b32 s7, 0xbfd55555
	v_fma_f64 v[14:15], v[12:13], v[14:15], s[6:7]
	s_mov_b32 s6, 0xeeb562d6
	s_mov_b32 s7, 0x3ffaf154
	v_mul_f64 v[12:13], v[12:13], v[14:15]
	v_fma_f64 v[7:8], v[7:8], v[12:13], v[7:8]
	v_fma_f64 v[12:13], s[10:11], s[6:7], -v[7:8]
	v_cndmask_b32_e32 v8, v8, v13, vcc_lo
	v_cndmask_b32_e32 v7, v7, v12, vcc_lo
	v_bfi_b32 v8, 0x7fffffff, v8, v11
	s_or_b32 exec_lo, exec_lo, s1
	s_and_saveexec_b32 s1, s0
	s_xor_b32 s0, exec_lo, s1
	s_cbranch_execz .LBB3_19
.LBB3_25:
	v_mov_b32_e32 v10, 0
	v_mov_b32_e32 v0, v18
	v_lshlrev_b64 v[9:10], 3, v[9:10]
	v_add_co_u32 v9, vcc_lo, s8, v9
	v_add_co_ci_u32_e64 v10, null, s9, v10, vcc_lo
	global_store_dwordx2 v[9:10], v[1:2], off
	s_or_b32 exec_lo, exec_lo, s0
	s_mov_b32 s0, exec_lo
	v_cmpx_gt_i32_e64 s3, v0
	s_cbranch_execz .LBB3_20
.LBB3_26:
	v_add_nc_u32_e32 v1, s4, v0
	v_mov_b32_e32 v2, 0
	v_add_nc_u32_e32 v0, 0x100, v0
	v_lshlrev_b64 v[1:2], 3, v[1:2]
	v_add_co_u32 v1, vcc_lo, s8, v1
	v_add_co_ci_u32_e64 v2, null, s9, v2, vcc_lo
	global_store_dwordx2 v[1:2], v[3:4], off
	s_or_b32 exec_lo, exec_lo, s0
	s_mov_b32 s0, exec_lo
	v_cmpx_gt_i32_e64 s3, v0
	s_cbranch_execz .LBB3_21
.LBB3_27:
	v_add_nc_u32_e32 v1, s4, v0
	v_mov_b32_e32 v2, 0
	v_add_nc_u32_e32 v0, 0x100, v0
	v_lshlrev_b64 v[1:2], 3, v[1:2]
	v_add_co_u32 v1, vcc_lo, s8, v1
	v_add_co_ci_u32_e64 v2, null, s9, v2, vcc_lo
	global_store_dwordx2 v[1:2], v[5:6], off
	s_or_b32 exec_lo, exec_lo, s0
	s_mov_b32 s0, exec_lo
	v_cmpx_gt_i32_e64 s3, v0
	s_cbranch_execnz .LBB3_22
	s_branch .LBB3_23
	.section	.rodata,"a",@progbits
	.p2align	6, 0x0
	.amdhsa_kernel _ZN2at6native29vectorized_elementwise_kernelILi2EZZZNS0_16atan_kernel_cudaERNS_18TensorIteratorBaseEENKUlvE0_clEvENKUlvE_clEvEUldE_St5arrayIPcLm2EEEEviT0_T1_
		.amdhsa_group_segment_fixed_size 0
		.amdhsa_private_segment_fixed_size 0
		.amdhsa_kernarg_size 24
		.amdhsa_user_sgpr_count 6
		.amdhsa_user_sgpr_private_segment_buffer 1
		.amdhsa_user_sgpr_dispatch_ptr 0
		.amdhsa_user_sgpr_queue_ptr 0
		.amdhsa_user_sgpr_kernarg_segment_ptr 1
		.amdhsa_user_sgpr_dispatch_id 0
		.amdhsa_user_sgpr_flat_scratch_init 0
		.amdhsa_user_sgpr_private_segment_size 0
		.amdhsa_wavefront_size32 1
		.amdhsa_uses_dynamic_stack 0
		.amdhsa_system_sgpr_private_segment_wavefront_offset 0
		.amdhsa_system_sgpr_workgroup_id_x 1
		.amdhsa_system_sgpr_workgroup_id_y 0
		.amdhsa_system_sgpr_workgroup_id_z 0
		.amdhsa_system_sgpr_workgroup_info 0
		.amdhsa_system_vgpr_workitem_id 0
		.amdhsa_next_free_vgpr 50
		.amdhsa_next_free_sgpr 16
		.amdhsa_reserve_vcc 1
		.amdhsa_reserve_flat_scratch 0
		.amdhsa_float_round_mode_32 0
		.amdhsa_float_round_mode_16_64 0
		.amdhsa_float_denorm_mode_32 3
		.amdhsa_float_denorm_mode_16_64 3
		.amdhsa_dx10_clamp 1
		.amdhsa_ieee_mode 1
		.amdhsa_fp16_overflow 0
		.amdhsa_workgroup_processor_mode 1
		.amdhsa_memory_ordered 1
		.amdhsa_forward_progress 1
		.amdhsa_shared_vgpr_count 0
		.amdhsa_exception_fp_ieee_invalid_op 0
		.amdhsa_exception_fp_denorm_src 0
		.amdhsa_exception_fp_ieee_div_zero 0
		.amdhsa_exception_fp_ieee_overflow 0
		.amdhsa_exception_fp_ieee_underflow 0
		.amdhsa_exception_fp_ieee_inexact 0
		.amdhsa_exception_int_div_zero 0
	.end_amdhsa_kernel
	.section	.text._ZN2at6native29vectorized_elementwise_kernelILi2EZZZNS0_16atan_kernel_cudaERNS_18TensorIteratorBaseEENKUlvE0_clEvENKUlvE_clEvEUldE_St5arrayIPcLm2EEEEviT0_T1_,"axG",@progbits,_ZN2at6native29vectorized_elementwise_kernelILi2EZZZNS0_16atan_kernel_cudaERNS_18TensorIteratorBaseEENKUlvE0_clEvENKUlvE_clEvEUldE_St5arrayIPcLm2EEEEviT0_T1_,comdat
.Lfunc_end3:
	.size	_ZN2at6native29vectorized_elementwise_kernelILi2EZZZNS0_16atan_kernel_cudaERNS_18TensorIteratorBaseEENKUlvE0_clEvENKUlvE_clEvEUldE_St5arrayIPcLm2EEEEviT0_T1_, .Lfunc_end3-_ZN2at6native29vectorized_elementwise_kernelILi2EZZZNS0_16atan_kernel_cudaERNS_18TensorIteratorBaseEENKUlvE0_clEvENKUlvE_clEvEUldE_St5arrayIPcLm2EEEEviT0_T1_
                                        ; -- End function
	.set _ZN2at6native29vectorized_elementwise_kernelILi2EZZZNS0_16atan_kernel_cudaERNS_18TensorIteratorBaseEENKUlvE0_clEvENKUlvE_clEvEUldE_St5arrayIPcLm2EEEEviT0_T1_.num_vgpr, 50
	.set _ZN2at6native29vectorized_elementwise_kernelILi2EZZZNS0_16atan_kernel_cudaERNS_18TensorIteratorBaseEENKUlvE0_clEvENKUlvE_clEvEUldE_St5arrayIPcLm2EEEEviT0_T1_.num_agpr, 0
	.set _ZN2at6native29vectorized_elementwise_kernelILi2EZZZNS0_16atan_kernel_cudaERNS_18TensorIteratorBaseEENKUlvE0_clEvENKUlvE_clEvEUldE_St5arrayIPcLm2EEEEviT0_T1_.numbered_sgpr, 16
	.set _ZN2at6native29vectorized_elementwise_kernelILi2EZZZNS0_16atan_kernel_cudaERNS_18TensorIteratorBaseEENKUlvE0_clEvENKUlvE_clEvEUldE_St5arrayIPcLm2EEEEviT0_T1_.num_named_barrier, 0
	.set _ZN2at6native29vectorized_elementwise_kernelILi2EZZZNS0_16atan_kernel_cudaERNS_18TensorIteratorBaseEENKUlvE0_clEvENKUlvE_clEvEUldE_St5arrayIPcLm2EEEEviT0_T1_.private_seg_size, 0
	.set _ZN2at6native29vectorized_elementwise_kernelILi2EZZZNS0_16atan_kernel_cudaERNS_18TensorIteratorBaseEENKUlvE0_clEvENKUlvE_clEvEUldE_St5arrayIPcLm2EEEEviT0_T1_.uses_vcc, 1
	.set _ZN2at6native29vectorized_elementwise_kernelILi2EZZZNS0_16atan_kernel_cudaERNS_18TensorIteratorBaseEENKUlvE0_clEvENKUlvE_clEvEUldE_St5arrayIPcLm2EEEEviT0_T1_.uses_flat_scratch, 0
	.set _ZN2at6native29vectorized_elementwise_kernelILi2EZZZNS0_16atan_kernel_cudaERNS_18TensorIteratorBaseEENKUlvE0_clEvENKUlvE_clEvEUldE_St5arrayIPcLm2EEEEviT0_T1_.has_dyn_sized_stack, 0
	.set _ZN2at6native29vectorized_elementwise_kernelILi2EZZZNS0_16atan_kernel_cudaERNS_18TensorIteratorBaseEENKUlvE0_clEvENKUlvE_clEvEUldE_St5arrayIPcLm2EEEEviT0_T1_.has_recursion, 0
	.set _ZN2at6native29vectorized_elementwise_kernelILi2EZZZNS0_16atan_kernel_cudaERNS_18TensorIteratorBaseEENKUlvE0_clEvENKUlvE_clEvEUldE_St5arrayIPcLm2EEEEviT0_T1_.has_indirect_call, 0
	.section	.AMDGPU.csdata,"",@progbits
; Kernel info:
; codeLenInByte = 5372
; TotalNumSgprs: 18
; NumVgprs: 50
; ScratchSize: 0
; MemoryBound: 0
; FloatMode: 240
; IeeeMode: 1
; LDSByteSize: 0 bytes/workgroup (compile time only)
; SGPRBlocks: 0
; VGPRBlocks: 6
; NumSGPRsForWavesPerEU: 18
; NumVGPRsForWavesPerEU: 50
; Occupancy: 16
; WaveLimiterHint : 1
; COMPUTE_PGM_RSRC2:SCRATCH_EN: 0
; COMPUTE_PGM_RSRC2:USER_SGPR: 6
; COMPUTE_PGM_RSRC2:TRAP_HANDLER: 0
; COMPUTE_PGM_RSRC2:TGID_X_EN: 1
; COMPUTE_PGM_RSRC2:TGID_Y_EN: 0
; COMPUTE_PGM_RSRC2:TGID_Z_EN: 0
; COMPUTE_PGM_RSRC2:TIDIG_COMP_CNT: 0
	.section	.text._ZN2at6native27unrolled_elementwise_kernelIZZZNS0_16atan_kernel_cudaERNS_18TensorIteratorBaseEENKUlvE0_clEvENKUlvE_clEvEUldE_St5arrayIPcLm2EELi4E23TrivialOffsetCalculatorILi1EjESB_NS0_6memory15LoadWithoutCastENSC_16StoreWithoutCastEEEviT_T0_T2_T3_T4_T5_,"axG",@progbits,_ZN2at6native27unrolled_elementwise_kernelIZZZNS0_16atan_kernel_cudaERNS_18TensorIteratorBaseEENKUlvE0_clEvENKUlvE_clEvEUldE_St5arrayIPcLm2EELi4E23TrivialOffsetCalculatorILi1EjESB_NS0_6memory15LoadWithoutCastENSC_16StoreWithoutCastEEEviT_T0_T2_T3_T4_T5_,comdat
	.globl	_ZN2at6native27unrolled_elementwise_kernelIZZZNS0_16atan_kernel_cudaERNS_18TensorIteratorBaseEENKUlvE0_clEvENKUlvE_clEvEUldE_St5arrayIPcLm2EELi4E23TrivialOffsetCalculatorILi1EjESB_NS0_6memory15LoadWithoutCastENSC_16StoreWithoutCastEEEviT_T0_T2_T3_T4_T5_ ; -- Begin function _ZN2at6native27unrolled_elementwise_kernelIZZZNS0_16atan_kernel_cudaERNS_18TensorIteratorBaseEENKUlvE0_clEvENKUlvE_clEvEUldE_St5arrayIPcLm2EELi4E23TrivialOffsetCalculatorILi1EjESB_NS0_6memory15LoadWithoutCastENSC_16StoreWithoutCastEEEviT_T0_T2_T3_T4_T5_
	.p2align	8
	.type	_ZN2at6native27unrolled_elementwise_kernelIZZZNS0_16atan_kernel_cudaERNS_18TensorIteratorBaseEENKUlvE0_clEvENKUlvE_clEvEUldE_St5arrayIPcLm2EELi4E23TrivialOffsetCalculatorILi1EjESB_NS0_6memory15LoadWithoutCastENSC_16StoreWithoutCastEEEviT_T0_T2_T3_T4_T5_,@function
_ZN2at6native27unrolled_elementwise_kernelIZZZNS0_16atan_kernel_cudaERNS_18TensorIteratorBaseEENKUlvE0_clEvENKUlvE_clEvEUldE_St5arrayIPcLm2EELi4E23TrivialOffsetCalculatorILi1EjESB_NS0_6memory15LoadWithoutCastENSC_16StoreWithoutCastEEEviT_T0_T2_T3_T4_T5_: ; @_ZN2at6native27unrolled_elementwise_kernelIZZZNS0_16atan_kernel_cudaERNS_18TensorIteratorBaseEENKUlvE0_clEvENKUlvE_clEvEUldE_St5arrayIPcLm2EELi4E23TrivialOffsetCalculatorILi1EjESB_NS0_6memory15LoadWithoutCastENSC_16StoreWithoutCastEEEviT_T0_T2_T3_T4_T5_
; %bb.0:
	s_clause 0x1
	s_load_dword s0, s[4:5], 0x0
	s_load_dwordx4 s[8:11], s[4:5], 0x8
	s_lshl_b32 s1, s6, 10
	v_mov_b32_e32 v14, 0
	v_mov_b32_e32 v16, 0
	;; [unrolled: 1-line block ×4, first 2 shown]
	v_or_b32_e32 v9, s1, v0
	v_or_b32_e32 v18, 0x100, v0
	v_mov_b32_e32 v1, v0
	s_waitcnt lgkmcnt(0)
	s_sub_i32 s2, s0, s1
	v_cmp_gt_i32_e64 s0, s2, v0
	s_and_saveexec_b32 s3, s0
	s_cbranch_execz .LBB4_2
; %bb.1:
	v_mov_b32_e32 v10, 0
	v_lshlrev_b64 v[1:2], 3, v[9:10]
	v_add_co_u32 v1, vcc_lo, s10, v1
	v_add_co_ci_u32_e64 v2, null, s11, v2, vcc_lo
	global_load_dwordx2 v[16:17], v[1:2], off
	v_or_b32_e32 v1, 0x100, v0
.LBB4_2:
	s_or_b32 exec_lo, exec_lo, s3
	s_mov_b32 s3, exec_lo
	v_cmpx_gt_i32_e64 s2, v1
	s_cbranch_execz .LBB4_4
; %bb.3:
	v_add_nc_u32_e32 v2, s1, v1
	v_mov_b32_e32 v3, 0
	v_add_nc_u32_e32 v1, 0x100, v1
	v_lshlrev_b64 v[2:3], 3, v[2:3]
	v_add_co_u32 v2, vcc_lo, s10, v2
	v_add_co_ci_u32_e64 v3, null, s11, v3, vcc_lo
	global_load_dwordx2 v[14:15], v[2:3], off
.LBB4_4:
	s_or_b32 exec_lo, exec_lo, s3
	v_mov_b32_e32 v10, 0
	v_mov_b32_e32 v12, 0
	;; [unrolled: 1-line block ×4, first 2 shown]
	s_mov_b32 s3, exec_lo
	v_cmpx_gt_i32_e64 s2, v1
	s_cbranch_execz .LBB4_6
; %bb.5:
	v_add_nc_u32_e32 v2, s1, v1
	v_mov_b32_e32 v3, 0
	v_add_nc_u32_e32 v1, 0x100, v1
	v_lshlrev_b64 v[2:3], 3, v[2:3]
	v_add_co_u32 v2, vcc_lo, s10, v2
	v_add_co_ci_u32_e64 v3, null, s11, v3, vcc_lo
	global_load_dwordx2 v[12:13], v[2:3], off
.LBB4_6:
	s_or_b32 exec_lo, exec_lo, s3
	s_mov_b32 s3, exec_lo
	v_cmpx_gt_i32_e64 s2, v1
	s_cbranch_execz .LBB4_8
; %bb.7:
	v_add_nc_u32_e32 v1, s1, v1
	v_mov_b32_e32 v2, 0
	v_lshlrev_b64 v[1:2], 3, v[1:2]
	v_add_co_u32 v1, vcc_lo, s10, v1
	v_add_co_ci_u32_e64 v2, null, s11, v2, vcc_lo
	global_load_dwordx2 v[10:11], v[1:2], off
.LBB4_8:
	s_or_b32 exec_lo, exec_lo, s3
	v_mov_b32_e32 v1, 0
	v_mov_b32_e32 v2, v1
	v_mov_b32_e32 v3, v1
	v_mov_b32_e32 v4, v1
	v_mov_b32_e32 v5, v1
	v_mov_b32_e32 v6, v1
	v_mov_b32_e32 v7, v1
	v_mov_b32_e32 v8, v1
	s_and_saveexec_b32 s3, s0
	s_cbranch_execz .LBB4_10
; %bb.9:
	s_waitcnt vmcnt(0)
	v_and_b32_e32 v3, 0x7fffffff, v17
	v_mov_b32_e32 v2, v16
	s_mov_b32 s4, 0xbd3237f4
	s_mov_b32 s6, 0xb5e68a13
	;; [unrolled: 1-line block ×4, first 2 shown]
	v_div_scale_f64 v[4:5], null, v[2:3], v[2:3], 1.0
	v_div_scale_f64 v[21:22], vcc_lo, 1.0, v[2:3], 1.0
	v_mov_b32_e32 v23, v1
	v_mov_b32_e32 v24, v1
	;; [unrolled: 1-line block ×4, first 2 shown]
	v_rcp_f64_e32 v[6:7], v[4:5]
	v_fma_f64 v[19:20], -v[4:5], v[6:7], 1.0
	v_fma_f64 v[6:7], v[6:7], v[19:20], v[6:7]
	v_fma_f64 v[19:20], -v[4:5], v[6:7], 1.0
	v_fma_f64 v[6:7], v[6:7], v[19:20], v[6:7]
	v_mul_f64 v[19:20], v[21:22], v[6:7]
	v_fma_f64 v[4:5], -v[4:5], v[19:20], v[21:22]
	v_mov_b32_e32 v21, v1
	v_mov_b32_e32 v22, v1
	v_div_fmas_f64 v[4:5], v[4:5], v[6:7], v[19:20]
	v_cmp_gt_f64_e64 vcc_lo, |v[16:17]|, 1.0
	v_div_fixup_f64 v[4:5], v[4:5], |v[16:17]|, 1.0
	v_cndmask_b32_e32 v3, v3, v5, vcc_lo
	v_cndmask_b32_e32 v2, v16, v4, vcc_lo
	v_mul_f64 v[4:5], v[2:3], v[2:3]
	v_fma_f64 v[6:7], v[4:5], s[6:7], s[4:5]
	s_mov_b32 s4, 0x69efb384
	s_mov_b32 s5, 0x3f4b2bb0
	;; [unrolled: 1-line block ×4, first 2 shown]
	v_fma_f64 v[6:7], v[4:5], v[6:7], s[4:5]
	s_mov_b32 s4, 0xaf56de9b
	s_mov_b32 s5, 0xbf67952d
	v_fma_f64 v[6:7], v[4:5], v[6:7], s[4:5]
	s_mov_b32 s4, 0xa595c56f
	s_mov_b32 s5, 0x3f7d6d43
	;; [unrolled: 3-line block ×18, first 2 shown]
	v_mul_f64 v[4:5], v[4:5], v[6:7]
	v_fma_f64 v[2:3], v[2:3], v[4:5], v[2:3]
	v_fma_f64 v[4:5], s[6:7], s[4:5], -v[2:3]
	v_cndmask_b32_e32 v3, v3, v5, vcc_lo
	v_cndmask_b32_e32 v19, v2, v4, vcc_lo
	v_bfi_b32 v20, 0x7fffffff, v3, v17
	v_mov_b32_e32 v1, v19
	v_mov_b32_e32 v3, v21
	;; [unrolled: 1-line block ×8, first 2 shown]
.LBB4_10:
	s_or_b32 exec_lo, exec_lo, s3
	s_mov_b32 s3, exec_lo
	v_cmpx_gt_i32_e64 s2, v18
	s_cbranch_execz .LBB4_12
; %bb.11:
	s_waitcnt vmcnt(0)
	v_and_b32_e32 v4, 0x7fffffff, v15
	v_mov_b32_e32 v3, v14
	s_mov_b32 s4, 0xbd3237f4
	s_mov_b32 s6, 0xb5e68a13
	;; [unrolled: 1-line block ×4, first 2 shown]
	v_div_scale_f64 v[16:17], null, v[3:4], v[3:4], 1.0
	v_div_scale_f64 v[23:24], vcc_lo, 1.0, v[3:4], 1.0
	v_rcp_f64_e32 v[19:20], v[16:17]
	v_fma_f64 v[21:22], -v[16:17], v[19:20], 1.0
	v_fma_f64 v[19:20], v[19:20], v[21:22], v[19:20]
	v_fma_f64 v[21:22], -v[16:17], v[19:20], 1.0
	v_fma_f64 v[19:20], v[19:20], v[21:22], v[19:20]
	v_mul_f64 v[21:22], v[23:24], v[19:20]
	v_fma_f64 v[16:17], -v[16:17], v[21:22], v[23:24]
	v_div_fmas_f64 v[16:17], v[16:17], v[19:20], v[21:22]
	v_cmp_gt_f64_e64 vcc_lo, |v[14:15]|, 1.0
	v_div_fixup_f64 v[16:17], v[16:17], |v[14:15]|, 1.0
	v_cndmask_b32_e32 v4, v4, v17, vcc_lo
	v_cndmask_b32_e32 v3, v14, v16, vcc_lo
	v_mul_f64 v[16:17], v[3:4], v[3:4]
	v_fma_f64 v[19:20], v[16:17], s[6:7], s[4:5]
	s_mov_b32 s4, 0x69efb384
	s_mov_b32 s5, 0x3f4b2bb0
	;; [unrolled: 1-line block ×4, first 2 shown]
	v_fma_f64 v[19:20], v[16:17], v[19:20], s[4:5]
	s_mov_b32 s4, 0xaf56de9b
	s_mov_b32 s5, 0xbf67952d
	v_fma_f64 v[19:20], v[16:17], v[19:20], s[4:5]
	s_mov_b32 s4, 0xa595c56f
	s_mov_b32 s5, 0x3f7d6d43
	;; [unrolled: 3-line block ×18, first 2 shown]
	v_mul_f64 v[16:17], v[16:17], v[19:20]
	v_fma_f64 v[3:4], v[3:4], v[16:17], v[3:4]
	v_fma_f64 v[16:17], s[6:7], s[4:5], -v[3:4]
	v_cndmask_b32_e32 v4, v4, v17, vcc_lo
	v_cndmask_b32_e32 v3, v3, v16, vcc_lo
	v_bfi_b32 v4, 0x7fffffff, v4, v15
.LBB4_12:
	s_or_b32 exec_lo, exec_lo, s3
	s_waitcnt vmcnt(0)
	v_or_b32_e32 v14, 0x200, v0
	s_mov_b32 s3, exec_lo
	v_cmpx_gt_i32_e64 s2, v14
	s_cbranch_execz .LBB4_14
; %bb.13:
	v_and_b32_e32 v6, 0x7fffffff, v13
	v_mov_b32_e32 v5, v12
	s_mov_b32 s4, 0xbd3237f4
	s_mov_b32 s6, 0xb5e68a13
	;; [unrolled: 1-line block ×4, first 2 shown]
	v_div_scale_f64 v[14:15], null, v[5:6], v[5:6], 1.0
	v_div_scale_f64 v[21:22], vcc_lo, 1.0, v[5:6], 1.0
	v_rcp_f64_e32 v[16:17], v[14:15]
	v_fma_f64 v[19:20], -v[14:15], v[16:17], 1.0
	v_fma_f64 v[16:17], v[16:17], v[19:20], v[16:17]
	v_fma_f64 v[19:20], -v[14:15], v[16:17], 1.0
	v_fma_f64 v[16:17], v[16:17], v[19:20], v[16:17]
	v_mul_f64 v[19:20], v[21:22], v[16:17]
	v_fma_f64 v[14:15], -v[14:15], v[19:20], v[21:22]
	v_div_fmas_f64 v[14:15], v[14:15], v[16:17], v[19:20]
	v_cmp_gt_f64_e64 vcc_lo, |v[12:13]|, 1.0
	v_div_fixup_f64 v[14:15], v[14:15], |v[12:13]|, 1.0
	v_cndmask_b32_e32 v6, v6, v15, vcc_lo
	v_cndmask_b32_e32 v5, v12, v14, vcc_lo
	v_mul_f64 v[14:15], v[5:6], v[5:6]
	v_fma_f64 v[16:17], v[14:15], s[6:7], s[4:5]
	s_mov_b32 s4, 0x69efb384
	s_mov_b32 s5, 0x3f4b2bb0
	;; [unrolled: 1-line block ×4, first 2 shown]
	v_fma_f64 v[16:17], v[14:15], v[16:17], s[4:5]
	s_mov_b32 s4, 0xaf56de9b
	s_mov_b32 s5, 0xbf67952d
	v_fma_f64 v[16:17], v[14:15], v[16:17], s[4:5]
	s_mov_b32 s4, 0xa595c56f
	s_mov_b32 s5, 0x3f7d6d43
	;; [unrolled: 3-line block ×18, first 2 shown]
	v_mul_f64 v[14:15], v[14:15], v[16:17]
	v_fma_f64 v[5:6], v[5:6], v[14:15], v[5:6]
	v_fma_f64 v[14:15], s[6:7], s[4:5], -v[5:6]
	v_cndmask_b32_e32 v6, v6, v15, vcc_lo
	v_cndmask_b32_e32 v5, v5, v14, vcc_lo
	v_bfi_b32 v6, 0x7fffffff, v6, v13
.LBB4_14:
	s_or_b32 exec_lo, exec_lo, s3
	v_or_b32_e32 v12, 0x300, v0
	s_mov_b32 s3, exec_lo
	v_cmpx_gt_i32_e64 s2, v12
	s_cbranch_execnz .LBB4_20
; %bb.15:
	s_or_b32 exec_lo, exec_lo, s3
	s_and_saveexec_b32 s3, s0
	s_xor_b32 s0, exec_lo, s3
	s_cbranch_execnz .LBB4_21
.LBB4_16:
	s_or_b32 exec_lo, exec_lo, s0
	s_mov_b32 s0, exec_lo
	v_cmpx_gt_i32_e64 s2, v0
	s_cbranch_execnz .LBB4_22
.LBB4_17:
	s_or_b32 exec_lo, exec_lo, s0
	s_mov_b32 s0, exec_lo
	v_cmpx_gt_i32_e64 s2, v0
	s_cbranch_execnz .LBB4_23
.LBB4_18:
	s_or_b32 exec_lo, exec_lo, s0
	s_mov_b32 s0, exec_lo
	v_cmpx_gt_i32_e64 s2, v0
	s_cbranch_execnz .LBB4_24
.LBB4_19:
	s_endpgm
.LBB4_20:
	v_and_b32_e32 v8, 0x7fffffff, v11
	v_mov_b32_e32 v7, v10
	s_mov_b32 s4, 0xbd3237f4
	s_mov_b32 s6, 0xb5e68a13
	;; [unrolled: 1-line block ×4, first 2 shown]
	v_div_scale_f64 v[12:13], null, v[7:8], v[7:8], 1.0
	v_div_scale_f64 v[19:20], vcc_lo, 1.0, v[7:8], 1.0
	v_rcp_f64_e32 v[14:15], v[12:13]
	v_fma_f64 v[16:17], -v[12:13], v[14:15], 1.0
	v_fma_f64 v[14:15], v[14:15], v[16:17], v[14:15]
	v_fma_f64 v[16:17], -v[12:13], v[14:15], 1.0
	v_fma_f64 v[14:15], v[14:15], v[16:17], v[14:15]
	v_mul_f64 v[16:17], v[19:20], v[14:15]
	v_fma_f64 v[12:13], -v[12:13], v[16:17], v[19:20]
	v_div_fmas_f64 v[12:13], v[12:13], v[14:15], v[16:17]
	v_cmp_gt_f64_e64 vcc_lo, |v[10:11]|, 1.0
	v_div_fixup_f64 v[12:13], v[12:13], |v[10:11]|, 1.0
	v_cndmask_b32_e32 v8, v8, v13, vcc_lo
	v_cndmask_b32_e32 v7, v10, v12, vcc_lo
	v_mul_f64 v[12:13], v[7:8], v[7:8]
	v_fma_f64 v[14:15], v[12:13], s[6:7], s[4:5]
	s_mov_b32 s4, 0x69efb384
	s_mov_b32 s5, 0x3f4b2bb0
	;; [unrolled: 1-line block ×4, first 2 shown]
	v_fma_f64 v[14:15], v[12:13], v[14:15], s[4:5]
	s_mov_b32 s4, 0xaf56de9b
	s_mov_b32 s5, 0xbf67952d
	v_fma_f64 v[14:15], v[12:13], v[14:15], s[4:5]
	s_mov_b32 s4, 0xa595c56f
	s_mov_b32 s5, 0x3f7d6d43
	;; [unrolled: 3-line block ×18, first 2 shown]
	v_mul_f64 v[12:13], v[12:13], v[14:15]
	v_fma_f64 v[7:8], v[7:8], v[12:13], v[7:8]
	v_fma_f64 v[12:13], s[6:7], s[4:5], -v[7:8]
	v_cndmask_b32_e32 v8, v8, v13, vcc_lo
	v_cndmask_b32_e32 v7, v7, v12, vcc_lo
	v_bfi_b32 v8, 0x7fffffff, v8, v11
	s_or_b32 exec_lo, exec_lo, s3
	s_and_saveexec_b32 s3, s0
	s_xor_b32 s0, exec_lo, s3
	s_cbranch_execz .LBB4_16
.LBB4_21:
	v_mov_b32_e32 v10, 0
	v_mov_b32_e32 v0, v18
	v_lshlrev_b64 v[9:10], 3, v[9:10]
	v_add_co_u32 v9, vcc_lo, s8, v9
	v_add_co_ci_u32_e64 v10, null, s9, v10, vcc_lo
	global_store_dwordx2 v[9:10], v[1:2], off
	s_or_b32 exec_lo, exec_lo, s0
	s_mov_b32 s0, exec_lo
	v_cmpx_gt_i32_e64 s2, v0
	s_cbranch_execz .LBB4_17
.LBB4_22:
	v_add_nc_u32_e32 v1, s1, v0
	v_mov_b32_e32 v2, 0
	v_add_nc_u32_e32 v0, 0x100, v0
	v_lshlrev_b64 v[1:2], 3, v[1:2]
	v_add_co_u32 v1, vcc_lo, s8, v1
	v_add_co_ci_u32_e64 v2, null, s9, v2, vcc_lo
	global_store_dwordx2 v[1:2], v[3:4], off
	s_or_b32 exec_lo, exec_lo, s0
	s_mov_b32 s0, exec_lo
	v_cmpx_gt_i32_e64 s2, v0
	s_cbranch_execz .LBB4_18
.LBB4_23:
	v_add_nc_u32_e32 v1, s1, v0
	v_mov_b32_e32 v2, 0
	v_add_nc_u32_e32 v0, 0x100, v0
	v_lshlrev_b64 v[1:2], 3, v[1:2]
	v_add_co_u32 v1, vcc_lo, s8, v1
	v_add_co_ci_u32_e64 v2, null, s9, v2, vcc_lo
	global_store_dwordx2 v[1:2], v[5:6], off
	s_or_b32 exec_lo, exec_lo, s0
	s_mov_b32 s0, exec_lo
	v_cmpx_gt_i32_e64 s2, v0
	s_cbranch_execz .LBB4_19
.LBB4_24:
	v_add_nc_u32_e32 v0, s1, v0
	v_mov_b32_e32 v1, 0
	v_lshlrev_b64 v[0:1], 3, v[0:1]
	v_add_co_u32 v0, vcc_lo, s8, v0
	v_add_co_ci_u32_e64 v1, null, s9, v1, vcc_lo
	global_store_dwordx2 v[0:1], v[7:8], off
	s_endpgm
	.section	.rodata,"a",@progbits
	.p2align	6, 0x0
	.amdhsa_kernel _ZN2at6native27unrolled_elementwise_kernelIZZZNS0_16atan_kernel_cudaERNS_18TensorIteratorBaseEENKUlvE0_clEvENKUlvE_clEvEUldE_St5arrayIPcLm2EELi4E23TrivialOffsetCalculatorILi1EjESB_NS0_6memory15LoadWithoutCastENSC_16StoreWithoutCastEEEviT_T0_T2_T3_T4_T5_
		.amdhsa_group_segment_fixed_size 0
		.amdhsa_private_segment_fixed_size 0
		.amdhsa_kernarg_size 28
		.amdhsa_user_sgpr_count 6
		.amdhsa_user_sgpr_private_segment_buffer 1
		.amdhsa_user_sgpr_dispatch_ptr 0
		.amdhsa_user_sgpr_queue_ptr 0
		.amdhsa_user_sgpr_kernarg_segment_ptr 1
		.amdhsa_user_sgpr_dispatch_id 0
		.amdhsa_user_sgpr_flat_scratch_init 0
		.amdhsa_user_sgpr_private_segment_size 0
		.amdhsa_wavefront_size32 1
		.amdhsa_uses_dynamic_stack 0
		.amdhsa_system_sgpr_private_segment_wavefront_offset 0
		.amdhsa_system_sgpr_workgroup_id_x 1
		.amdhsa_system_sgpr_workgroup_id_y 0
		.amdhsa_system_sgpr_workgroup_id_z 0
		.amdhsa_system_sgpr_workgroup_info 0
		.amdhsa_system_vgpr_workitem_id 0
		.amdhsa_next_free_vgpr 27
		.amdhsa_next_free_sgpr 12
		.amdhsa_reserve_vcc 1
		.amdhsa_reserve_flat_scratch 0
		.amdhsa_float_round_mode_32 0
		.amdhsa_float_round_mode_16_64 0
		.amdhsa_float_denorm_mode_32 3
		.amdhsa_float_denorm_mode_16_64 3
		.amdhsa_dx10_clamp 1
		.amdhsa_ieee_mode 1
		.amdhsa_fp16_overflow 0
		.amdhsa_workgroup_processor_mode 1
		.amdhsa_memory_ordered 1
		.amdhsa_forward_progress 1
		.amdhsa_shared_vgpr_count 0
		.amdhsa_exception_fp_ieee_invalid_op 0
		.amdhsa_exception_fp_denorm_src 0
		.amdhsa_exception_fp_ieee_div_zero 0
		.amdhsa_exception_fp_ieee_overflow 0
		.amdhsa_exception_fp_ieee_underflow 0
		.amdhsa_exception_fp_ieee_inexact 0
		.amdhsa_exception_int_div_zero 0
	.end_amdhsa_kernel
	.section	.text._ZN2at6native27unrolled_elementwise_kernelIZZZNS0_16atan_kernel_cudaERNS_18TensorIteratorBaseEENKUlvE0_clEvENKUlvE_clEvEUldE_St5arrayIPcLm2EELi4E23TrivialOffsetCalculatorILi1EjESB_NS0_6memory15LoadWithoutCastENSC_16StoreWithoutCastEEEviT_T0_T2_T3_T4_T5_,"axG",@progbits,_ZN2at6native27unrolled_elementwise_kernelIZZZNS0_16atan_kernel_cudaERNS_18TensorIteratorBaseEENKUlvE0_clEvENKUlvE_clEvEUldE_St5arrayIPcLm2EELi4E23TrivialOffsetCalculatorILi1EjESB_NS0_6memory15LoadWithoutCastENSC_16StoreWithoutCastEEEviT_T0_T2_T3_T4_T5_,comdat
.Lfunc_end4:
	.size	_ZN2at6native27unrolled_elementwise_kernelIZZZNS0_16atan_kernel_cudaERNS_18TensorIteratorBaseEENKUlvE0_clEvENKUlvE_clEvEUldE_St5arrayIPcLm2EELi4E23TrivialOffsetCalculatorILi1EjESB_NS0_6memory15LoadWithoutCastENSC_16StoreWithoutCastEEEviT_T0_T2_T3_T4_T5_, .Lfunc_end4-_ZN2at6native27unrolled_elementwise_kernelIZZZNS0_16atan_kernel_cudaERNS_18TensorIteratorBaseEENKUlvE0_clEvENKUlvE_clEvEUldE_St5arrayIPcLm2EELi4E23TrivialOffsetCalculatorILi1EjESB_NS0_6memory15LoadWithoutCastENSC_16StoreWithoutCastEEEviT_T0_T2_T3_T4_T5_
                                        ; -- End function
	.set _ZN2at6native27unrolled_elementwise_kernelIZZZNS0_16atan_kernel_cudaERNS_18TensorIteratorBaseEENKUlvE0_clEvENKUlvE_clEvEUldE_St5arrayIPcLm2EELi4E23TrivialOffsetCalculatorILi1EjESB_NS0_6memory15LoadWithoutCastENSC_16StoreWithoutCastEEEviT_T0_T2_T3_T4_T5_.num_vgpr, 27
	.set _ZN2at6native27unrolled_elementwise_kernelIZZZNS0_16atan_kernel_cudaERNS_18TensorIteratorBaseEENKUlvE0_clEvENKUlvE_clEvEUldE_St5arrayIPcLm2EELi4E23TrivialOffsetCalculatorILi1EjESB_NS0_6memory15LoadWithoutCastENSC_16StoreWithoutCastEEEviT_T0_T2_T3_T4_T5_.num_agpr, 0
	.set _ZN2at6native27unrolled_elementwise_kernelIZZZNS0_16atan_kernel_cudaERNS_18TensorIteratorBaseEENKUlvE0_clEvENKUlvE_clEvEUldE_St5arrayIPcLm2EELi4E23TrivialOffsetCalculatorILi1EjESB_NS0_6memory15LoadWithoutCastENSC_16StoreWithoutCastEEEviT_T0_T2_T3_T4_T5_.numbered_sgpr, 12
	.set _ZN2at6native27unrolled_elementwise_kernelIZZZNS0_16atan_kernel_cudaERNS_18TensorIteratorBaseEENKUlvE0_clEvENKUlvE_clEvEUldE_St5arrayIPcLm2EELi4E23TrivialOffsetCalculatorILi1EjESB_NS0_6memory15LoadWithoutCastENSC_16StoreWithoutCastEEEviT_T0_T2_T3_T4_T5_.num_named_barrier, 0
	.set _ZN2at6native27unrolled_elementwise_kernelIZZZNS0_16atan_kernel_cudaERNS_18TensorIteratorBaseEENKUlvE0_clEvENKUlvE_clEvEUldE_St5arrayIPcLm2EELi4E23TrivialOffsetCalculatorILi1EjESB_NS0_6memory15LoadWithoutCastENSC_16StoreWithoutCastEEEviT_T0_T2_T3_T4_T5_.private_seg_size, 0
	.set _ZN2at6native27unrolled_elementwise_kernelIZZZNS0_16atan_kernel_cudaERNS_18TensorIteratorBaseEENKUlvE0_clEvENKUlvE_clEvEUldE_St5arrayIPcLm2EELi4E23TrivialOffsetCalculatorILi1EjESB_NS0_6memory15LoadWithoutCastENSC_16StoreWithoutCastEEEviT_T0_T2_T3_T4_T5_.uses_vcc, 1
	.set _ZN2at6native27unrolled_elementwise_kernelIZZZNS0_16atan_kernel_cudaERNS_18TensorIteratorBaseEENKUlvE0_clEvENKUlvE_clEvEUldE_St5arrayIPcLm2EELi4E23TrivialOffsetCalculatorILi1EjESB_NS0_6memory15LoadWithoutCastENSC_16StoreWithoutCastEEEviT_T0_T2_T3_T4_T5_.uses_flat_scratch, 0
	.set _ZN2at6native27unrolled_elementwise_kernelIZZZNS0_16atan_kernel_cudaERNS_18TensorIteratorBaseEENKUlvE0_clEvENKUlvE_clEvEUldE_St5arrayIPcLm2EELi4E23TrivialOffsetCalculatorILi1EjESB_NS0_6memory15LoadWithoutCastENSC_16StoreWithoutCastEEEviT_T0_T2_T3_T4_T5_.has_dyn_sized_stack, 0
	.set _ZN2at6native27unrolled_elementwise_kernelIZZZNS0_16atan_kernel_cudaERNS_18TensorIteratorBaseEENKUlvE0_clEvENKUlvE_clEvEUldE_St5arrayIPcLm2EELi4E23TrivialOffsetCalculatorILi1EjESB_NS0_6memory15LoadWithoutCastENSC_16StoreWithoutCastEEEviT_T0_T2_T3_T4_T5_.has_recursion, 0
	.set _ZN2at6native27unrolled_elementwise_kernelIZZZNS0_16atan_kernel_cudaERNS_18TensorIteratorBaseEENKUlvE0_clEvENKUlvE_clEvEUldE_St5arrayIPcLm2EELi4E23TrivialOffsetCalculatorILi1EjESB_NS0_6memory15LoadWithoutCastENSC_16StoreWithoutCastEEEviT_T0_T2_T3_T4_T5_.has_indirect_call, 0
	.section	.AMDGPU.csdata,"",@progbits
; Kernel info:
; codeLenInByte = 3532
; TotalNumSgprs: 14
; NumVgprs: 27
; ScratchSize: 0
; MemoryBound: 0
; FloatMode: 240
; IeeeMode: 1
; LDSByteSize: 0 bytes/workgroup (compile time only)
; SGPRBlocks: 0
; VGPRBlocks: 3
; NumSGPRsForWavesPerEU: 14
; NumVGPRsForWavesPerEU: 27
; Occupancy: 16
; WaveLimiterHint : 0
; COMPUTE_PGM_RSRC2:SCRATCH_EN: 0
; COMPUTE_PGM_RSRC2:USER_SGPR: 6
; COMPUTE_PGM_RSRC2:TRAP_HANDLER: 0
; COMPUTE_PGM_RSRC2:TGID_X_EN: 1
; COMPUTE_PGM_RSRC2:TGID_Y_EN: 0
; COMPUTE_PGM_RSRC2:TGID_Z_EN: 0
; COMPUTE_PGM_RSRC2:TIDIG_COMP_CNT: 0
	.section	.text._ZN2at6native32elementwise_kernel_manual_unrollILi128ELi4EZNS0_22gpu_kernel_impl_nocastIZZZNS0_16atan_kernel_cudaERNS_18TensorIteratorBaseEENKUlvE0_clEvENKUlvE_clEvEUldE_EEvS4_RKT_EUlibE_EEviT1_,"axG",@progbits,_ZN2at6native32elementwise_kernel_manual_unrollILi128ELi4EZNS0_22gpu_kernel_impl_nocastIZZZNS0_16atan_kernel_cudaERNS_18TensorIteratorBaseEENKUlvE0_clEvENKUlvE_clEvEUldE_EEvS4_RKT_EUlibE_EEviT1_,comdat
	.globl	_ZN2at6native32elementwise_kernel_manual_unrollILi128ELi4EZNS0_22gpu_kernel_impl_nocastIZZZNS0_16atan_kernel_cudaERNS_18TensorIteratorBaseEENKUlvE0_clEvENKUlvE_clEvEUldE_EEvS4_RKT_EUlibE_EEviT1_ ; -- Begin function _ZN2at6native32elementwise_kernel_manual_unrollILi128ELi4EZNS0_22gpu_kernel_impl_nocastIZZZNS0_16atan_kernel_cudaERNS_18TensorIteratorBaseEENKUlvE0_clEvENKUlvE_clEvEUldE_EEvS4_RKT_EUlibE_EEviT1_
	.p2align	8
	.type	_ZN2at6native32elementwise_kernel_manual_unrollILi128ELi4EZNS0_22gpu_kernel_impl_nocastIZZZNS0_16atan_kernel_cudaERNS_18TensorIteratorBaseEENKUlvE0_clEvENKUlvE_clEvEUldE_EEvS4_RKT_EUlibE_EEviT1_,@function
_ZN2at6native32elementwise_kernel_manual_unrollILi128ELi4EZNS0_22gpu_kernel_impl_nocastIZZZNS0_16atan_kernel_cudaERNS_18TensorIteratorBaseEENKUlvE0_clEvENKUlvE_clEvEUldE_EEvS4_RKT_EUlibE_EEviT1_: ; @_ZN2at6native32elementwise_kernel_manual_unrollILi128ELi4EZNS0_22gpu_kernel_impl_nocastIZZZNS0_16atan_kernel_cudaERNS_18TensorIteratorBaseEENKUlvE0_clEvENKUlvE_clEvEUldE_EEvS4_RKT_EUlibE_EEviT1_
; %bb.0:
	s_clause 0x1
	s_load_dword s22, s[4:5], 0x8
	s_load_dword s27, s[4:5], 0x0
	v_lshl_or_b32 v5, s6, 9, v0
	s_add_u32 s12, s4, 8
	s_addc_u32 s13, s5, 0
	s_mov_b32 s0, exec_lo
	v_or_b32_e32 v12, 0x180, v5
	s_waitcnt lgkmcnt(0)
	s_add_i32 s23, s22, -1
	s_cmp_gt_u32 s23, 1
	s_cselect_b32 s24, -1, 0
	v_cmpx_le_i32_e64 s27, v12
	s_xor_b32 s25, exec_lo, s0
	s_cbranch_execz .LBB5_7
; %bb.1:
	s_clause 0x3
	s_load_dwordx4 s[8:11], s[12:13], 0x4
	s_load_dwordx2 s[14:15], s[12:13], 0x14
	s_load_dwordx4 s[4:7], s[12:13], 0xc4
	s_load_dwordx4 s[0:3], s[12:13], 0x148
	s_cmp_lg_u32 s22, 0
	s_mov_b32 s30, exec_lo
	s_cselect_b32 s29, -1, 0
	s_add_u32 s16, s12, 0xc4
	s_addc_u32 s17, s13, 0
	s_min_u32 s28, s23, 15
	s_cmp_gt_u32 s22, 1
	s_cselect_b32 s26, -1, 0
	v_cmpx_gt_i32_e64 s27, v5
	s_cbranch_execz .LBB5_14
; %bb.2:
	s_andn2_b32 vcc_lo, exec_lo, s24
	s_cbranch_vccnz .LBB5_21
; %bb.3:
	s_andn2_b32 vcc_lo, exec_lo, s29
	s_cbranch_vccnz .LBB5_73
; %bb.4:
	s_add_i32 s33, s28, 1
	s_cmp_eq_u32 s23, 2
	s_cbranch_scc1 .LBB5_75
; %bb.5:
	v_mov_b32_e32 v2, 0
	v_mov_b32_e32 v0, 0
	;; [unrolled: 1-line block ×3, first 2 shown]
	s_and_b32 s31, s33, 28
	s_mov_b32 s34, 0
	s_mov_b64 s[18:19], s[12:13]
	s_mov_b64 s[20:21], s[16:17]
.LBB5_6:                                ; =>This Inner Loop Header: Depth=1
	s_clause 0x1
	s_load_dwordx8 s[36:43], s[18:19], 0x4
	s_load_dwordx4 s[52:55], s[18:19], 0x24
	s_load_dwordx8 s[44:51], s[20:21], 0x0
	s_add_u32 s18, s18, 48
	s_addc_u32 s19, s19, 0
	s_add_i32 s34, s34, 4
	s_add_u32 s20, s20, 32
	s_addc_u32 s21, s21, 0
	s_cmp_lg_u32 s31, s34
	s_waitcnt lgkmcnt(0)
	v_mul_hi_u32 v3, s37, v1
	v_add_nc_u32_e32 v3, v1, v3
	v_lshrrev_b32_e32 v3, s38, v3
	v_mul_hi_u32 v4, s40, v3
	v_mul_lo_u32 v7, v3, s36
	v_add_nc_u32_e32 v4, v3, v4
	v_sub_nc_u32_e32 v1, v1, v7
	v_lshrrev_b32_e32 v4, s41, v4
	v_mul_lo_u32 v7, v1, s44
	v_mul_lo_u32 v9, v1, s45
	v_mul_hi_u32 v6, s43, v4
	v_add_nc_u32_e32 v6, v4, v6
	v_lshrrev_b32_e32 v6, s52, v6
	v_mul_hi_u32 v8, s54, v6
	v_mul_lo_u32 v10, v6, s42
	v_add_nc_u32_e32 v1, v6, v8
	v_mul_lo_u32 v8, v4, s39
	v_sub_nc_u32_e32 v4, v4, v10
	v_lshrrev_b32_e32 v1, s55, v1
	v_mul_lo_u32 v10, v4, s48
	v_mul_lo_u32 v4, v4, s49
	v_sub_nc_u32_e32 v3, v3, v8
	v_mul_lo_u32 v11, v1, s53
	v_mul_lo_u32 v8, v3, s46
	;; [unrolled: 1-line block ×3, first 2 shown]
	v_sub_nc_u32_e32 v6, v6, v11
	v_add3_u32 v0, v7, v0, v8
	v_mul_lo_u32 v11, v6, s50
	v_mul_lo_u32 v6, v6, s51
	v_add3_u32 v2, v9, v2, v3
	v_add3_u32 v0, v10, v0, v11
	;; [unrolled: 1-line block ×3, first 2 shown]
	s_cbranch_scc1 .LBB5_6
	s_branch .LBB5_76
.LBB5_7:
	s_andn2_saveexec_b32 s0, s25
	s_cbranch_execz .LBB5_101
.LBB5_8:
	v_cndmask_b32_e64 v8, 0, 1, s24
	s_andn2_b32 vcc_lo, exec_lo, s24
	s_cbranch_vccnz .LBB5_20
; %bb.9:
	s_cmp_lg_u32 s22, 0
	s_mov_b32 s4, 0
	s_cbranch_scc0 .LBB5_23
; %bb.10:
	s_min_u32 s6, s23, 15
	s_add_i32 s6, s6, 1
	s_cmp_eq_u32 s23, 2
	s_cbranch_scc1 .LBB5_24
; %bb.11:
	v_mov_b32_e32 v3, 0
	v_mov_b32_e32 v0, 0
	;; [unrolled: 1-line block ×3, first 2 shown]
	s_and_b32 s5, s6, 28
	s_add_u32 s0, s12, 0xc4
	s_addc_u32 s1, s13, 0
	s_mov_b32 s7, 0
	s_mov_b64 s[2:3], s[12:13]
.LBB5_12:                               ; =>This Inner Loop Header: Depth=1
	s_clause 0x1
	s_load_dwordx8 s[24:31], s[2:3], 0x4
	s_load_dwordx4 s[8:11], s[2:3], 0x24
	s_load_dwordx8 s[36:43], s[0:1], 0x0
	s_add_u32 s2, s2, 48
	s_addc_u32 s3, s3, 0
	s_add_i32 s7, s7, 4
	s_add_u32 s0, s0, 32
	s_addc_u32 s1, s1, 0
	s_cmp_lg_u32 s5, s7
	s_waitcnt lgkmcnt(0)
	v_mul_hi_u32 v2, s25, v1
	v_add_nc_u32_e32 v2, v1, v2
	v_lshrrev_b32_e32 v2, s26, v2
	v_mul_hi_u32 v4, s28, v2
	v_mul_lo_u32 v7, v2, s24
	v_add_nc_u32_e32 v4, v2, v4
	v_sub_nc_u32_e32 v1, v1, v7
	v_lshrrev_b32_e32 v4, s29, v4
	v_mul_lo_u32 v7, v1, s36
	v_mul_lo_u32 v10, v1, s37
	v_mul_hi_u32 v6, s31, v4
	v_add_nc_u32_e32 v6, v4, v6
	v_lshrrev_b32_e32 v6, s8, v6
	v_mul_hi_u32 v9, s10, v6
	v_mul_lo_u32 v11, v6, s30
	v_add_nc_u32_e32 v1, v6, v9
	v_mul_lo_u32 v9, v4, s27
	v_sub_nc_u32_e32 v4, v4, v11
	v_lshrrev_b32_e32 v1, s11, v1
	v_mul_lo_u32 v11, v4, s40
	v_mul_lo_u32 v4, v4, s41
	v_sub_nc_u32_e32 v2, v2, v9
	v_mul_lo_u32 v13, v1, s9
	v_mul_lo_u32 v9, v2, s38
	;; [unrolled: 1-line block ×3, first 2 shown]
	v_sub_nc_u32_e32 v6, v6, v13
	v_add3_u32 v0, v7, v0, v9
	v_mul_lo_u32 v13, v6, s42
	v_mul_lo_u32 v6, v6, s43
	v_add3_u32 v2, v10, v3, v2
	v_add3_u32 v0, v11, v0, v13
	;; [unrolled: 1-line block ×3, first 2 shown]
	s_cbranch_scc1 .LBB5_12
; %bb.13:
	s_and_b32 s6, s6, 3
	s_cmp_eq_u32 s6, 0
	s_cbranch_scc0 .LBB5_25
	s_branch .LBB5_27
.LBB5_14:
	s_or_b32 exec_lo, exec_lo, s30
	s_mov_b32 s30, exec_lo
	v_cmpx_gt_i32_e64 s27, v5
	s_cbranch_execz .LBB5_83
.LBB5_15:
	s_andn2_b32 vcc_lo, exec_lo, s24
	s_cbranch_vccnz .LBB5_22
; %bb.16:
	s_andn2_b32 vcc_lo, exec_lo, s29
	s_cbranch_vccnz .LBB5_74
; %bb.17:
	s_add_i32 s33, s28, 1
	s_cmp_eq_u32 s23, 2
	s_cbranch_scc1 .LBB5_91
; %bb.18:
	v_mov_b32_e32 v2, 0
	v_mov_b32_e32 v0, 0
	;; [unrolled: 1-line block ×3, first 2 shown]
	s_and_b32 s31, s33, 28
	s_mov_b32 s34, 0
	s_mov_b64 s[18:19], s[12:13]
	s_mov_b64 s[20:21], s[16:17]
.LBB5_19:                               ; =>This Inner Loop Header: Depth=1
	s_clause 0x1
	s_load_dwordx8 s[36:43], s[18:19], 0x4
	s_load_dwordx4 s[52:55], s[18:19], 0x24
	s_load_dwordx8 s[44:51], s[20:21], 0x0
	s_add_u32 s18, s18, 48
	s_addc_u32 s19, s19, 0
	s_add_i32 s34, s34, 4
	s_add_u32 s20, s20, 32
	s_addc_u32 s21, s21, 0
	s_cmp_eq_u32 s31, s34
	s_waitcnt lgkmcnt(0)
	v_mul_hi_u32 v3, s37, v1
	v_add_nc_u32_e32 v3, v1, v3
	v_lshrrev_b32_e32 v3, s38, v3
	v_mul_hi_u32 v4, s40, v3
	v_mul_lo_u32 v7, v3, s36
	v_add_nc_u32_e32 v4, v3, v4
	v_sub_nc_u32_e32 v1, v1, v7
	v_lshrrev_b32_e32 v4, s41, v4
	v_mul_lo_u32 v7, v1, s44
	v_mul_lo_u32 v9, v1, s45
	v_mul_hi_u32 v6, s43, v4
	v_add_nc_u32_e32 v6, v4, v6
	v_lshrrev_b32_e32 v6, s52, v6
	v_mul_hi_u32 v8, s54, v6
	v_mul_lo_u32 v10, v6, s42
	v_add_nc_u32_e32 v1, v6, v8
	v_mul_lo_u32 v8, v4, s39
	v_sub_nc_u32_e32 v4, v4, v10
	v_lshrrev_b32_e32 v1, s55, v1
	v_mul_lo_u32 v10, v4, s48
	v_mul_lo_u32 v4, v4, s49
	v_sub_nc_u32_e32 v3, v3, v8
	v_mul_lo_u32 v11, v1, s53
	v_mul_lo_u32 v8, v3, s46
	;; [unrolled: 1-line block ×3, first 2 shown]
	v_sub_nc_u32_e32 v6, v6, v11
	v_add3_u32 v0, v7, v0, v8
	v_mul_lo_u32 v11, v6, s50
	v_mul_lo_u32 v6, v6, s51
	v_add3_u32 v2, v9, v2, v3
	v_add3_u32 v0, v10, v0, v11
	;; [unrolled: 1-line block ×3, first 2 shown]
	s_cbranch_scc0 .LBB5_19
	s_branch .LBB5_92
.LBB5_20:
	s_mov_b32 s4, -1
                                        ; implicit-def: $vgpr0
                                        ; implicit-def: $vgpr3
	s_branch .LBB5_27
.LBB5_21:
                                        ; implicit-def: $vgpr0
                                        ; implicit-def: $vgpr2
	s_branch .LBB5_80
.LBB5_22:
                                        ; implicit-def: $vgpr0
                                        ; implicit-def: $vgpr2
	s_branch .LBB5_96
.LBB5_23:
	v_mov_b32_e32 v0, 0
	v_mov_b32_e32 v3, 0
	s_branch .LBB5_27
.LBB5_24:
	v_mov_b32_e32 v0, 0
	v_mov_b32_e32 v3, 0
	;; [unrolled: 1-line block ×3, first 2 shown]
	s_mov_b32 s5, 0
	s_and_b32 s6, s6, 3
	s_cmp_eq_u32 s6, 0
	s_cbranch_scc1 .LBB5_27
.LBB5_25:
	s_lshl_b32 s0, s5, 3
	s_mul_i32 s2, s5, 12
	s_add_u32 s0, s12, s0
	s_addc_u32 s1, s13, 0
	s_add_u32 s0, s0, 0xc4
	s_addc_u32 s1, s1, 0
	;; [unrolled: 2-line block ×3, first 2 shown]
	.p2align	6
.LBB5_26:                               ; =>This Inner Loop Header: Depth=1
	s_clause 0x1
	s_load_dwordx2 s[8:9], s[2:3], 0x4
	s_load_dword s5, s[2:3], 0xc
	s_load_dwordx2 s[10:11], s[0:1], 0x0
	s_add_u32 s2, s2, 12
	s_addc_u32 s3, s3, 0
	s_add_u32 s0, s0, 8
	s_addc_u32 s1, s1, 0
	s_add_i32 s6, s6, -1
	s_cmp_lg_u32 s6, 0
	s_waitcnt lgkmcnt(0)
	v_mul_hi_u32 v2, s9, v1
	v_add_nc_u32_e32 v2, v1, v2
	v_lshrrev_b32_e32 v2, s5, v2
	v_mul_lo_u32 v4, v2, s8
	v_sub_nc_u32_e32 v4, v1, v4
	v_mad_u64_u32 v[0:1], null, v4, s10, v[0:1]
	v_mad_u64_u32 v[3:4], null, v4, s11, v[3:4]
	v_mov_b32_e32 v1, v2
	s_cbranch_scc1 .LBB5_26
.LBB5_27:
	s_andn2_b32 vcc_lo, exec_lo, s4
	s_cbranch_vccnz .LBB5_30
; %bb.28:
	s_clause 0x1
	s_load_dwordx4 s[0:3], s[12:13], 0x4
	s_load_dwordx2 s[4:5], s[12:13], 0xc4
	s_cmp_lt_u32 s22, 2
	s_waitcnt lgkmcnt(0)
	v_mul_hi_u32 v0, s1, v5
	v_add_nc_u32_e32 v0, v5, v0
	v_lshrrev_b32_e32 v1, s2, v0
	v_mul_lo_u32 v0, v1, s0
	v_sub_nc_u32_e32 v2, v5, v0
	v_mul_lo_u32 v0, v2, s4
	v_mul_lo_u32 v3, v2, s5
	s_cbranch_scc1 .LBB5_30
; %bb.29:
	s_clause 0x1
	s_load_dwordx4 s[0:3], s[12:13], 0x10
	s_load_dwordx2 s[4:5], s[12:13], 0xcc
	s_waitcnt lgkmcnt(0)
	v_mul_hi_u32 v2, s1, v1
	v_add_nc_u32_e32 v2, v1, v2
	v_lshrrev_b32_e32 v2, s2, v2
	v_mul_lo_u32 v2, v2, s0
	v_sub_nc_u32_e32 v2, v1, v2
	v_mad_u64_u32 v[0:1], null, v2, s4, v[0:1]
	v_mad_u64_u32 v[3:4], null, v2, s5, v[3:4]
.LBB5_30:
	v_cmp_ne_u32_e32 vcc_lo, 1, v8
	v_add_nc_u32_e32 v4, 0x80, v5
	s_cbranch_vccnz .LBB5_36
; %bb.31:
	s_cmp_lg_u32 s22, 0
	s_mov_b32 s4, 0
	s_cbranch_scc0 .LBB5_37
; %bb.32:
	s_min_u32 s6, s23, 15
	s_add_i32 s6, s6, 1
	s_cmp_eq_u32 s23, 2
	s_cbranch_scc1 .LBB5_38
; %bb.33:
	v_mov_b32_e32 v6, 0
	v_mov_b32_e32 v1, 0
	;; [unrolled: 1-line block ×3, first 2 shown]
	s_and_b32 s5, s6, 28
	s_add_u32 s0, s12, 0xc4
	s_addc_u32 s1, s13, 0
	s_mov_b32 s7, 0
	s_mov_b64 s[2:3], s[12:13]
.LBB5_34:                               ; =>This Inner Loop Header: Depth=1
	s_clause 0x1
	s_load_dwordx8 s[24:31], s[2:3], 0x4
	s_load_dwordx4 s[8:11], s[2:3], 0x24
	s_load_dwordx8 s[36:43], s[0:1], 0x0
	s_add_u32 s2, s2, 48
	s_addc_u32 s3, s3, 0
	s_add_i32 s7, s7, 4
	s_add_u32 s0, s0, 32
	s_addc_u32 s1, s1, 0
	s_cmp_lg_u32 s5, s7
	s_waitcnt lgkmcnt(0)
	v_mul_hi_u32 v7, s25, v2
	v_add_nc_u32_e32 v7, v2, v7
	v_lshrrev_b32_e32 v7, s26, v7
	v_mul_hi_u32 v9, s28, v7
	v_mul_lo_u32 v11, v7, s24
	v_add_nc_u32_e32 v9, v7, v9
	v_sub_nc_u32_e32 v2, v2, v11
	v_lshrrev_b32_e32 v9, s29, v9
	v_mul_lo_u32 v11, v2, s36
	v_mul_lo_u32 v14, v2, s37
	v_mul_hi_u32 v10, s31, v9
	v_add_nc_u32_e32 v10, v9, v10
	v_lshrrev_b32_e32 v10, s8, v10
	v_mul_hi_u32 v13, s10, v10
	v_mul_lo_u32 v15, v10, s30
	v_add_nc_u32_e32 v2, v10, v13
	v_mul_lo_u32 v13, v9, s27
	v_sub_nc_u32_e32 v9, v9, v15
	v_lshrrev_b32_e32 v2, s11, v2
	v_mul_lo_u32 v15, v9, s40
	v_mul_lo_u32 v9, v9, s41
	v_sub_nc_u32_e32 v7, v7, v13
	v_mul_lo_u32 v16, v2, s9
	v_mul_lo_u32 v13, v7, s38
	;; [unrolled: 1-line block ×3, first 2 shown]
	v_sub_nc_u32_e32 v10, v10, v16
	v_add3_u32 v1, v11, v1, v13
	v_mul_lo_u32 v16, v10, s42
	v_mul_lo_u32 v10, v10, s43
	v_add3_u32 v6, v14, v6, v7
	v_add3_u32 v1, v15, v1, v16
	;; [unrolled: 1-line block ×3, first 2 shown]
	s_cbranch_scc1 .LBB5_34
; %bb.35:
	s_and_b32 s6, s6, 3
	s_cmp_eq_u32 s6, 0
	s_cbranch_scc0 .LBB5_39
	s_branch .LBB5_41
.LBB5_36:
	s_mov_b32 s4, -1
                                        ; implicit-def: $vgpr1
                                        ; implicit-def: $vgpr6
	s_branch .LBB5_41
.LBB5_37:
	v_mov_b32_e32 v1, 0
	v_mov_b32_e32 v6, 0
	s_branch .LBB5_41
.LBB5_38:
	v_mov_b32_e32 v1, 0
	v_mov_b32_e32 v6, 0
	;; [unrolled: 1-line block ×3, first 2 shown]
	s_mov_b32 s5, 0
	s_and_b32 s6, s6, 3
	s_cmp_eq_u32 s6, 0
	s_cbranch_scc1 .LBB5_41
.LBB5_39:
	s_lshl_b32 s0, s5, 3
	s_mul_i32 s2, s5, 12
	s_add_u32 s0, s12, s0
	s_addc_u32 s1, s13, 0
	s_add_u32 s0, s0, 0xc4
	s_addc_u32 s1, s1, 0
	;; [unrolled: 2-line block ×3, first 2 shown]
	.p2align	6
.LBB5_40:                               ; =>This Inner Loop Header: Depth=1
	s_clause 0x1
	s_load_dwordx2 s[8:9], s[2:3], 0x4
	s_load_dword s5, s[2:3], 0xc
	s_load_dwordx2 s[10:11], s[0:1], 0x0
	s_add_u32 s2, s2, 12
	s_addc_u32 s3, s3, 0
	s_add_u32 s0, s0, 8
	s_addc_u32 s1, s1, 0
	s_add_i32 s6, s6, -1
	s_cmp_lg_u32 s6, 0
	s_waitcnt lgkmcnt(0)
	v_mul_hi_u32 v7, s9, v2
	v_add_nc_u32_e32 v7, v2, v7
	v_lshrrev_b32_e32 v9, s5, v7
	v_mul_lo_u32 v7, v9, s8
	v_sub_nc_u32_e32 v7, v2, v7
	v_mad_u64_u32 v[1:2], null, v7, s10, v[1:2]
	v_mad_u64_u32 v[6:7], null, v7, s11, v[6:7]
	v_mov_b32_e32 v2, v9
	s_cbranch_scc1 .LBB5_40
.LBB5_41:
	s_andn2_b32 vcc_lo, exec_lo, s4
	s_cbranch_vccnz .LBB5_44
; %bb.42:
	s_clause 0x1
	s_load_dwordx4 s[0:3], s[12:13], 0x4
	s_load_dwordx2 s[4:5], s[12:13], 0xc4
	s_cmp_lt_u32 s22, 2
	s_waitcnt lgkmcnt(0)
	v_mul_hi_u32 v1, s1, v4
	v_add_nc_u32_e32 v1, v4, v1
	v_lshrrev_b32_e32 v2, s2, v1
	v_mul_lo_u32 v1, v2, s0
	v_sub_nc_u32_e32 v4, v4, v1
	v_mul_lo_u32 v1, v4, s4
	v_mul_lo_u32 v6, v4, s5
	s_cbranch_scc1 .LBB5_44
; %bb.43:
	s_clause 0x1
	s_load_dwordx4 s[0:3], s[12:13], 0x10
	s_load_dwordx2 s[4:5], s[12:13], 0xcc
	s_waitcnt lgkmcnt(0)
	v_mul_hi_u32 v4, s1, v2
	v_add_nc_u32_e32 v4, v2, v4
	v_lshrrev_b32_e32 v4, s2, v4
	v_mul_lo_u32 v4, v4, s0
	v_sub_nc_u32_e32 v4, v2, v4
	v_mad_u64_u32 v[1:2], null, v4, s4, v[1:2]
	v_mad_u64_u32 v[6:7], null, v4, s5, v[6:7]
.LBB5_44:
	v_cmp_ne_u32_e32 vcc_lo, 1, v8
	v_add_nc_u32_e32 v2, 0x100, v5
	s_cbranch_vccnz .LBB5_50
; %bb.45:
	s_cmp_lg_u32 s22, 0
	s_mov_b32 s4, 0
	s_cbranch_scc0 .LBB5_51
; %bb.46:
	s_min_u32 s6, s23, 15
	s_add_i32 s6, s6, 1
	s_cmp_eq_u32 s23, 2
	s_cbranch_scc1 .LBB5_52
; %bb.47:
	v_mov_b32_e32 v9, 0
	v_mov_b32_e32 v4, 0
	;; [unrolled: 1-line block ×3, first 2 shown]
	s_and_b32 s5, s6, 28
	s_add_u32 s0, s12, 0xc4
	s_addc_u32 s1, s13, 0
	s_mov_b32 s7, 0
	s_mov_b64 s[2:3], s[12:13]
.LBB5_48:                               ; =>This Inner Loop Header: Depth=1
	s_clause 0x1
	s_load_dwordx8 s[24:31], s[2:3], 0x4
	s_load_dwordx4 s[8:11], s[2:3], 0x24
	s_load_dwordx8 s[36:43], s[0:1], 0x0
	s_add_u32 s2, s2, 48
	s_addc_u32 s3, s3, 0
	s_add_i32 s7, s7, 4
	s_add_u32 s0, s0, 32
	s_addc_u32 s1, s1, 0
	s_cmp_lg_u32 s5, s7
	s_waitcnt lgkmcnt(0)
	v_mul_hi_u32 v7, s25, v5
	v_add_nc_u32_e32 v7, v5, v7
	v_lshrrev_b32_e32 v7, s26, v7
	v_mul_hi_u32 v10, s28, v7
	v_mul_lo_u32 v13, v7, s24
	v_add_nc_u32_e32 v10, v7, v10
	v_sub_nc_u32_e32 v5, v5, v13
	v_lshrrev_b32_e32 v10, s29, v10
	v_mul_lo_u32 v13, v5, s36
	v_mul_lo_u32 v15, v5, s37
	v_mul_hi_u32 v11, s31, v10
	v_add_nc_u32_e32 v11, v10, v11
	v_lshrrev_b32_e32 v11, s8, v11
	v_mul_hi_u32 v14, s10, v11
	v_mul_lo_u32 v16, v11, s30
	v_add_nc_u32_e32 v5, v11, v14
	v_mul_lo_u32 v14, v10, s27
	v_sub_nc_u32_e32 v10, v10, v16
	v_lshrrev_b32_e32 v5, s11, v5
	v_mul_lo_u32 v16, v10, s40
	v_mul_lo_u32 v10, v10, s41
	v_sub_nc_u32_e32 v7, v7, v14
	v_mul_lo_u32 v17, v5, s9
	v_mul_lo_u32 v14, v7, s38
	;; [unrolled: 1-line block ×3, first 2 shown]
	v_sub_nc_u32_e32 v11, v11, v17
	v_add3_u32 v4, v13, v4, v14
	v_mul_lo_u32 v17, v11, s42
	v_mul_lo_u32 v11, v11, s43
	v_add3_u32 v7, v15, v9, v7
	v_add3_u32 v4, v16, v4, v17
	v_add3_u32 v9, v10, v7, v11
	s_cbranch_scc1 .LBB5_48
; %bb.49:
	s_and_b32 s6, s6, 3
	s_cmp_eq_u32 s6, 0
	s_cbranch_scc0 .LBB5_53
	s_branch .LBB5_55
.LBB5_50:
	s_mov_b32 s4, -1
                                        ; implicit-def: $vgpr4
                                        ; implicit-def: $vgpr9
	s_branch .LBB5_55
.LBB5_51:
	v_mov_b32_e32 v4, 0
	v_mov_b32_e32 v9, 0
	s_branch .LBB5_55
.LBB5_52:
	v_mov_b32_e32 v4, 0
	v_mov_b32_e32 v9, 0
	;; [unrolled: 1-line block ×3, first 2 shown]
	s_mov_b32 s5, 0
	s_and_b32 s6, s6, 3
	s_cmp_eq_u32 s6, 0
	s_cbranch_scc1 .LBB5_55
.LBB5_53:
	s_lshl_b32 s0, s5, 3
	s_mul_i32 s2, s5, 12
	s_add_u32 s0, s12, s0
	s_addc_u32 s1, s13, 0
	s_add_u32 s0, s0, 0xc4
	s_addc_u32 s1, s1, 0
	;; [unrolled: 2-line block ×3, first 2 shown]
	.p2align	6
.LBB5_54:                               ; =>This Inner Loop Header: Depth=1
	s_clause 0x1
	s_load_dwordx2 s[8:9], s[2:3], 0x4
	s_load_dword s5, s[2:3], 0xc
	s_load_dwordx2 s[10:11], s[0:1], 0x0
	s_add_u32 s2, s2, 12
	s_addc_u32 s3, s3, 0
	s_add_u32 s0, s0, 8
	s_addc_u32 s1, s1, 0
	s_add_i32 s6, s6, -1
	s_cmp_lg_u32 s6, 0
	s_waitcnt lgkmcnt(0)
	v_mul_hi_u32 v7, s9, v5
	v_add_nc_u32_e32 v7, v5, v7
	v_lshrrev_b32_e32 v7, s5, v7
	v_mul_lo_u32 v10, v7, s8
	v_sub_nc_u32_e32 v10, v5, v10
	v_mad_u64_u32 v[4:5], null, v10, s10, v[4:5]
	v_mad_u64_u32 v[9:10], null, v10, s11, v[9:10]
	v_mov_b32_e32 v5, v7
	s_cbranch_scc1 .LBB5_54
.LBB5_55:
	s_andn2_b32 vcc_lo, exec_lo, s4
	s_cbranch_vccnz .LBB5_58
; %bb.56:
	s_clause 0x1
	s_load_dwordx4 s[0:3], s[12:13], 0x4
	s_load_dwordx2 s[4:5], s[12:13], 0xc4
	s_cmp_lt_u32 s22, 2
	s_waitcnt lgkmcnt(0)
	v_mul_hi_u32 v4, s1, v2
	v_add_nc_u32_e32 v4, v2, v4
	v_lshrrev_b32_e32 v5, s2, v4
	v_mul_lo_u32 v4, v5, s0
	v_sub_nc_u32_e32 v2, v2, v4
	v_mul_lo_u32 v4, v2, s4
	v_mul_lo_u32 v9, v2, s5
	s_cbranch_scc1 .LBB5_58
; %bb.57:
	s_clause 0x1
	s_load_dwordx4 s[0:3], s[12:13], 0x10
	s_load_dwordx2 s[4:5], s[12:13], 0xcc
	s_waitcnt lgkmcnt(0)
	v_mul_hi_u32 v2, s1, v5
	v_add_nc_u32_e32 v2, v5, v2
	v_lshrrev_b32_e32 v2, s2, v2
	v_mul_lo_u32 v2, v2, s0
	v_sub_nc_u32_e32 v2, v5, v2
	v_mad_u64_u32 v[4:5], null, v2, s4, v[4:5]
	v_mad_u64_u32 v[9:10], null, v2, s5, v[9:10]
.LBB5_58:
	v_cmp_ne_u32_e32 vcc_lo, 1, v8
	s_cbranch_vccnz .LBB5_64
; %bb.59:
	s_cmp_lg_u32 s22, 0
	s_mov_b32 s4, 0
	s_cbranch_scc0 .LBB5_65
; %bb.60:
	s_min_u32 s6, s23, 15
	s_add_i32 s6, s6, 1
	s_cmp_eq_u32 s23, 2
	s_cbranch_scc1 .LBB5_66
; %bb.61:
	v_mov_b32_e32 v10, 0
	v_mov_b32_e32 v7, 0
	;; [unrolled: 1-line block ×3, first 2 shown]
	s_and_b32 s5, s6, 28
	s_add_u32 s0, s12, 0xc4
	s_addc_u32 s1, s13, 0
	s_mov_b32 s7, 0
	s_mov_b64 s[2:3], s[12:13]
.LBB5_62:                               ; =>This Inner Loop Header: Depth=1
	s_clause 0x1
	s_load_dwordx8 s[24:31], s[2:3], 0x4
	s_load_dwordx4 s[8:11], s[2:3], 0x24
	s_load_dwordx8 s[36:43], s[0:1], 0x0
	s_add_u32 s2, s2, 48
	s_addc_u32 s3, s3, 0
	s_add_i32 s7, s7, 4
	s_add_u32 s0, s0, 32
	s_addc_u32 s1, s1, 0
	s_cmp_lg_u32 s5, s7
	s_waitcnt lgkmcnt(0)
	v_mul_hi_u32 v5, s25, v2
	v_add_nc_u32_e32 v5, v2, v5
	v_lshrrev_b32_e32 v5, s26, v5
	v_mul_hi_u32 v8, s28, v5
	v_mul_lo_u32 v13, v5, s24
	v_add_nc_u32_e32 v8, v5, v8
	v_sub_nc_u32_e32 v2, v2, v13
	v_lshrrev_b32_e32 v8, s29, v8
	v_mul_lo_u32 v13, v2, s36
	v_mul_lo_u32 v15, v2, s37
	v_mul_hi_u32 v11, s31, v8
	v_add_nc_u32_e32 v11, v8, v11
	v_lshrrev_b32_e32 v11, s8, v11
	v_mul_hi_u32 v14, s10, v11
	v_mul_lo_u32 v16, v11, s30
	v_add_nc_u32_e32 v2, v11, v14
	v_mul_lo_u32 v14, v8, s27
	v_sub_nc_u32_e32 v8, v8, v16
	v_lshrrev_b32_e32 v2, s11, v2
	v_mul_lo_u32 v16, v8, s40
	v_mul_lo_u32 v8, v8, s41
	v_sub_nc_u32_e32 v5, v5, v14
	v_mul_lo_u32 v17, v2, s9
	v_mul_lo_u32 v14, v5, s38
	;; [unrolled: 1-line block ×3, first 2 shown]
	v_sub_nc_u32_e32 v11, v11, v17
	v_add3_u32 v7, v13, v7, v14
	v_mul_lo_u32 v17, v11, s42
	v_mul_lo_u32 v11, v11, s43
	v_add3_u32 v5, v15, v10, v5
	v_add3_u32 v7, v16, v7, v17
	;; [unrolled: 1-line block ×3, first 2 shown]
	s_cbranch_scc1 .LBB5_62
; %bb.63:
	s_and_b32 s6, s6, 3
	s_cmp_eq_u32 s6, 0
	s_cbranch_scc0 .LBB5_67
	s_branch .LBB5_69
.LBB5_64:
	s_mov_b32 s4, -1
                                        ; implicit-def: $vgpr7
                                        ; implicit-def: $vgpr10
	s_branch .LBB5_69
.LBB5_65:
	v_mov_b32_e32 v7, 0
	v_mov_b32_e32 v10, 0
	s_branch .LBB5_69
.LBB5_66:
	v_mov_b32_e32 v7, 0
	v_mov_b32_e32 v10, 0
	;; [unrolled: 1-line block ×3, first 2 shown]
	s_mov_b32 s5, 0
	s_and_b32 s6, s6, 3
	s_cmp_eq_u32 s6, 0
	s_cbranch_scc1 .LBB5_69
.LBB5_67:
	s_lshl_b32 s0, s5, 3
	s_mul_i32 s2, s5, 12
	s_add_u32 s0, s12, s0
	s_addc_u32 s1, s13, 0
	s_add_u32 s0, s0, 0xc4
	s_addc_u32 s1, s1, 0
	;; [unrolled: 2-line block ×3, first 2 shown]
	.p2align	6
.LBB5_68:                               ; =>This Inner Loop Header: Depth=1
	s_clause 0x1
	s_load_dwordx2 s[8:9], s[2:3], 0x4
	s_load_dword s5, s[2:3], 0xc
	s_load_dwordx2 s[10:11], s[0:1], 0x0
	s_add_u32 s2, s2, 12
	s_addc_u32 s3, s3, 0
	s_add_u32 s0, s0, 8
	s_addc_u32 s1, s1, 0
	s_add_i32 s6, s6, -1
	s_cmp_lg_u32 s6, 0
	s_waitcnt lgkmcnt(0)
	v_mul_hi_u32 v5, s9, v2
	v_add_nc_u32_e32 v5, v2, v5
	v_lshrrev_b32_e32 v5, s5, v5
	v_mul_lo_u32 v8, v5, s8
	v_sub_nc_u32_e32 v2, v2, v8
	v_mad_u64_u32 v[7:8], null, v2, s10, v[7:8]
	v_mad_u64_u32 v[10:11], null, v2, s11, v[10:11]
	v_mov_b32_e32 v2, v5
	s_cbranch_scc1 .LBB5_68
.LBB5_69:
	s_andn2_b32 vcc_lo, exec_lo, s4
	s_cbranch_vccnz .LBB5_72
; %bb.70:
	s_clause 0x1
	s_load_dwordx4 s[0:3], s[12:13], 0x4
	s_load_dwordx2 s[4:5], s[12:13], 0xc4
	s_cmp_lt_u32 s22, 2
	s_waitcnt lgkmcnt(0)
	v_mul_hi_u32 v2, s1, v12
	v_add_nc_u32_e32 v2, v12, v2
	v_lshrrev_b32_e32 v2, s2, v2
	v_mul_lo_u32 v5, v2, s0
	v_sub_nc_u32_e32 v5, v12, v5
	v_mul_lo_u32 v7, v5, s4
	v_mul_lo_u32 v10, v5, s5
	s_cbranch_scc1 .LBB5_72
; %bb.71:
	s_clause 0x1
	s_load_dwordx4 s[0:3], s[12:13], 0x10
	s_load_dwordx2 s[4:5], s[12:13], 0xcc
	s_waitcnt lgkmcnt(0)
	v_mul_hi_u32 v5, s1, v2
	v_add_nc_u32_e32 v5, v2, v5
	v_lshrrev_b32_e32 v5, s2, v5
	v_mul_lo_u32 v5, v5, s0
	v_sub_nc_u32_e32 v2, v2, v5
	v_mad_u64_u32 v[7:8], null, v2, s4, v[7:8]
	v_mad_u64_u32 v[10:11], null, v2, s5, v[10:11]
.LBB5_72:
	s_load_dwordx4 s[4:7], s[12:13], 0x148
	s_mov_b32 s8, 0xb5e68a13
	s_mov_b32 s9, 0x3eeba404
	s_waitcnt lgkmcnt(0)
	s_clause 0x3
	global_load_dwordx2 v[2:3], v3, s[6:7]
	global_load_dwordx2 v[5:6], v6, s[6:7]
	;; [unrolled: 1-line block ×4, first 2 shown]
	s_mov_b32 s6, 0xbd3237f4
	s_mov_b32 s7, 0xbf23e260
	s_waitcnt vmcnt(3)
	v_and_b32_e32 v13, 0x7fffffff, v3
	v_mov_b32_e32 v12, v2
	s_waitcnt vmcnt(2)
	v_and_b32_e32 v15, 0x7fffffff, v6
	v_mov_b32_e32 v14, v5
	;; [unrolled: 3-line block ×3, first 2 shown]
	v_div_scale_f64 v[18:19], null, v[12:13], v[12:13], 1.0
	s_waitcnt vmcnt(0)
	v_and_b32_e32 v21, 0x7fffffff, v11
	v_mov_b32_e32 v20, v10
	v_div_scale_f64 v[22:23], null, v[14:15], v[14:15], 1.0
	v_div_scale_f64 v[24:25], null, v[16:17], v[16:17], 1.0
	;; [unrolled: 1-line block ×3, first 2 shown]
	v_div_scale_f64 v[44:45], vcc_lo, 1.0, v[12:13], 1.0
	v_rcp_f64_e32 v[28:29], v[18:19]
	v_rcp_f64_e32 v[30:31], v[22:23]
	;; [unrolled: 1-line block ×4, first 2 shown]
	v_fma_f64 v[36:37], -v[18:19], v[28:29], 1.0
	v_fma_f64 v[38:39], -v[22:23], v[30:31], 1.0
	;; [unrolled: 1-line block ×4, first 2 shown]
	v_fma_f64 v[28:29], v[28:29], v[36:37], v[28:29]
	v_fma_f64 v[30:31], v[30:31], v[38:39], v[30:31]
	;; [unrolled: 1-line block ×4, first 2 shown]
	v_fma_f64 v[36:37], -v[18:19], v[28:29], 1.0
	v_fma_f64 v[38:39], -v[22:23], v[30:31], 1.0
	;; [unrolled: 1-line block ×4, first 2 shown]
	v_fma_f64 v[28:29], v[28:29], v[36:37], v[28:29]
	v_div_scale_f64 v[36:37], s0, 1.0, v[14:15], 1.0
	v_fma_f64 v[30:31], v[30:31], v[38:39], v[30:31]
	v_div_scale_f64 v[38:39], s1, 1.0, v[16:17], 1.0
	;; [unrolled: 2-line block ×3, first 2 shown]
	v_fma_f64 v[34:35], v[34:35], v[42:43], v[34:35]
	v_mul_f64 v[42:43], v[44:45], v[28:29]
	v_mul_f64 v[46:47], v[36:37], v[30:31]
	;; [unrolled: 1-line block ×4, first 2 shown]
	v_fma_f64 v[18:19], -v[18:19], v[42:43], v[44:45]
	v_fma_f64 v[22:23], -v[22:23], v[46:47], v[36:37]
	;; [unrolled: 1-line block ×4, first 2 shown]
	v_div_fmas_f64 v[18:19], v[18:19], v[28:29], v[42:43]
	s_mov_b32 vcc_lo, s0
	v_cmp_gt_f64_e64 s0, |v[5:6]|, 1.0
	v_div_fmas_f64 v[22:23], v[22:23], v[30:31], v[46:47]
	s_mov_b32 vcc_lo, s1
	v_cmp_gt_f64_e64 s1, |v[8:9]|, 1.0
	;; [unrolled: 3-line block ×3, first 2 shown]
	v_div_fmas_f64 v[26:27], v[26:27], v[34:35], v[50:51]
	v_cmp_gt_f64_e64 vcc_lo, |v[2:3]|, 1.0
	v_div_fixup_f64 v[18:19], v[18:19], |v[2:3]|, 1.0
	v_div_fixup_f64 v[22:23], v[22:23], |v[5:6]|, 1.0
	;; [unrolled: 1-line block ×4, first 2 shown]
	v_cndmask_b32_e32 v13, v13, v19, vcc_lo
	v_cndmask_b32_e32 v12, v2, v18, vcc_lo
	v_cndmask_b32_e64 v15, v15, v23, s0
	v_cndmask_b32_e64 v14, v5, v22, s0
	v_mul_f64 v[18:19], v[12:13], v[12:13]
	v_cndmask_b32_e64 v17, v17, v25, s1
	v_cndmask_b32_e64 v16, v8, v24, s1
	;; [unrolled: 1-line block ×4, first 2 shown]
	v_mul_f64 v[22:23], v[14:15], v[14:15]
	v_mul_f64 v[24:25], v[16:17], v[16:17]
	;; [unrolled: 1-line block ×3, first 2 shown]
	v_fma_f64 v[28:29], v[18:19], s[8:9], s[6:7]
	v_fma_f64 v[30:31], v[22:23], s[8:9], s[6:7]
	;; [unrolled: 1-line block ×4, first 2 shown]
	s_mov_b32 s6, 0x69efb384
	s_mov_b32 s7, 0x3f4b2bb0
	;; [unrolled: 1-line block ×4, first 2 shown]
	v_fma_f64 v[28:29], v[18:19], v[28:29], s[6:7]
	v_fma_f64 v[30:31], v[22:23], v[30:31], s[6:7]
	v_fma_f64 v[32:33], v[24:25], v[32:33], s[6:7]
	v_fma_f64 v[34:35], v[26:27], v[34:35], s[6:7]
	s_mov_b32 s6, 0xaf56de9b
	s_mov_b32 s7, 0xbf67952d
	v_fma_f64 v[28:29], v[18:19], v[28:29], s[6:7]
	v_fma_f64 v[30:31], v[22:23], v[30:31], s[6:7]
	v_fma_f64 v[32:33], v[24:25], v[32:33], s[6:7]
	v_fma_f64 v[34:35], v[26:27], v[34:35], s[6:7]
	s_mov_b32 s6, 0xa595c56f
	s_mov_b32 s7, 0x3f7d6d43
	;; [unrolled: 6-line block ×18, first 2 shown]
	v_mul_f64 v[18:19], v[18:19], v[28:29]
	v_mul_f64 v[22:23], v[22:23], v[30:31]
	;; [unrolled: 1-line block ×4, first 2 shown]
	v_fma_f64 v[12:13], v[12:13], v[18:19], v[12:13]
	v_fma_f64 v[14:15], v[14:15], v[22:23], v[14:15]
	;; [unrolled: 1-line block ×4, first 2 shown]
	v_fma_f64 v[20:21], s[8:9], s[6:7], -v[12:13]
	v_fma_f64 v[22:23], s[8:9], s[6:7], -v[14:15]
	;; [unrolled: 1-line block ×4, first 2 shown]
	v_cndmask_b32_e32 v5, v13, v21, vcc_lo
	v_cndmask_b32_e32 v2, v12, v20, vcc_lo
	v_bfi_b32 v3, 0x7fffffff, v5, v3
	v_cndmask_b32_e64 v8, v15, v23, s0
	v_cndmask_b32_e64 v10, v17, v25, s1
	;; [unrolled: 1-line block ×4, first 2 shown]
	v_bfi_b32 v6, 0x7fffffff, v8, v6
	v_cndmask_b32_e64 v8, v16, v24, s1
	v_bfi_b32 v9, 0x7fffffff, v10, v9
	v_cndmask_b32_e64 v10, v18, v26, s2
	v_bfi_b32 v11, 0x7fffffff, v12, v11
	global_store_dwordx2 v0, v[2:3], s[4:5]
	global_store_dwordx2 v1, v[5:6], s[4:5]
	;; [unrolled: 1-line block ×4, first 2 shown]
	s_endpgm
.LBB5_73:
	v_mov_b32_e32 v0, 0
	v_mov_b32_e32 v2, 0
	s_branch .LBB5_79
.LBB5_74:
	v_mov_b32_e32 v0, 0
	v_mov_b32_e32 v2, 0
	s_branch .LBB5_95
.LBB5_75:
	v_mov_b32_e32 v0, 0
	v_mov_b32_e32 v2, 0
	;; [unrolled: 1-line block ×3, first 2 shown]
	s_mov_b32 s31, 0
.LBB5_76:
	s_and_b32 s33, s33, 3
	s_cmp_eq_u32 s33, 0
	s_cbranch_scc1 .LBB5_79
; %bb.77:
	s_lshl_b32 s18, s31, 3
	s_mul_i32 s20, s31, 12
	s_add_u32 s18, s12, s18
	s_addc_u32 s19, s13, 0
	s_add_u32 s18, s18, 0xc4
	s_addc_u32 s19, s19, 0
	;; [unrolled: 2-line block ×3, first 2 shown]
	.p2align	6
.LBB5_78:                               ; =>This Inner Loop Header: Depth=1
	s_clause 0x1
	s_load_dwordx2 s[34:35], s[20:21], 0x4
	s_load_dword s31, s[20:21], 0xc
	s_load_dwordx2 s[36:37], s[18:19], 0x0
	s_add_u32 s20, s20, 12
	s_addc_u32 s21, s21, 0
	s_add_u32 s18, s18, 8
	s_addc_u32 s19, s19, 0
	s_add_i32 s33, s33, -1
	s_cmp_lg_u32 s33, 0
	s_waitcnt lgkmcnt(0)
	v_mul_hi_u32 v3, s35, v1
	v_add_nc_u32_e32 v3, v1, v3
	v_lshrrev_b32_e32 v4, s31, v3
	v_mul_lo_u32 v3, v4, s34
	v_sub_nc_u32_e32 v3, v1, v3
	v_mad_u64_u32 v[0:1], null, v3, s36, v[0:1]
	v_mad_u64_u32 v[2:3], null, v3, s37, v[2:3]
	v_mov_b32_e32 v1, v4
	s_cbranch_scc1 .LBB5_78
.LBB5_79:
	s_cbranch_execnz .LBB5_82
.LBB5_80:
	s_waitcnt lgkmcnt(0)
	v_mul_hi_u32 v0, s9, v5
	s_andn2_b32 vcc_lo, exec_lo, s26
	v_add_nc_u32_e32 v0, v5, v0
	v_lshrrev_b32_e32 v1, s10, v0
	v_mul_lo_u32 v0, v1, s8
	v_sub_nc_u32_e32 v2, v5, v0
	v_mul_lo_u32 v0, v2, s4
	v_mul_lo_u32 v2, v2, s5
	s_cbranch_vccnz .LBB5_82
; %bb.81:
	v_mul_hi_u32 v3, s14, v1
	v_add_nc_u32_e32 v3, v1, v3
	v_lshrrev_b32_e32 v3, s15, v3
	v_mul_lo_u32 v3, v3, s11
	v_sub_nc_u32_e32 v3, v1, v3
	v_mad_u64_u32 v[0:1], null, v3, s6, v[0:1]
	v_mad_u64_u32 v[2:3], null, v3, s7, v[2:3]
.LBB5_82:
	s_waitcnt lgkmcnt(0)
	global_load_dwordx2 v[1:2], v2, s[2:3]
	s_mov_b32 s18, 0xbd3237f4
	s_mov_b32 s20, 0xb5e68a13
	;; [unrolled: 1-line block ×4, first 2 shown]
	v_add_nc_u32_e32 v5, 0x80, v5
	s_waitcnt vmcnt(0)
	v_and_b32_e32 v4, 0x7fffffff, v2
	v_mov_b32_e32 v3, v1
	v_div_scale_f64 v[6:7], null, v[3:4], v[3:4], 1.0
	v_div_scale_f64 v[12:13], vcc_lo, 1.0, v[3:4], 1.0
	v_rcp_f64_e32 v[8:9], v[6:7]
	v_fma_f64 v[10:11], -v[6:7], v[8:9], 1.0
	v_fma_f64 v[8:9], v[8:9], v[10:11], v[8:9]
	v_fma_f64 v[10:11], -v[6:7], v[8:9], 1.0
	v_fma_f64 v[8:9], v[8:9], v[10:11], v[8:9]
	v_mul_f64 v[10:11], v[12:13], v[8:9]
	v_fma_f64 v[6:7], -v[6:7], v[10:11], v[12:13]
	v_div_fmas_f64 v[6:7], v[6:7], v[8:9], v[10:11]
	v_cmp_gt_f64_e64 vcc_lo, |v[1:2]|, 1.0
	v_div_fixup_f64 v[6:7], v[6:7], |v[1:2]|, 1.0
	v_cndmask_b32_e32 v4, v4, v7, vcc_lo
	v_cndmask_b32_e32 v3, v1, v6, vcc_lo
	v_mul_f64 v[6:7], v[3:4], v[3:4]
	v_fma_f64 v[8:9], v[6:7], s[20:21], s[18:19]
	s_mov_b32 s18, 0x69efb384
	s_mov_b32 s19, 0x3f4b2bb0
	;; [unrolled: 1-line block ×4, first 2 shown]
	v_fma_f64 v[8:9], v[6:7], v[8:9], s[18:19]
	s_mov_b32 s18, 0xaf56de9b
	s_mov_b32 s19, 0xbf67952d
	v_fma_f64 v[8:9], v[6:7], v[8:9], s[18:19]
	s_mov_b32 s18, 0xa595c56f
	s_mov_b32 s19, 0x3f7d6d43
	v_fma_f64 v[8:9], v[6:7], v[8:9], s[18:19]
	s_mov_b32 s18, 0xa57d9582
	s_mov_b32 s19, 0xbf8c6ea4
	v_fma_f64 v[8:9], v[6:7], v[8:9], s[18:19]
	s_mov_b32 s18, 0x5f08b19f
	s_mov_b32 s19, 0x3f967e29
	v_fma_f64 v[8:9], v[6:7], v[8:9], s[18:19]
	s_mov_b32 s18, 0xfc27006a
	s_mov_b32 s19, 0xbf9e9ae6
	v_fma_f64 v[8:9], v[6:7], v[8:9], s[18:19]
	s_mov_b32 s18, 0x5711927a
	s_mov_b32 s19, 0x3fa2c15b
	v_fma_f64 v[8:9], v[6:7], v[8:9], s[18:19]
	s_mov_b32 s18, 0xe82d3ff0
	s_mov_b32 s19, 0xbfa59976
	v_fma_f64 v[8:9], v[6:7], v[8:9], s[18:19]
	s_mov_b32 s18, 0x6ef28734
	s_mov_b32 s19, 0x3fa82d5d
	v_fma_f64 v[8:9], v[6:7], v[8:9], s[18:19]
	s_mov_b32 s18, 0x6a214619
	s_mov_b32 s19, 0xbfaae5ce
	v_fma_f64 v[8:9], v[6:7], v[8:9], s[18:19]
	s_mov_b32 s18, 0x8427b883
	s_mov_b32 s19, 0x3fae1bb4
	v_fma_f64 v[8:9], v[6:7], v[8:9], s[18:19]
	s_mov_b32 s18, 0x8b207f05
	s_mov_b32 s19, 0xbfb110e4
	v_fma_f64 v[8:9], v[6:7], v[8:9], s[18:19]
	s_mov_b32 s18, 0x57b87036
	s_mov_b32 s19, 0x3fb3b136
	v_fma_f64 v[8:9], v[6:7], v[8:9], s[18:19]
	s_mov_b32 s18, 0x19378e4f
	s_mov_b32 s19, 0xbfb745d1
	v_fma_f64 v[8:9], v[6:7], v[8:9], s[18:19]
	s_mov_b32 s18, 0x17e1913c
	s_mov_b32 s19, 0x3fbc71c7
	v_fma_f64 v[8:9], v[6:7], v[8:9], s[18:19]
	s_mov_b32 s18, 0x92376b7d
	s_mov_b32 s19, 0xbfc24924
	v_fma_f64 v[8:9], v[6:7], v[8:9], s[18:19]
	s_mov_b32 s18, 0x999952cc
	s_mov_b32 s19, 0x3fc99999
	v_fma_f64 v[8:9], v[6:7], v[8:9], s[18:19]
	s_mov_b32 s18, 0x55555523
	s_mov_b32 s19, 0xbfd55555
	v_fma_f64 v[8:9], v[6:7], v[8:9], s[18:19]
	s_mov_b32 s18, 0xeeb562d6
	s_mov_b32 s19, 0x3ffaf154
	v_mul_f64 v[6:7], v[6:7], v[8:9]
	v_fma_f64 v[3:4], v[3:4], v[6:7], v[3:4]
	v_fma_f64 v[6:7], s[20:21], s[18:19], -v[3:4]
	v_cndmask_b32_e32 v4, v4, v7, vcc_lo
	v_cndmask_b32_e32 v1, v3, v6, vcc_lo
	v_bfi_b32 v2, 0x7fffffff, v4, v2
	global_store_dwordx2 v0, v[1:2], s[0:1]
	s_or_b32 exec_lo, exec_lo, s30
	s_mov_b32 s30, exec_lo
	v_cmpx_gt_i32_e64 s27, v5
	s_cbranch_execnz .LBB5_15
.LBB5_83:
	s_or_b32 exec_lo, exec_lo, s30
	s_mov_b32 s30, exec_lo
	v_cmpx_gt_i32_e64 s27, v5
	s_cbranch_execz .LBB5_99
.LBB5_84:
	s_andn2_b32 vcc_lo, exec_lo, s24
	s_cbranch_vccnz .LBB5_89
; %bb.85:
	s_andn2_b32 vcc_lo, exec_lo, s29
	s_cbranch_vccnz .LBB5_90
; %bb.86:
	s_add_i32 s33, s28, 1
	s_cmp_eq_u32 s23, 2
	s_cbranch_scc1 .LBB5_102
; %bb.87:
	v_mov_b32_e32 v2, 0
	v_mov_b32_e32 v0, 0
	;; [unrolled: 1-line block ×3, first 2 shown]
	s_and_b32 s31, s33, 28
	s_mov_b32 s34, 0
	s_mov_b64 s[18:19], s[12:13]
	s_mov_b64 s[20:21], s[16:17]
.LBB5_88:                               ; =>This Inner Loop Header: Depth=1
	s_clause 0x1
	s_load_dwordx8 s[36:43], s[18:19], 0x4
	s_load_dwordx4 s[52:55], s[18:19], 0x24
	s_load_dwordx8 s[44:51], s[20:21], 0x0
	s_add_u32 s18, s18, 48
	s_addc_u32 s19, s19, 0
	s_add_i32 s34, s34, 4
	s_add_u32 s20, s20, 32
	s_addc_u32 s21, s21, 0
	s_cmp_eq_u32 s31, s34
	s_waitcnt lgkmcnt(0)
	v_mul_hi_u32 v3, s37, v1
	v_add_nc_u32_e32 v3, v1, v3
	v_lshrrev_b32_e32 v3, s38, v3
	v_mul_hi_u32 v4, s40, v3
	v_mul_lo_u32 v7, v3, s36
	v_add_nc_u32_e32 v4, v3, v4
	v_sub_nc_u32_e32 v1, v1, v7
	v_lshrrev_b32_e32 v4, s41, v4
	v_mul_lo_u32 v7, v1, s44
	v_mul_lo_u32 v9, v1, s45
	v_mul_hi_u32 v6, s43, v4
	v_add_nc_u32_e32 v6, v4, v6
	v_lshrrev_b32_e32 v6, s52, v6
	v_mul_hi_u32 v8, s54, v6
	v_mul_lo_u32 v10, v6, s42
	v_add_nc_u32_e32 v1, v6, v8
	v_mul_lo_u32 v8, v4, s39
	v_sub_nc_u32_e32 v4, v4, v10
	v_lshrrev_b32_e32 v1, s55, v1
	v_mul_lo_u32 v10, v4, s48
	v_mul_lo_u32 v4, v4, s49
	v_sub_nc_u32_e32 v3, v3, v8
	v_mul_lo_u32 v11, v1, s53
	v_mul_lo_u32 v8, v3, s46
	;; [unrolled: 1-line block ×3, first 2 shown]
	v_sub_nc_u32_e32 v6, v6, v11
	v_add3_u32 v0, v7, v0, v8
	v_mul_lo_u32 v11, v6, s50
	v_mul_lo_u32 v6, v6, s51
	v_add3_u32 v2, v9, v2, v3
	v_add3_u32 v0, v10, v0, v11
	;; [unrolled: 1-line block ×3, first 2 shown]
	s_cbranch_scc0 .LBB5_88
	s_branch .LBB5_103
.LBB5_89:
                                        ; implicit-def: $vgpr0
                                        ; implicit-def: $vgpr2
	s_branch .LBB5_107
.LBB5_90:
	v_mov_b32_e32 v0, 0
	v_mov_b32_e32 v2, 0
	s_branch .LBB5_106
.LBB5_91:
	v_mov_b32_e32 v0, 0
	v_mov_b32_e32 v2, 0
	;; [unrolled: 1-line block ×3, first 2 shown]
	s_mov_b32 s31, 0
.LBB5_92:
	s_and_b32 s33, s33, 3
	s_cmp_eq_u32 s33, 0
	s_cbranch_scc1 .LBB5_95
; %bb.93:
	s_lshl_b32 s18, s31, 3
	s_mul_i32 s20, s31, 12
	s_add_u32 s18, s12, s18
	s_addc_u32 s19, s13, 0
	s_add_u32 s18, s18, 0xc4
	s_addc_u32 s19, s19, 0
	;; [unrolled: 2-line block ×3, first 2 shown]
	.p2align	6
.LBB5_94:                               ; =>This Inner Loop Header: Depth=1
	s_clause 0x1
	s_load_dwordx2 s[34:35], s[20:21], 0x4
	s_load_dword s31, s[20:21], 0xc
	s_load_dwordx2 s[36:37], s[18:19], 0x0
	s_add_u32 s20, s20, 12
	s_addc_u32 s21, s21, 0
	s_add_u32 s18, s18, 8
	s_addc_u32 s19, s19, 0
	s_add_i32 s33, s33, -1
	s_cmp_lg_u32 s33, 0
	s_waitcnt lgkmcnt(0)
	v_mul_hi_u32 v3, s35, v1
	v_add_nc_u32_e32 v3, v1, v3
	v_lshrrev_b32_e32 v4, s31, v3
	v_mul_lo_u32 v3, v4, s34
	v_sub_nc_u32_e32 v3, v1, v3
	v_mad_u64_u32 v[0:1], null, v3, s36, v[0:1]
	v_mad_u64_u32 v[2:3], null, v3, s37, v[2:3]
	v_mov_b32_e32 v1, v4
	s_cbranch_scc1 .LBB5_94
.LBB5_95:
	s_cbranch_execnz .LBB5_98
.LBB5_96:
	s_waitcnt lgkmcnt(0)
	v_mul_hi_u32 v0, s9, v5
	s_andn2_b32 vcc_lo, exec_lo, s26
	v_add_nc_u32_e32 v0, v5, v0
	v_lshrrev_b32_e32 v1, s10, v0
	v_mul_lo_u32 v0, v1, s8
	v_sub_nc_u32_e32 v2, v5, v0
	v_mul_lo_u32 v0, v2, s4
	v_mul_lo_u32 v2, v2, s5
	s_cbranch_vccnz .LBB5_98
; %bb.97:
	v_mul_hi_u32 v3, s14, v1
	v_add_nc_u32_e32 v3, v1, v3
	v_lshrrev_b32_e32 v3, s15, v3
	v_mul_lo_u32 v3, v3, s11
	v_sub_nc_u32_e32 v3, v1, v3
	v_mad_u64_u32 v[0:1], null, v3, s6, v[0:1]
	v_mad_u64_u32 v[2:3], null, v3, s7, v[2:3]
.LBB5_98:
	s_waitcnt lgkmcnt(0)
	global_load_dwordx2 v[1:2], v2, s[2:3]
	s_mov_b32 s18, 0xbd3237f4
	s_mov_b32 s20, 0xb5e68a13
	;; [unrolled: 1-line block ×4, first 2 shown]
	v_add_nc_u32_e32 v5, 0x80, v5
	s_waitcnt vmcnt(0)
	v_and_b32_e32 v4, 0x7fffffff, v2
	v_mov_b32_e32 v3, v1
	v_div_scale_f64 v[6:7], null, v[3:4], v[3:4], 1.0
	v_div_scale_f64 v[12:13], vcc_lo, 1.0, v[3:4], 1.0
	v_rcp_f64_e32 v[8:9], v[6:7]
	v_fma_f64 v[10:11], -v[6:7], v[8:9], 1.0
	v_fma_f64 v[8:9], v[8:9], v[10:11], v[8:9]
	v_fma_f64 v[10:11], -v[6:7], v[8:9], 1.0
	v_fma_f64 v[8:9], v[8:9], v[10:11], v[8:9]
	v_mul_f64 v[10:11], v[12:13], v[8:9]
	v_fma_f64 v[6:7], -v[6:7], v[10:11], v[12:13]
	v_div_fmas_f64 v[6:7], v[6:7], v[8:9], v[10:11]
	v_cmp_gt_f64_e64 vcc_lo, |v[1:2]|, 1.0
	v_div_fixup_f64 v[6:7], v[6:7], |v[1:2]|, 1.0
	v_cndmask_b32_e32 v4, v4, v7, vcc_lo
	v_cndmask_b32_e32 v3, v1, v6, vcc_lo
	v_mul_f64 v[6:7], v[3:4], v[3:4]
	v_fma_f64 v[8:9], v[6:7], s[20:21], s[18:19]
	s_mov_b32 s18, 0x69efb384
	s_mov_b32 s19, 0x3f4b2bb0
	;; [unrolled: 1-line block ×4, first 2 shown]
	v_fma_f64 v[8:9], v[6:7], v[8:9], s[18:19]
	s_mov_b32 s18, 0xaf56de9b
	s_mov_b32 s19, 0xbf67952d
	v_fma_f64 v[8:9], v[6:7], v[8:9], s[18:19]
	s_mov_b32 s18, 0xa595c56f
	s_mov_b32 s19, 0x3f7d6d43
	;; [unrolled: 3-line block ×18, first 2 shown]
	v_mul_f64 v[6:7], v[6:7], v[8:9]
	v_fma_f64 v[3:4], v[3:4], v[6:7], v[3:4]
	v_fma_f64 v[6:7], s[20:21], s[18:19], -v[3:4]
	v_cndmask_b32_e32 v4, v4, v7, vcc_lo
	v_cndmask_b32_e32 v1, v3, v6, vcc_lo
	v_bfi_b32 v2, 0x7fffffff, v4, v2
	global_store_dwordx2 v0, v[1:2], s[0:1]
	s_or_b32 exec_lo, exec_lo, s30
	s_mov_b32 s30, exec_lo
	v_cmpx_gt_i32_e64 s27, v5
	s_cbranch_execnz .LBB5_84
.LBB5_99:
	s_or_b32 exec_lo, exec_lo, s30
	s_mov_b32 s20, exec_lo
	v_cmpx_gt_i32_e64 s27, v5
	s_cbranch_execnz .LBB5_110
.LBB5_100:
	s_or_b32 exec_lo, exec_lo, s20
                                        ; implicit-def: $vgpr12
                                        ; implicit-def: $vgpr5
	s_waitcnt lgkmcnt(0)
	s_andn2_saveexec_b32 s0, s25
	s_cbranch_execnz .LBB5_8
.LBB5_101:
	s_endpgm
.LBB5_102:
	v_mov_b32_e32 v0, 0
	v_mov_b32_e32 v2, 0
	;; [unrolled: 1-line block ×3, first 2 shown]
	s_mov_b32 s31, 0
.LBB5_103:
	s_and_b32 s33, s33, 3
	s_cmp_eq_u32 s33, 0
	s_cbranch_scc1 .LBB5_106
; %bb.104:
	s_lshl_b32 s18, s31, 3
	s_mul_i32 s20, s31, 12
	s_add_u32 s18, s12, s18
	s_addc_u32 s19, s13, 0
	s_add_u32 s18, s18, 0xc4
	s_addc_u32 s19, s19, 0
	;; [unrolled: 2-line block ×3, first 2 shown]
	.p2align	6
.LBB5_105:                              ; =>This Inner Loop Header: Depth=1
	s_clause 0x1
	s_load_dwordx2 s[34:35], s[20:21], 0x4
	s_load_dword s31, s[20:21], 0xc
	s_load_dwordx2 s[36:37], s[18:19], 0x0
	s_add_u32 s20, s20, 12
	s_addc_u32 s21, s21, 0
	s_add_u32 s18, s18, 8
	s_addc_u32 s19, s19, 0
	s_add_i32 s33, s33, -1
	s_cmp_lg_u32 s33, 0
	s_waitcnt lgkmcnt(0)
	v_mul_hi_u32 v3, s35, v1
	v_add_nc_u32_e32 v3, v1, v3
	v_lshrrev_b32_e32 v4, s31, v3
	v_mul_lo_u32 v3, v4, s34
	v_sub_nc_u32_e32 v3, v1, v3
	v_mad_u64_u32 v[0:1], null, v3, s36, v[0:1]
	v_mad_u64_u32 v[2:3], null, v3, s37, v[2:3]
	v_mov_b32_e32 v1, v4
	s_cbranch_scc1 .LBB5_105
.LBB5_106:
	s_cbranch_execnz .LBB5_109
.LBB5_107:
	s_waitcnt lgkmcnt(0)
	v_mul_hi_u32 v0, s9, v5
	s_andn2_b32 vcc_lo, exec_lo, s26
	v_add_nc_u32_e32 v0, v5, v0
	v_lshrrev_b32_e32 v1, s10, v0
	v_mul_lo_u32 v0, v1, s8
	v_sub_nc_u32_e32 v2, v5, v0
	v_mul_lo_u32 v0, v2, s4
	v_mul_lo_u32 v2, v2, s5
	s_cbranch_vccnz .LBB5_109
; %bb.108:
	v_mul_hi_u32 v3, s14, v1
	v_add_nc_u32_e32 v3, v1, v3
	v_lshrrev_b32_e32 v3, s15, v3
	v_mul_lo_u32 v3, v3, s11
	v_sub_nc_u32_e32 v3, v1, v3
	v_mad_u64_u32 v[0:1], null, v3, s6, v[0:1]
	v_mad_u64_u32 v[2:3], null, v3, s7, v[2:3]
.LBB5_109:
	s_waitcnt lgkmcnt(0)
	global_load_dwordx2 v[1:2], v2, s[2:3]
	s_mov_b32 s18, 0xbd3237f4
	s_mov_b32 s20, 0xb5e68a13
	;; [unrolled: 1-line block ×4, first 2 shown]
	v_add_nc_u32_e32 v5, 0x80, v5
	s_waitcnt vmcnt(0)
	v_and_b32_e32 v4, 0x7fffffff, v2
	v_mov_b32_e32 v3, v1
	v_div_scale_f64 v[6:7], null, v[3:4], v[3:4], 1.0
	v_div_scale_f64 v[12:13], vcc_lo, 1.0, v[3:4], 1.0
	v_rcp_f64_e32 v[8:9], v[6:7]
	v_fma_f64 v[10:11], -v[6:7], v[8:9], 1.0
	v_fma_f64 v[8:9], v[8:9], v[10:11], v[8:9]
	v_fma_f64 v[10:11], -v[6:7], v[8:9], 1.0
	v_fma_f64 v[8:9], v[8:9], v[10:11], v[8:9]
	v_mul_f64 v[10:11], v[12:13], v[8:9]
	v_fma_f64 v[6:7], -v[6:7], v[10:11], v[12:13]
	v_div_fmas_f64 v[6:7], v[6:7], v[8:9], v[10:11]
	v_cmp_gt_f64_e64 vcc_lo, |v[1:2]|, 1.0
	v_div_fixup_f64 v[6:7], v[6:7], |v[1:2]|, 1.0
	v_cndmask_b32_e32 v4, v4, v7, vcc_lo
	v_cndmask_b32_e32 v3, v1, v6, vcc_lo
	v_mul_f64 v[6:7], v[3:4], v[3:4]
	v_fma_f64 v[8:9], v[6:7], s[20:21], s[18:19]
	s_mov_b32 s18, 0x69efb384
	s_mov_b32 s19, 0x3f4b2bb0
	;; [unrolled: 1-line block ×4, first 2 shown]
	v_fma_f64 v[8:9], v[6:7], v[8:9], s[18:19]
	s_mov_b32 s18, 0xaf56de9b
	s_mov_b32 s19, 0xbf67952d
	v_fma_f64 v[8:9], v[6:7], v[8:9], s[18:19]
	s_mov_b32 s18, 0xa595c56f
	s_mov_b32 s19, 0x3f7d6d43
	;; [unrolled: 3-line block ×18, first 2 shown]
	v_mul_f64 v[6:7], v[6:7], v[8:9]
	v_fma_f64 v[3:4], v[3:4], v[6:7], v[3:4]
	v_fma_f64 v[6:7], s[20:21], s[18:19], -v[3:4]
	v_cndmask_b32_e32 v4, v4, v7, vcc_lo
	v_cndmask_b32_e32 v1, v3, v6, vcc_lo
	v_bfi_b32 v2, 0x7fffffff, v4, v2
	global_store_dwordx2 v0, v[1:2], s[0:1]
	s_or_b32 exec_lo, exec_lo, s30
	s_mov_b32 s20, exec_lo
	v_cmpx_gt_i32_e64 s27, v5
	s_cbranch_execz .LBB5_100
.LBB5_110:
	s_andn2_b32 vcc_lo, exec_lo, s24
	s_cbranch_vccnz .LBB5_115
; %bb.111:
	s_andn2_b32 vcc_lo, exec_lo, s29
	s_cbranch_vccnz .LBB5_116
; %bb.112:
	s_add_i32 s28, s28, 1
	s_cmp_eq_u32 s23, 2
	s_cbranch_scc1 .LBB5_117
; %bb.113:
	v_mov_b32_e32 v2, 0
	v_mov_b32_e32 v0, 0
	;; [unrolled: 1-line block ×3, first 2 shown]
	s_and_b32 s21, s28, 28
	s_mov_b32 s27, 0
	s_mov_b64 s[18:19], s[12:13]
.LBB5_114:                              ; =>This Inner Loop Header: Depth=1
	s_clause 0x1
	s_load_dwordx8 s[36:43], s[18:19], 0x4
	s_load_dwordx4 s[52:55], s[18:19], 0x24
	s_load_dwordx8 s[44:51], s[16:17], 0x0
	s_add_u32 s18, s18, 48
	s_addc_u32 s19, s19, 0
	s_add_i32 s27, s27, 4
	s_add_u32 s16, s16, 32
	s_addc_u32 s17, s17, 0
	s_cmp_eq_u32 s21, s27
	s_waitcnt lgkmcnt(0)
	v_mul_hi_u32 v3, s37, v1
	v_add_nc_u32_e32 v3, v1, v3
	v_lshrrev_b32_e32 v3, s38, v3
	v_mul_hi_u32 v4, s40, v3
	v_mul_lo_u32 v7, v3, s36
	v_add_nc_u32_e32 v4, v3, v4
	v_sub_nc_u32_e32 v1, v1, v7
	v_lshrrev_b32_e32 v4, s41, v4
	v_mul_lo_u32 v7, v1, s44
	v_mul_lo_u32 v9, v1, s45
	v_mul_hi_u32 v6, s43, v4
	v_add_nc_u32_e32 v6, v4, v6
	v_lshrrev_b32_e32 v6, s52, v6
	v_mul_hi_u32 v8, s54, v6
	v_mul_lo_u32 v10, v6, s42
	v_add_nc_u32_e32 v1, v6, v8
	v_mul_lo_u32 v8, v4, s39
	v_sub_nc_u32_e32 v4, v4, v10
	v_lshrrev_b32_e32 v1, s55, v1
	v_mul_lo_u32 v10, v4, s48
	v_mul_lo_u32 v4, v4, s49
	v_sub_nc_u32_e32 v3, v3, v8
	v_mul_lo_u32 v11, v1, s53
	v_mul_lo_u32 v8, v3, s46
	;; [unrolled: 1-line block ×3, first 2 shown]
	v_sub_nc_u32_e32 v6, v6, v11
	v_add3_u32 v0, v7, v0, v8
	v_mul_lo_u32 v11, v6, s50
	v_mul_lo_u32 v6, v6, s51
	v_add3_u32 v2, v9, v2, v3
	v_add3_u32 v0, v10, v0, v11
	;; [unrolled: 1-line block ×3, first 2 shown]
	s_cbranch_scc0 .LBB5_114
	s_branch .LBB5_118
.LBB5_115:
                                        ; implicit-def: $vgpr0
                                        ; implicit-def: $vgpr2
	s_branch .LBB5_122
.LBB5_116:
	v_mov_b32_e32 v0, 0
	v_mov_b32_e32 v2, 0
	s_branch .LBB5_121
.LBB5_117:
	v_mov_b32_e32 v0, 0
	v_mov_b32_e32 v2, 0
	;; [unrolled: 1-line block ×3, first 2 shown]
	s_mov_b32 s21, 0
.LBB5_118:
	s_and_b32 s27, s28, 3
	s_cmp_eq_u32 s27, 0
	s_cbranch_scc1 .LBB5_121
; %bb.119:
	s_lshl_b32 s16, s21, 3
	s_mul_i32 s18, s21, 12
	s_add_u32 s16, s12, s16
	s_addc_u32 s17, s13, 0
	s_add_u32 s16, s16, 0xc4
	s_addc_u32 s17, s17, 0
	;; [unrolled: 2-line block ×3, first 2 shown]
	.p2align	6
.LBB5_120:                              ; =>This Inner Loop Header: Depth=1
	s_clause 0x1
	s_load_dwordx2 s[28:29], s[18:19], 0x4
	s_load_dword s21, s[18:19], 0xc
	s_load_dwordx2 s[30:31], s[16:17], 0x0
	s_add_u32 s18, s18, 12
	s_addc_u32 s19, s19, 0
	s_add_u32 s16, s16, 8
	s_addc_u32 s17, s17, 0
	s_add_i32 s27, s27, -1
	s_cmp_lg_u32 s27, 0
	s_waitcnt lgkmcnt(0)
	v_mul_hi_u32 v3, s29, v1
	v_add_nc_u32_e32 v3, v1, v3
	v_lshrrev_b32_e32 v4, s21, v3
	v_mul_lo_u32 v3, v4, s28
	v_sub_nc_u32_e32 v3, v1, v3
	v_mad_u64_u32 v[0:1], null, v3, s30, v[0:1]
	v_mad_u64_u32 v[2:3], null, v3, s31, v[2:3]
	v_mov_b32_e32 v1, v4
	s_cbranch_scc1 .LBB5_120
.LBB5_121:
	s_cbranch_execnz .LBB5_124
.LBB5_122:
	s_waitcnt lgkmcnt(0)
	v_mul_hi_u32 v0, s9, v5
	s_andn2_b32 vcc_lo, exec_lo, s26
	v_add_nc_u32_e32 v0, v5, v0
	v_lshrrev_b32_e32 v1, s10, v0
	v_mul_lo_u32 v0, v1, s8
	v_sub_nc_u32_e32 v2, v5, v0
	v_mul_lo_u32 v0, v2, s4
	v_mul_lo_u32 v2, v2, s5
	s_cbranch_vccnz .LBB5_124
; %bb.123:
	v_mul_hi_u32 v3, s14, v1
	v_add_nc_u32_e32 v3, v1, v3
	v_lshrrev_b32_e32 v3, s15, v3
	v_mul_lo_u32 v3, v3, s11
	v_sub_nc_u32_e32 v3, v1, v3
	v_mad_u64_u32 v[0:1], null, v3, s6, v[0:1]
	v_mad_u64_u32 v[2:3], null, v3, s7, v[2:3]
.LBB5_124:
	s_waitcnt lgkmcnt(0)
	global_load_dwordx2 v[1:2], v2, s[2:3]
	s_mov_b32 s2, 0xbd3237f4
	s_mov_b32 s4, 0xb5e68a13
	;; [unrolled: 1-line block ×4, first 2 shown]
	s_waitcnt vmcnt(0)
	v_and_b32_e32 v4, 0x7fffffff, v2
	v_mov_b32_e32 v3, v1
	v_div_scale_f64 v[5:6], null, v[3:4], v[3:4], 1.0
	v_div_scale_f64 v[11:12], vcc_lo, 1.0, v[3:4], 1.0
	v_rcp_f64_e32 v[7:8], v[5:6]
	v_fma_f64 v[9:10], -v[5:6], v[7:8], 1.0
	v_fma_f64 v[7:8], v[7:8], v[9:10], v[7:8]
	v_fma_f64 v[9:10], -v[5:6], v[7:8], 1.0
	v_fma_f64 v[7:8], v[7:8], v[9:10], v[7:8]
	v_mul_f64 v[9:10], v[11:12], v[7:8]
	v_fma_f64 v[5:6], -v[5:6], v[9:10], v[11:12]
	v_div_fmas_f64 v[5:6], v[5:6], v[7:8], v[9:10]
	v_cmp_gt_f64_e64 vcc_lo, |v[1:2]|, 1.0
	v_div_fixup_f64 v[5:6], v[5:6], |v[1:2]|, 1.0
	v_cndmask_b32_e32 v4, v4, v6, vcc_lo
	v_cndmask_b32_e32 v3, v1, v5, vcc_lo
	v_mul_f64 v[5:6], v[3:4], v[3:4]
	v_fma_f64 v[7:8], v[5:6], s[4:5], s[2:3]
	s_mov_b32 s2, 0x69efb384
	s_mov_b32 s3, 0x3f4b2bb0
	;; [unrolled: 1-line block ×4, first 2 shown]
	v_fma_f64 v[7:8], v[5:6], v[7:8], s[2:3]
	s_mov_b32 s2, 0xaf56de9b
	s_mov_b32 s3, 0xbf67952d
	v_fma_f64 v[7:8], v[5:6], v[7:8], s[2:3]
	s_mov_b32 s2, 0xa595c56f
	s_mov_b32 s3, 0x3f7d6d43
	;; [unrolled: 3-line block ×18, first 2 shown]
	v_mul_f64 v[5:6], v[5:6], v[7:8]
	v_fma_f64 v[3:4], v[3:4], v[5:6], v[3:4]
	v_fma_f64 v[5:6], s[4:5], s[2:3], -v[3:4]
	v_cndmask_b32_e32 v4, v4, v6, vcc_lo
	v_cndmask_b32_e32 v1, v3, v5, vcc_lo
	v_bfi_b32 v2, 0x7fffffff, v4, v2
	global_store_dwordx2 v0, v[1:2], s[0:1]
	s_or_b32 exec_lo, exec_lo, s20
                                        ; implicit-def: $vgpr12
                                        ; implicit-def: $vgpr5
	s_andn2_saveexec_b32 s0, s25
	s_cbranch_execz .LBB5_101
	s_branch .LBB5_8
	.section	.rodata,"a",@progbits
	.p2align	6, 0x0
	.amdhsa_kernel _ZN2at6native32elementwise_kernel_manual_unrollILi128ELi4EZNS0_22gpu_kernel_impl_nocastIZZZNS0_16atan_kernel_cudaERNS_18TensorIteratorBaseEENKUlvE0_clEvENKUlvE_clEvEUldE_EEvS4_RKT_EUlibE_EEviT1_
		.amdhsa_group_segment_fixed_size 0
		.amdhsa_private_segment_fixed_size 0
		.amdhsa_kernarg_size 360
		.amdhsa_user_sgpr_count 6
		.amdhsa_user_sgpr_private_segment_buffer 1
		.amdhsa_user_sgpr_dispatch_ptr 0
		.amdhsa_user_sgpr_queue_ptr 0
		.amdhsa_user_sgpr_kernarg_segment_ptr 1
		.amdhsa_user_sgpr_dispatch_id 0
		.amdhsa_user_sgpr_flat_scratch_init 0
		.amdhsa_user_sgpr_private_segment_size 0
		.amdhsa_wavefront_size32 1
		.amdhsa_uses_dynamic_stack 0
		.amdhsa_system_sgpr_private_segment_wavefront_offset 0
		.amdhsa_system_sgpr_workgroup_id_x 1
		.amdhsa_system_sgpr_workgroup_id_y 0
		.amdhsa_system_sgpr_workgroup_id_z 0
		.amdhsa_system_sgpr_workgroup_info 0
		.amdhsa_system_vgpr_workitem_id 0
		.amdhsa_next_free_vgpr 52
		.amdhsa_next_free_sgpr 56
		.amdhsa_reserve_vcc 1
		.amdhsa_reserve_flat_scratch 0
		.amdhsa_float_round_mode_32 0
		.amdhsa_float_round_mode_16_64 0
		.amdhsa_float_denorm_mode_32 3
		.amdhsa_float_denorm_mode_16_64 3
		.amdhsa_dx10_clamp 1
		.amdhsa_ieee_mode 1
		.amdhsa_fp16_overflow 0
		.amdhsa_workgroup_processor_mode 1
		.amdhsa_memory_ordered 1
		.amdhsa_forward_progress 1
		.amdhsa_shared_vgpr_count 0
		.amdhsa_exception_fp_ieee_invalid_op 0
		.amdhsa_exception_fp_denorm_src 0
		.amdhsa_exception_fp_ieee_div_zero 0
		.amdhsa_exception_fp_ieee_overflow 0
		.amdhsa_exception_fp_ieee_underflow 0
		.amdhsa_exception_fp_ieee_inexact 0
		.amdhsa_exception_int_div_zero 0
	.end_amdhsa_kernel
	.section	.text._ZN2at6native32elementwise_kernel_manual_unrollILi128ELi4EZNS0_22gpu_kernel_impl_nocastIZZZNS0_16atan_kernel_cudaERNS_18TensorIteratorBaseEENKUlvE0_clEvENKUlvE_clEvEUldE_EEvS4_RKT_EUlibE_EEviT1_,"axG",@progbits,_ZN2at6native32elementwise_kernel_manual_unrollILi128ELi4EZNS0_22gpu_kernel_impl_nocastIZZZNS0_16atan_kernel_cudaERNS_18TensorIteratorBaseEENKUlvE0_clEvENKUlvE_clEvEUldE_EEvS4_RKT_EUlibE_EEviT1_,comdat
.Lfunc_end5:
	.size	_ZN2at6native32elementwise_kernel_manual_unrollILi128ELi4EZNS0_22gpu_kernel_impl_nocastIZZZNS0_16atan_kernel_cudaERNS_18TensorIteratorBaseEENKUlvE0_clEvENKUlvE_clEvEUldE_EEvS4_RKT_EUlibE_EEviT1_, .Lfunc_end5-_ZN2at6native32elementwise_kernel_manual_unrollILi128ELi4EZNS0_22gpu_kernel_impl_nocastIZZZNS0_16atan_kernel_cudaERNS_18TensorIteratorBaseEENKUlvE0_clEvENKUlvE_clEvEUldE_EEvS4_RKT_EUlibE_EEviT1_
                                        ; -- End function
	.set _ZN2at6native32elementwise_kernel_manual_unrollILi128ELi4EZNS0_22gpu_kernel_impl_nocastIZZZNS0_16atan_kernel_cudaERNS_18TensorIteratorBaseEENKUlvE0_clEvENKUlvE_clEvEUldE_EEvS4_RKT_EUlibE_EEviT1_.num_vgpr, 52
	.set _ZN2at6native32elementwise_kernel_manual_unrollILi128ELi4EZNS0_22gpu_kernel_impl_nocastIZZZNS0_16atan_kernel_cudaERNS_18TensorIteratorBaseEENKUlvE0_clEvENKUlvE_clEvEUldE_EEvS4_RKT_EUlibE_EEviT1_.num_agpr, 0
	.set _ZN2at6native32elementwise_kernel_manual_unrollILi128ELi4EZNS0_22gpu_kernel_impl_nocastIZZZNS0_16atan_kernel_cudaERNS_18TensorIteratorBaseEENKUlvE0_clEvENKUlvE_clEvEUldE_EEvS4_RKT_EUlibE_EEviT1_.numbered_sgpr, 56
	.set _ZN2at6native32elementwise_kernel_manual_unrollILi128ELi4EZNS0_22gpu_kernel_impl_nocastIZZZNS0_16atan_kernel_cudaERNS_18TensorIteratorBaseEENKUlvE0_clEvENKUlvE_clEvEUldE_EEvS4_RKT_EUlibE_EEviT1_.num_named_barrier, 0
	.set _ZN2at6native32elementwise_kernel_manual_unrollILi128ELi4EZNS0_22gpu_kernel_impl_nocastIZZZNS0_16atan_kernel_cudaERNS_18TensorIteratorBaseEENKUlvE0_clEvENKUlvE_clEvEUldE_EEvS4_RKT_EUlibE_EEviT1_.private_seg_size, 0
	.set _ZN2at6native32elementwise_kernel_manual_unrollILi128ELi4EZNS0_22gpu_kernel_impl_nocastIZZZNS0_16atan_kernel_cudaERNS_18TensorIteratorBaseEENKUlvE0_clEvENKUlvE_clEvEUldE_EEvS4_RKT_EUlibE_EEviT1_.uses_vcc, 1
	.set _ZN2at6native32elementwise_kernel_manual_unrollILi128ELi4EZNS0_22gpu_kernel_impl_nocastIZZZNS0_16atan_kernel_cudaERNS_18TensorIteratorBaseEENKUlvE0_clEvENKUlvE_clEvEUldE_EEvS4_RKT_EUlibE_EEviT1_.uses_flat_scratch, 0
	.set _ZN2at6native32elementwise_kernel_manual_unrollILi128ELi4EZNS0_22gpu_kernel_impl_nocastIZZZNS0_16atan_kernel_cudaERNS_18TensorIteratorBaseEENKUlvE0_clEvENKUlvE_clEvEUldE_EEvS4_RKT_EUlibE_EEviT1_.has_dyn_sized_stack, 0
	.set _ZN2at6native32elementwise_kernel_manual_unrollILi128ELi4EZNS0_22gpu_kernel_impl_nocastIZZZNS0_16atan_kernel_cudaERNS_18TensorIteratorBaseEENKUlvE0_clEvENKUlvE_clEvEUldE_EEvS4_RKT_EUlibE_EEviT1_.has_recursion, 0
	.set _ZN2at6native32elementwise_kernel_manual_unrollILi128ELi4EZNS0_22gpu_kernel_impl_nocastIZZZNS0_16atan_kernel_cudaERNS_18TensorIteratorBaseEENKUlvE0_clEvENKUlvE_clEvEUldE_EEvS4_RKT_EUlibE_EEviT1_.has_indirect_call, 0
	.section	.AMDGPU.csdata,"",@progbits
; Kernel info:
; codeLenInByte = 10520
; TotalNumSgprs: 58
; NumVgprs: 52
; ScratchSize: 0
; MemoryBound: 0
; FloatMode: 240
; IeeeMode: 1
; LDSByteSize: 0 bytes/workgroup (compile time only)
; SGPRBlocks: 0
; VGPRBlocks: 6
; NumSGPRsForWavesPerEU: 58
; NumVGPRsForWavesPerEU: 52
; Occupancy: 16
; WaveLimiterHint : 1
; COMPUTE_PGM_RSRC2:SCRATCH_EN: 0
; COMPUTE_PGM_RSRC2:USER_SGPR: 6
; COMPUTE_PGM_RSRC2:TRAP_HANDLER: 0
; COMPUTE_PGM_RSRC2:TGID_X_EN: 1
; COMPUTE_PGM_RSRC2:TGID_Y_EN: 0
; COMPUTE_PGM_RSRC2:TGID_Z_EN: 0
; COMPUTE_PGM_RSRC2:TIDIG_COMP_CNT: 0
	.section	.text._ZN2at6native32elementwise_kernel_manual_unrollILi128ELi4EZNS0_15gpu_kernel_implIZZZNS0_16atan_kernel_cudaERNS_18TensorIteratorBaseEENKUlvE0_clEvENKUlvE_clEvEUldE_EEvS4_RKT_EUlibE_EEviT1_,"axG",@progbits,_ZN2at6native32elementwise_kernel_manual_unrollILi128ELi4EZNS0_15gpu_kernel_implIZZZNS0_16atan_kernel_cudaERNS_18TensorIteratorBaseEENKUlvE0_clEvENKUlvE_clEvEUldE_EEvS4_RKT_EUlibE_EEviT1_,comdat
	.globl	_ZN2at6native32elementwise_kernel_manual_unrollILi128ELi4EZNS0_15gpu_kernel_implIZZZNS0_16atan_kernel_cudaERNS_18TensorIteratorBaseEENKUlvE0_clEvENKUlvE_clEvEUldE_EEvS4_RKT_EUlibE_EEviT1_ ; -- Begin function _ZN2at6native32elementwise_kernel_manual_unrollILi128ELi4EZNS0_15gpu_kernel_implIZZZNS0_16atan_kernel_cudaERNS_18TensorIteratorBaseEENKUlvE0_clEvENKUlvE_clEvEUldE_EEvS4_RKT_EUlibE_EEviT1_
	.p2align	8
	.type	_ZN2at6native32elementwise_kernel_manual_unrollILi128ELi4EZNS0_15gpu_kernel_implIZZZNS0_16atan_kernel_cudaERNS_18TensorIteratorBaseEENKUlvE0_clEvENKUlvE_clEvEUldE_EEvS4_RKT_EUlibE_EEviT1_,@function
_ZN2at6native32elementwise_kernel_manual_unrollILi128ELi4EZNS0_15gpu_kernel_implIZZZNS0_16atan_kernel_cudaERNS_18TensorIteratorBaseEENKUlvE0_clEvENKUlvE_clEvEUldE_EEvS4_RKT_EUlibE_EEviT1_: ; @_ZN2at6native32elementwise_kernel_manual_unrollILi128ELi4EZNS0_15gpu_kernel_implIZZZNS0_16atan_kernel_cudaERNS_18TensorIteratorBaseEENKUlvE0_clEvENKUlvE_clEvEUldE_EEvS4_RKT_EUlibE_EEviT1_
; %bb.0:
	v_mov_b32_e32 v1, 0
	s_clause 0x2
	s_load_dword s12, s[4:5], 0x0
	s_load_dwordx2 s[2:3], s[4:5], 0x18
	s_load_dwordx4 s[8:11], s[4:5], 0x8
	v_lshl_or_b32 v10, s6, 9, v0
	s_mov_b32 s7, 0
	global_load_ushort v1, v1, s[4:5] offset:33
	s_mov_b32 s4, 0
	v_or_b32_e32 v0, 0x180, v10
	s_waitcnt vmcnt(0)
	v_readfirstlane_b32 s1, v1
	s_and_b32 s0, 0xffff, s1
	s_lshr_b32 s5, s0, 8
	s_mov_b32 s0, exec_lo
	s_waitcnt lgkmcnt(0)
	v_cmpx_le_i32_e64 s12, v0
	s_xor_b32 s6, exec_lo, s0
	s_cbranch_execz .LBB6_1031
; %bb.1:
	s_mov_b32 s17, -1
	s_mov_b32 s15, 0
	s_mov_b32 s13, 0
	s_mov_b32 s14, exec_lo
	v_cmpx_gt_i32_e64 s12, v10
	s_cbranch_execz .LBB6_252
; %bb.2:
	v_mul_lo_u32 v0, v10, s3
	s_and_b32 s0, 0xffff, s5
	s_cmp_lt_i32 s0, 11
	v_ashrrev_i32_e32 v1, 31, v0
	v_add_co_u32 v0, vcc_lo, s10, v0
	v_add_co_ci_u32_e64 v1, null, s11, v1, vcc_lo
	s_cbranch_scc1 .LBB6_9
; %bb.3:
	s_cmp_gt_i32 s0, 25
	s_cbranch_scc0 .LBB6_18
; %bb.4:
	s_cmp_gt_i32 s0, 28
	s_cbranch_scc0 .LBB6_21
	;; [unrolled: 3-line block ×4, first 2 shown]
; %bb.7:
	s_cmp_eq_u32 s0, 46
	s_mov_b32 s16, 0
	s_cbranch_scc0 .LBB6_27
; %bb.8:
	global_load_dword v2, v[0:1], off
	s_mov_b32 s7, -1
	s_waitcnt vmcnt(0)
	v_lshlrev_b32_e32 v2, 16, v2
	v_cvt_f64_f32_e32 v[2:3], v2
	s_branch .LBB6_29
.LBB6_9:
                                        ; implicit-def: $vgpr2_vgpr3
	s_cbranch_execnz .LBB6_202
.LBB6_10:
	s_andn2_b32 vcc_lo, exec_lo, s7
	s_cbranch_vccnz .LBB6_249
.LBB6_11:
	s_waitcnt vmcnt(0)
	v_and_b32_e32 v1, 0x7fffffff, v3
	v_mov_b32_e32 v0, v2
	s_mov_b32 s16, 0xbd3237f4
	s_mov_b32 s18, 0xb5e68a13
	;; [unrolled: 1-line block ×4, first 2 shown]
	v_div_scale_f64 v[4:5], null, v[0:1], v[0:1], 1.0
	v_div_scale_f64 v[11:12], vcc_lo, 1.0, v[0:1], 1.0
	s_and_b32 s7, s1, 0xff
	s_cmp_lt_i32 s7, 11
	v_rcp_f64_e32 v[6:7], v[4:5]
	v_fma_f64 v[8:9], -v[4:5], v[6:7], 1.0
	v_fma_f64 v[6:7], v[6:7], v[8:9], v[6:7]
	v_fma_f64 v[8:9], -v[4:5], v[6:7], 1.0
	v_fma_f64 v[6:7], v[6:7], v[8:9], v[6:7]
	v_mul_f64 v[8:9], v[11:12], v[6:7]
	v_fma_f64 v[4:5], -v[4:5], v[8:9], v[11:12]
	v_div_fmas_f64 v[4:5], v[4:5], v[6:7], v[8:9]
	v_cmp_gt_f64_e64 vcc_lo, |v[2:3]|, 1.0
	v_div_fixup_f64 v[4:5], v[4:5], |v[2:3]|, 1.0
	v_cndmask_b32_e32 v1, v1, v5, vcc_lo
	v_cndmask_b32_e32 v0, v2, v4, vcc_lo
	v_mul_lo_u32 v2, v10, s2
	v_mul_f64 v[4:5], v[0:1], v[0:1]
	v_fma_f64 v[6:7], v[4:5], s[18:19], s[16:17]
	s_mov_b32 s16, 0x69efb384
	s_mov_b32 s17, 0x3f4b2bb0
	;; [unrolled: 1-line block ×4, first 2 shown]
	v_fma_f64 v[6:7], v[4:5], v[6:7], s[16:17]
	s_mov_b32 s16, 0xaf56de9b
	s_mov_b32 s17, 0xbf67952d
	v_fma_f64 v[6:7], v[4:5], v[6:7], s[16:17]
	s_mov_b32 s16, 0xa595c56f
	s_mov_b32 s17, 0x3f7d6d43
	;; [unrolled: 3-line block ×18, first 2 shown]
	v_mul_f64 v[4:5], v[4:5], v[6:7]
	v_fma_f64 v[0:1], v[0:1], v[4:5], v[0:1]
	v_ashrrev_i32_e32 v5, 31, v2
	v_add_co_u32 v4, s0, s8, v2
	v_add_co_ci_u32_e64 v5, null, s9, v5, s0
	v_fma_f64 v[6:7], s[18:19], s[16:17], -v[0:1]
	v_cndmask_b32_e32 v1, v1, v7, vcc_lo
	v_cndmask_b32_e32 v0, v0, v6, vcc_lo
	v_bfi_b32 v1, 0x7fffffff, v1, v3
	s_cbranch_scc1 .LBB6_19
; %bb.12:
	s_and_b32 s16, 0xffff, s7
	s_cmp_gt_i32 s16, 25
	s_cbranch_scc0 .LBB6_22
; %bb.13:
	s_cmp_gt_i32 s16, 28
	s_cbranch_scc0 .LBB6_24
; %bb.14:
	;; [unrolled: 3-line block ×4, first 2 shown]
	s_mov_b32 s18, 0
	s_mov_b32 s0, -1
	s_cmp_eq_u32 s16, 46
	s_mov_b32 s17, 0
	s_cbranch_scc0 .LBB6_33
; %bb.17:
	v_cvt_f32_f64_e32 v2, v[0:1]
	s_mov_b32 s17, -1
	s_mov_b32 s0, 0
	v_bfe_u32 v3, v2, 16, 1
	v_cmp_o_f32_e32 vcc_lo, v2, v2
	v_add3_u32 v2, v2, v3, 0x7fff
	v_mov_b32_e32 v3, 0x7fc0
	v_cndmask_b32_sdwa v2, v3, v2, vcc_lo dst_sel:DWORD dst_unused:UNUSED_PAD src0_sel:DWORD src1_sel:WORD_1
	global_store_dword v[4:5], v2, off
	s_branch .LBB6_33
.LBB6_18:
                                        ; implicit-def: $vgpr2_vgpr3
	s_cbranch_execnz .LBB6_169
	s_branch .LBB6_201
.LBB6_19:
	s_mov_b32 s0, 0
	s_mov_b32 s17, 0
	s_cbranch_execnz .LBB6_102
.LBB6_20:
	s_andn2_b32 vcc_lo, exec_lo, s17
	s_cbranch_vccnz .LBB6_250
	s_branch .LBB6_140
.LBB6_21:
	s_mov_b32 s16, -1
                                        ; implicit-def: $vgpr2_vgpr3
	s_branch .LBB6_148
.LBB6_22:
	s_mov_b32 s18, -1
	s_mov_b32 s0, 0
	s_mov_b32 s17, 0
	s_branch .LBB6_60
.LBB6_23:
	s_mov_b32 s16, -1
                                        ; implicit-def: $vgpr2_vgpr3
	s_branch .LBB6_143
.LBB6_24:
	s_mov_b32 s18, -1
	s_mov_b32 s0, 0
	s_mov_b32 s17, 0
	s_branch .LBB6_43
.LBB6_25:
	s_mov_b32 s16, -1
	s_branch .LBB6_28
.LBB6_26:
	s_mov_b32 s18, -1
	s_mov_b32 s0, 0
	s_mov_b32 s17, 0
	s_branch .LBB6_39
.LBB6_27:
	s_mov_b32 s13, -1
.LBB6_28:
                                        ; implicit-def: $vgpr2_vgpr3
.LBB6_29:
	s_and_b32 vcc_lo, exec_lo, s16
	s_cbranch_vccz .LBB6_142
; %bb.30:
	s_cmp_eq_u32 s0, 44
	s_cbranch_scc0 .LBB6_141
; %bb.31:
	global_load_ubyte v4, v[0:1], off
	s_mov_b32 s13, 0
	s_mov_b32 s7, -1
	s_waitcnt vmcnt(0)
	v_lshlrev_b32_e32 v2, 23, v4
	v_cmp_ne_u32_e32 vcc_lo, 0xff, v4
	v_cvt_f64_f32_e32 v[2:3], v2
	v_cndmask_b32_e32 v2, 0x20000000, v2, vcc_lo
	v_cndmask_b32_e32 v3, 0x7ff80000, v3, vcc_lo
	v_cmp_ne_u32_e32 vcc_lo, 0, v4
	v_cndmask_b32_e32 v3, 0x38000000, v3, vcc_lo
	v_cndmask_b32_e32 v2, 0, v2, vcc_lo
	s_branch .LBB6_142
.LBB6_32:
	s_mov_b32 s18, -1
	s_mov_b32 s0, 0
	s_mov_b32 s17, 0
.LBB6_33:
	s_and_b32 vcc_lo, exec_lo, s18
	s_cbranch_vccz .LBB6_38
; %bb.34:
	s_cmp_eq_u32 s16, 44
	s_mov_b32 s0, -1
	s_cbranch_scc0 .LBB6_38
; %bb.35:
	v_cvt_f32_f64_e32 v2, v[0:1]
	v_mov_b32_e32 v3, 0xff
	s_mov_b32 s17, exec_lo
	v_bfe_u32 v6, v2, 23, 8
	v_cmpx_ne_u32_e32 0xff, v6
	s_cbranch_execz .LBB6_37
; %bb.36:
	v_and_b32_e32 v3, 0x400000, v2
	v_and_or_b32 v6, 0x3fffff, v2, v6
	v_lshrrev_b32_e32 v2, 23, v2
	v_cmp_ne_u32_e32 vcc_lo, 0, v3
	v_cmp_ne_u32_e64 s0, 0, v6
	s_and_b32 s0, vcc_lo, s0
	v_cndmask_b32_e64 v3, 0, 1, s0
	v_add_nc_u32_e32 v3, v2, v3
.LBB6_37:
	s_or_b32 exec_lo, exec_lo, s17
	s_mov_b32 s17, -1
	s_mov_b32 s0, 0
	global_store_byte v[4:5], v3, off
.LBB6_38:
	s_mov_b32 s18, 0
.LBB6_39:
	s_and_b32 vcc_lo, exec_lo, s18
	s_cbranch_vccz .LBB6_42
; %bb.40:
	s_cmp_eq_u32 s16, 29
	s_mov_b32 s0, -1
	s_cbranch_scc0 .LBB6_42
; %bb.41:
	v_trunc_f64_e32 v[2:3], v[0:1]
	s_mov_b32 s17, -1
	s_mov_b32 s0, 0
	s_mov_b32 s18, 0
	v_ldexp_f64 v[6:7], v[2:3], 0xffffffe0
	v_floor_f64_e32 v[6:7], v[6:7]
	v_fma_f64 v[2:3], 0xc1f00000, v[6:7], v[2:3]
	v_cvt_u32_f64_e32 v7, v[6:7]
	v_cvt_u32_f64_e32 v6, v[2:3]
	global_store_dwordx2 v[4:5], v[6:7], off
	s_branch .LBB6_43
.LBB6_42:
	s_mov_b32 s18, 0
.LBB6_43:
	s_and_b32 vcc_lo, exec_lo, s18
	s_cbranch_vccz .LBB6_59
; %bb.44:
	s_cmp_lt_i32 s16, 27
	s_mov_b32 s17, -1
	s_cbranch_scc1 .LBB6_50
; %bb.45:
	v_cvt_u32_f64_e32 v2, v[0:1]
	s_cmp_gt_i32 s16, 27
	s_cbranch_scc0 .LBB6_47
; %bb.46:
	s_mov_b32 s17, 0
	global_store_dword v[4:5], v2, off
.LBB6_47:
	s_andn2_b32 vcc_lo, exec_lo, s17
	s_cbranch_vccnz .LBB6_49
; %bb.48:
	global_store_short v[4:5], v2, off
.LBB6_49:
	s_mov_b32 s17, 0
.LBB6_50:
	s_andn2_b32 vcc_lo, exec_lo, s17
	s_cbranch_vccnz .LBB6_58
; %bb.51:
	v_cvt_f32_f64_e32 v2, v[0:1]
	v_mov_b32_e32 v6, 0x80
	s_mov_b32 s17, exec_lo
	v_and_b32_e32 v3, 0x7fffffff, v2
	v_cmpx_gt_u32_e32 0x43800000, v3
	s_cbranch_execz .LBB6_57
; %bb.52:
	v_cmp_lt_u32_e32 vcc_lo, 0x3bffffff, v3
	s_mov_b32 s18, 0
                                        ; implicit-def: $vgpr3
	s_and_saveexec_b32 s19, vcc_lo
	s_xor_b32 s19, exec_lo, s19
	s_cbranch_execz .LBB6_279
; %bb.53:
	v_bfe_u32 v3, v2, 20, 1
	s_mov_b32 s18, exec_lo
	v_add3_u32 v3, v2, v3, 0x487ffff
	v_lshrrev_b32_e32 v3, 20, v3
	s_andn2_saveexec_b32 s19, s19
	s_cbranch_execnz .LBB6_280
.LBB6_54:
	s_or_b32 exec_lo, exec_lo, s19
	v_mov_b32_e32 v6, 0
	s_and_saveexec_b32 s19, s18
.LBB6_55:
	v_lshrrev_b32_e32 v2, 24, v2
	v_and_or_b32 v6, 0x80, v2, v3
.LBB6_56:
	s_or_b32 exec_lo, exec_lo, s19
.LBB6_57:
	s_or_b32 exec_lo, exec_lo, s17
	global_store_byte v[4:5], v6, off
.LBB6_58:
	s_mov_b32 s17, -1
.LBB6_59:
	s_mov_b32 s18, 0
.LBB6_60:
	s_and_b32 vcc_lo, exec_lo, s18
	s_cbranch_vccz .LBB6_101
; %bb.61:
	s_cmp_gt_i32 s16, 22
	s_mov_b32 s18, -1
	s_cbranch_scc0 .LBB6_93
; %bb.62:
	s_cmp_lt_i32 s16, 24
	s_mov_b32 s17, -1
	s_cbranch_scc1 .LBB6_82
; %bb.63:
	s_cmp_gt_i32 s16, 24
	s_cbranch_scc0 .LBB6_71
; %bb.64:
	v_cvt_f32_f64_e32 v2, v[0:1]
	v_mov_b32_e32 v6, 0x80
	s_mov_b32 s17, exec_lo
	v_and_b32_e32 v3, 0x7fffffff, v2
	v_cmpx_gt_u32_e32 0x47800000, v3
	s_cbranch_execz .LBB6_70
; %bb.65:
	v_cmp_lt_u32_e32 vcc_lo, 0x37ffffff, v3
	s_mov_b32 s18, 0
                                        ; implicit-def: $vgpr3
	s_and_saveexec_b32 s19, vcc_lo
	s_xor_b32 s19, exec_lo, s19
	s_cbranch_execz .LBB6_283
; %bb.66:
	v_bfe_u32 v3, v2, 21, 1
	s_mov_b32 s18, exec_lo
	v_add3_u32 v3, v2, v3, 0x88fffff
	v_lshrrev_b32_e32 v3, 21, v3
	s_andn2_saveexec_b32 s19, s19
	s_cbranch_execnz .LBB6_284
.LBB6_67:
	s_or_b32 exec_lo, exec_lo, s19
	v_mov_b32_e32 v6, 0
	s_and_saveexec_b32 s19, s18
.LBB6_68:
	v_lshrrev_b32_e32 v2, 24, v2
	v_and_or_b32 v6, 0x80, v2, v3
.LBB6_69:
	s_or_b32 exec_lo, exec_lo, s19
.LBB6_70:
	s_or_b32 exec_lo, exec_lo, s17
	s_mov_b32 s17, 0
	global_store_byte v[4:5], v6, off
.LBB6_71:
	s_and_b32 vcc_lo, exec_lo, s17
	s_cbranch_vccz .LBB6_81
; %bb.72:
	v_cvt_f32_f64_e32 v2, v[0:1]
	s_mov_b32 s17, exec_lo
                                        ; implicit-def: $vgpr3
	v_and_b32_e32 v6, 0x7fffffff, v2
	v_cmpx_gt_u32_e32 0x43f00000, v6
	s_xor_b32 s17, exec_lo, s17
	s_cbranch_execz .LBB6_78
; %bb.73:
	s_mov_b32 s18, exec_lo
                                        ; implicit-def: $vgpr3
	v_cmpx_lt_u32_e32 0x3c7fffff, v6
	s_xor_b32 s18, exec_lo, s18
; %bb.74:
	v_bfe_u32 v3, v2, 20, 1
	v_add3_u32 v3, v2, v3, 0x407ffff
	v_and_b32_e32 v6, 0xff00000, v3
	v_lshrrev_b32_e32 v3, 20, v3
	v_cmp_ne_u32_e32 vcc_lo, 0x7f00000, v6
	v_cndmask_b32_e32 v3, 0x7e, v3, vcc_lo
; %bb.75:
	s_andn2_saveexec_b32 s18, s18
; %bb.76:
	v_add_f32_e64 v3, 0x46800000, |v2|
; %bb.77:
	s_or_b32 exec_lo, exec_lo, s18
                                        ; implicit-def: $vgpr6
.LBB6_78:
	s_andn2_saveexec_b32 s17, s17
; %bb.79:
	v_mov_b32_e32 v3, 0x7f
	v_cmp_lt_u32_e32 vcc_lo, 0x7f800000, v6
	v_cndmask_b32_e32 v3, 0x7e, v3, vcc_lo
; %bb.80:
	s_or_b32 exec_lo, exec_lo, s17
	v_lshrrev_b32_e32 v2, 24, v2
	v_and_or_b32 v2, 0x80, v2, v3
	global_store_byte v[4:5], v2, off
.LBB6_81:
	s_mov_b32 s17, 0
.LBB6_82:
	s_andn2_b32 vcc_lo, exec_lo, s17
	s_cbranch_vccnz .LBB6_92
; %bb.83:
	v_cvt_f32_f64_e32 v2, v[0:1]
	s_mov_b32 s17, exec_lo
                                        ; implicit-def: $vgpr3
	v_and_b32_e32 v6, 0x7fffffff, v2
	v_cmpx_gt_u32_e32 0x47800000, v6
	s_xor_b32 s17, exec_lo, s17
	s_cbranch_execz .LBB6_89
; %bb.84:
	s_mov_b32 s18, exec_lo
                                        ; implicit-def: $vgpr3
	v_cmpx_lt_u32_e32 0x387fffff, v6
	s_xor_b32 s18, exec_lo, s18
; %bb.85:
	v_bfe_u32 v3, v2, 21, 1
	v_add3_u32 v3, v2, v3, 0x80fffff
	v_lshrrev_b32_e32 v3, 21, v3
; %bb.86:
	s_andn2_saveexec_b32 s18, s18
; %bb.87:
	v_add_f32_e64 v3, 0x43000000, |v2|
; %bb.88:
	s_or_b32 exec_lo, exec_lo, s18
                                        ; implicit-def: $vgpr6
.LBB6_89:
	s_andn2_saveexec_b32 s17, s17
; %bb.90:
	v_mov_b32_e32 v3, 0x7f
	v_cmp_lt_u32_e32 vcc_lo, 0x7f800000, v6
	v_cndmask_b32_e32 v3, 0x7c, v3, vcc_lo
; %bb.91:
	s_or_b32 exec_lo, exec_lo, s17
	v_lshrrev_b32_e32 v2, 24, v2
	v_and_or_b32 v2, 0x80, v2, v3
	global_store_byte v[4:5], v2, off
.LBB6_92:
	s_mov_b32 s18, 0
	s_mov_b32 s17, -1
.LBB6_93:
	s_andn2_b32 vcc_lo, exec_lo, s18
	s_cbranch_vccnz .LBB6_101
; %bb.94:
	s_cmp_gt_i32 s16, 14
	s_mov_b32 s18, -1
	s_cbranch_scc0 .LBB6_98
; %bb.95:
	s_cmp_eq_u32 s16, 15
	s_mov_b32 s0, -1
	s_cbranch_scc0 .LBB6_97
; %bb.96:
	v_cvt_f32_f64_e32 v2, v[0:1]
	s_mov_b32 s17, -1
	s_mov_b32 s0, 0
	v_bfe_u32 v3, v2, 16, 1
	v_cmp_o_f32_e32 vcc_lo, v2, v2
	v_add3_u32 v2, v2, v3, 0x7fff
	v_mov_b32_e32 v3, 0x7fc0
	v_cndmask_b32_sdwa v2, v3, v2, vcc_lo dst_sel:DWORD dst_unused:UNUSED_PAD src0_sel:DWORD src1_sel:WORD_1
	global_store_short v[4:5], v2, off
.LBB6_97:
	s_mov_b32 s18, 0
.LBB6_98:
	s_and_b32 vcc_lo, exec_lo, s18
	s_cbranch_vccz .LBB6_101
; %bb.99:
	s_cmp_eq_u32 s16, 11
	s_mov_b32 s0, -1
	s_cbranch_scc0 .LBB6_101
; %bb.100:
	v_cmp_neq_f64_e32 vcc_lo, 0, v[0:1]
	s_mov_b32 s17, -1
	s_mov_b32 s0, 0
	v_cndmask_b32_e64 v2, 0, 1, vcc_lo
	global_store_byte v[4:5], v2, off
.LBB6_101:
	s_branch .LBB6_20
.LBB6_102:
	s_and_b32 s7, 0xffff, s7
	s_mov_b32 s16, -1
	s_cmp_lt_i32 s7, 5
	s_cbranch_scc1 .LBB6_123
; %bb.103:
	s_cmp_lt_i32 s7, 8
	s_cbranch_scc1 .LBB6_113
; %bb.104:
	;; [unrolled: 3-line block ×3, first 2 shown]
	s_cmp_gt_i32 s7, 9
	s_cbranch_scc0 .LBB6_107
; %bb.106:
	v_mov_b32_e32 v2, 0
	s_mov_b32 s16, 0
	v_mov_b32_e32 v3, v2
	global_store_dwordx4 v[4:5], v[0:3], off
.LBB6_107:
	s_andn2_b32 vcc_lo, exec_lo, s16
	s_cbranch_vccnz .LBB6_109
; %bb.108:
	v_cvt_f32_f64_e32 v2, v[0:1]
	v_mov_b32_e32 v3, 0
	global_store_dwordx2 v[4:5], v[2:3], off
.LBB6_109:
	s_mov_b32 s16, 0
.LBB6_110:
	s_andn2_b32 vcc_lo, exec_lo, s16
	s_cbranch_vccnz .LBB6_112
; %bb.111:
	v_and_or_b32 v2, 0x1ff, v1, v0
	v_lshrrev_b32_e32 v3, 8, v1
	v_bfe_u32 v6, v1, 20, 11
	v_cmp_ne_u32_e32 vcc_lo, 0, v2
	v_sub_nc_u32_e32 v7, 0x3f1, v6
	v_add_nc_u32_e32 v6, 0xfffffc10, v6
	v_cndmask_b32_e64 v2, 0, 1, vcc_lo
	v_and_or_b32 v2, 0xffe, v3, v2
	v_med3_i32 v3, v7, 0, 13
	v_or_b32_e32 v7, 0x1000, v2
	v_lshrrev_b32_e32 v8, v3, v7
	v_lshlrev_b32_e32 v3, v3, v8
	v_cmp_ne_u32_e32 vcc_lo, v3, v7
	v_lshl_or_b32 v7, v6, 12, v2
	v_cndmask_b32_e64 v3, 0, 1, vcc_lo
	v_cmp_gt_i32_e32 vcc_lo, 1, v6
	v_or_b32_e32 v3, v8, v3
	v_cndmask_b32_e32 v3, v7, v3, vcc_lo
	v_and_b32_e32 v7, 7, v3
	v_lshrrev_b32_e32 v3, 2, v3
	v_cmp_lt_i32_e32 vcc_lo, 5, v7
	v_cndmask_b32_e64 v8, 0, 1, vcc_lo
	v_cmp_eq_u32_e32 vcc_lo, 3, v7
	v_cndmask_b32_e64 v7, 0, 1, vcc_lo
	v_cmp_ne_u32_e32 vcc_lo, 0, v2
	v_or_b32_e32 v7, v7, v8
	v_mov_b32_e32 v8, 0x7e00
	v_add_nc_u32_e32 v3, v3, v7
	v_cndmask_b32_e32 v2, 0x7c00, v8, vcc_lo
	v_cmp_gt_i32_e32 vcc_lo, 31, v6
	v_cndmask_b32_e32 v3, 0x7c00, v3, vcc_lo
	v_cmp_eq_u32_e32 vcc_lo, 0x40f, v6
	v_cndmask_b32_e32 v2, v3, v2, vcc_lo
	v_lshrrev_b32_e32 v3, 16, v1
	v_and_or_b32 v2, 0x8000, v3, v2
	v_and_b32_e32 v2, 0xffff, v2
	global_store_dword v[4:5], v2, off
.LBB6_112:
	s_mov_b32 s16, 0
.LBB6_113:
	s_andn2_b32 vcc_lo, exec_lo, s16
	s_cbranch_vccnz .LBB6_122
; %bb.114:
	s_cmp_lt_i32 s7, 6
	s_mov_b32 s16, -1
	s_cbranch_scc1 .LBB6_120
; %bb.115:
	s_cmp_gt_i32 s7, 6
	s_cbranch_scc0 .LBB6_117
; %bb.116:
	s_mov_b32 s16, 0
	global_store_dwordx2 v[4:5], v[0:1], off
.LBB6_117:
	s_andn2_b32 vcc_lo, exec_lo, s16
	s_cbranch_vccnz .LBB6_119
; %bb.118:
	v_cvt_f32_f64_e32 v2, v[0:1]
	global_store_dword v[4:5], v2, off
.LBB6_119:
	s_mov_b32 s16, 0
.LBB6_120:
	s_andn2_b32 vcc_lo, exec_lo, s16
	s_cbranch_vccnz .LBB6_122
; %bb.121:
	v_and_or_b32 v2, 0x1ff, v1, v0
	v_lshrrev_b32_e32 v3, 8, v1
	v_bfe_u32 v6, v1, 20, 11
	v_cmp_ne_u32_e32 vcc_lo, 0, v2
	v_sub_nc_u32_e32 v7, 0x3f1, v6
	v_add_nc_u32_e32 v6, 0xfffffc10, v6
	v_cndmask_b32_e64 v2, 0, 1, vcc_lo
	v_and_or_b32 v2, 0xffe, v3, v2
	v_med3_i32 v3, v7, 0, 13
	v_or_b32_e32 v7, 0x1000, v2
	v_lshrrev_b32_e32 v8, v3, v7
	v_lshlrev_b32_e32 v3, v3, v8
	v_cmp_ne_u32_e32 vcc_lo, v3, v7
	v_lshl_or_b32 v7, v6, 12, v2
	v_cndmask_b32_e64 v3, 0, 1, vcc_lo
	v_cmp_gt_i32_e32 vcc_lo, 1, v6
	v_or_b32_e32 v3, v8, v3
	v_cndmask_b32_e32 v3, v7, v3, vcc_lo
	v_and_b32_e32 v7, 7, v3
	v_lshrrev_b32_e32 v3, 2, v3
	v_cmp_lt_i32_e32 vcc_lo, 5, v7
	v_cndmask_b32_e64 v8, 0, 1, vcc_lo
	v_cmp_eq_u32_e32 vcc_lo, 3, v7
	v_cndmask_b32_e64 v7, 0, 1, vcc_lo
	v_cmp_ne_u32_e32 vcc_lo, 0, v2
	v_or_b32_e32 v7, v7, v8
	v_mov_b32_e32 v8, 0x7e00
	v_add_nc_u32_e32 v3, v3, v7
	v_cndmask_b32_e32 v2, 0x7c00, v8, vcc_lo
	v_cmp_gt_i32_e32 vcc_lo, 31, v6
	v_cndmask_b32_e32 v3, 0x7c00, v3, vcc_lo
	v_cmp_eq_u32_e32 vcc_lo, 0x40f, v6
	v_cndmask_b32_e32 v2, v3, v2, vcc_lo
	v_lshrrev_b32_e32 v3, 16, v1
	v_and_or_b32 v2, 0x8000, v3, v2
	global_store_short v[4:5], v2, off
.LBB6_122:
	s_mov_b32 s16, 0
.LBB6_123:
	s_andn2_b32 vcc_lo, exec_lo, s16
	s_cbranch_vccnz .LBB6_139
; %bb.124:
	s_cmp_lt_i32 s7, 2
	s_mov_b32 s16, -1
	s_cbranch_scc1 .LBB6_134
; %bb.125:
	s_cmp_lt_i32 s7, 3
	s_cbranch_scc1 .LBB6_131
; %bb.126:
	s_cmp_gt_i32 s7, 3
	s_cbranch_scc0 .LBB6_128
; %bb.127:
	v_trunc_f64_e32 v[2:3], v[0:1]
	s_mov_b32 s16, 0
	v_ldexp_f64 v[6:7], v[2:3], 0xffffffe0
	v_floor_f64_e32 v[6:7], v[6:7]
	v_fma_f64 v[2:3], 0xc1f00000, v[6:7], v[2:3]
	v_cvt_i32_f64_e32 v7, v[6:7]
	v_cvt_u32_f64_e32 v6, v[2:3]
	global_store_dwordx2 v[4:5], v[6:7], off
.LBB6_128:
	s_andn2_b32 vcc_lo, exec_lo, s16
	s_cbranch_vccnz .LBB6_130
; %bb.129:
	v_cvt_i32_f64_e32 v2, v[0:1]
	global_store_dword v[4:5], v2, off
.LBB6_130:
	s_mov_b32 s16, 0
.LBB6_131:
	s_andn2_b32 vcc_lo, exec_lo, s16
	s_cbranch_vccnz .LBB6_133
; %bb.132:
	v_cvt_i32_f64_e32 v2, v[0:1]
	global_store_short v[4:5], v2, off
.LBB6_133:
	s_mov_b32 s16, 0
.LBB6_134:
	s_andn2_b32 vcc_lo, exec_lo, s16
	s_cbranch_vccnz .LBB6_139
; %bb.135:
	s_cmp_gt_i32 s7, 0
	s_mov_b32 s7, -1
	s_cbranch_scc0 .LBB6_137
; %bb.136:
	v_cvt_i32_f64_e32 v2, v[0:1]
	s_mov_b32 s7, 0
	global_store_byte v[4:5], v2, off
.LBB6_137:
	s_andn2_b32 vcc_lo, exec_lo, s7
	s_cbranch_vccnz .LBB6_139
; %bb.138:
	v_trunc_f64_e32 v[0:1], v[0:1]
	v_ldexp_f64 v[2:3], v[0:1], 0xffffffe0
	v_floor_f64_e32 v[2:3], v[2:3]
	v_fma_f64 v[0:1], 0xc1f00000, v[2:3], v[0:1]
	v_cvt_u32_f64_e32 v0, v[0:1]
	global_store_byte v[4:5], v0, off
.LBB6_139:
.LBB6_140:
	v_add_nc_u32_e32 v10, 0x80, v10
	s_mov_b32 s16, -1
	s_branch .LBB6_251
.LBB6_141:
	s_mov_b32 s13, -1
                                        ; implicit-def: $vgpr2_vgpr3
.LBB6_142:
	s_mov_b32 s16, 0
.LBB6_143:
	s_and_b32 vcc_lo, exec_lo, s16
	s_cbranch_vccz .LBB6_147
; %bb.144:
	s_cmp_eq_u32 s0, 29
	s_cbranch_scc0 .LBB6_146
; %bb.145:
	global_load_dwordx2 v[2:3], v[0:1], off
	s_mov_b32 s7, -1
	s_mov_b32 s13, 0
	s_mov_b32 s16, 0
	s_waitcnt vmcnt(0)
	v_cvt_f64_u32_e32 v[3:4], v3
	v_cvt_f64_u32_e32 v[5:6], v2
	v_ldexp_f64 v[3:4], v[3:4], 32
	v_add_f64 v[2:3], v[3:4], v[5:6]
	s_branch .LBB6_148
.LBB6_146:
	s_mov_b32 s13, -1
                                        ; implicit-def: $vgpr2_vgpr3
.LBB6_147:
	s_mov_b32 s16, 0
.LBB6_148:
	s_and_b32 vcc_lo, exec_lo, s16
	s_cbranch_vccz .LBB6_168
; %bb.149:
	s_cmp_lt_i32 s0, 27
	s_cbranch_scc1 .LBB6_152
; %bb.150:
	s_cmp_gt_i32 s0, 27
	s_cbranch_scc0 .LBB6_153
; %bb.151:
	global_load_dword v2, v[0:1], off
	s_mov_b32 s7, 0
	s_waitcnt vmcnt(0)
	v_cvt_f64_u32_e32 v[2:3], v2
	s_branch .LBB6_154
.LBB6_152:
	s_mov_b32 s7, -1
                                        ; implicit-def: $vgpr2_vgpr3
	s_branch .LBB6_157
.LBB6_153:
	s_mov_b32 s7, -1
                                        ; implicit-def: $vgpr2_vgpr3
.LBB6_154:
	s_andn2_b32 vcc_lo, exec_lo, s7
	s_cbranch_vccnz .LBB6_156
; %bb.155:
	global_load_ushort v2, v[0:1], off
	s_waitcnt vmcnt(0)
	v_cvt_f64_u32_e32 v[2:3], v2
.LBB6_156:
	s_mov_b32 s7, 0
.LBB6_157:
	s_andn2_b32 vcc_lo, exec_lo, s7
	s_cbranch_vccnz .LBB6_167
; %bb.158:
	global_load_ubyte v4, v[0:1], off
	s_mov_b32 s7, 0
	s_mov_b32 s16, exec_lo
	s_waitcnt vmcnt(0)
	v_cmpx_lt_i16_e32 0x7f, v4
	s_xor_b32 s16, exec_lo, s16
	s_cbranch_execz .LBB6_162
; %bb.159:
	s_mov_b32 s7, -1
	s_mov_b32 s17, exec_lo
	v_cmpx_eq_u16_e32 0x80, v4
; %bb.160:
	s_xor_b32 s7, exec_lo, -1
; %bb.161:
	s_or_b32 exec_lo, exec_lo, s17
	s_and_b32 s7, s7, exec_lo
.LBB6_162:
	s_or_saveexec_b32 s16, s16
	v_bfrev_b32_e32 v2, 4
	v_mov_b32_e32 v3, 0x7ff80000
	s_xor_b32 exec_lo, exec_lo, s16
; %bb.163:
	v_cmp_ne_u16_e32 vcc_lo, 0, v4
	v_mov_b32_e32 v2, 0
	v_mov_b32_e32 v3, 0
	s_andn2_b32 s7, s7, exec_lo
	s_and_b32 s17, vcc_lo, exec_lo
	s_or_b32 s7, s7, s17
; %bb.164:
	s_or_b32 exec_lo, exec_lo, s16
	s_and_saveexec_b32 s16, s7
	s_cbranch_execz .LBB6_166
; %bb.165:
	v_and_b32_e32 v2, 0xffff, v4
	v_lshlrev_b32_e32 v4, 24, v4
	v_and_b32_e32 v3, 7, v2
	v_bfe_u32 v7, v2, 3, 4
	v_ffbh_u32_e32 v5, v3
	v_cmp_eq_u32_e32 vcc_lo, 0, v7
	v_min_u32_e32 v5, 32, v5
	v_subrev_nc_u32_e32 v6, 28, v5
	v_sub_nc_u32_e32 v5, 29, v5
	v_lshlrev_b32_e32 v2, v6, v2
	v_cndmask_b32_e32 v5, v7, v5, vcc_lo
	v_and_b32_e32 v2, 7, v2
	v_cndmask_b32_e32 v2, v3, v2, vcc_lo
	v_and_b32_e32 v3, 0x80000000, v4
	v_lshl_add_u32 v4, v5, 23, 0x3b800000
	v_lshlrev_b32_e32 v2, 20, v2
	v_or3_b32 v2, v3, v4, v2
	v_cvt_f64_f32_e32 v[2:3], v2
.LBB6_166:
	s_or_b32 exec_lo, exec_lo, s16
.LBB6_167:
	s_mov_b32 s7, -1
.LBB6_168:
	s_branch .LBB6_201
.LBB6_169:
	s_cmp_gt_i32 s0, 22
	s_cbranch_scc0 .LBB6_181
; %bb.170:
	s_cmp_lt_i32 s0, 24
	s_cbranch_scc1 .LBB6_182
; %bb.171:
	s_cmp_gt_i32 s0, 24
	s_cbranch_scc0 .LBB6_183
; %bb.172:
	global_load_ubyte v4, v[0:1], off
	s_mov_b32 s7, 0
	s_mov_b32 s16, exec_lo
	s_waitcnt vmcnt(0)
	v_cmpx_lt_i16_e32 0x7f, v4
	s_xor_b32 s16, exec_lo, s16
	s_cbranch_execz .LBB6_176
; %bb.173:
	s_mov_b32 s7, -1
	s_mov_b32 s17, exec_lo
	v_cmpx_eq_u16_e32 0x80, v4
; %bb.174:
	s_xor_b32 s7, exec_lo, -1
; %bb.175:
	s_or_b32 exec_lo, exec_lo, s17
	s_and_b32 s7, s7, exec_lo
.LBB6_176:
	s_or_saveexec_b32 s16, s16
	v_bfrev_b32_e32 v2, 4
	v_mov_b32_e32 v3, 0x7ff80000
	s_xor_b32 exec_lo, exec_lo, s16
; %bb.177:
	v_cmp_ne_u16_e32 vcc_lo, 0, v4
	v_mov_b32_e32 v2, 0
	v_mov_b32_e32 v3, 0
	s_andn2_b32 s7, s7, exec_lo
	s_and_b32 s17, vcc_lo, exec_lo
	s_or_b32 s7, s7, s17
; %bb.178:
	s_or_b32 exec_lo, exec_lo, s16
	s_and_saveexec_b32 s16, s7
	s_cbranch_execz .LBB6_180
; %bb.179:
	v_and_b32_e32 v2, 0xffff, v4
	v_lshlrev_b32_e32 v4, 24, v4
	v_and_b32_e32 v3, 3, v2
	v_bfe_u32 v7, v2, 2, 5
	v_ffbh_u32_e32 v5, v3
	v_cmp_eq_u32_e32 vcc_lo, 0, v7
	v_min_u32_e32 v5, 32, v5
	v_subrev_nc_u32_e32 v6, 29, v5
	v_sub_nc_u32_e32 v5, 30, v5
	v_lshlrev_b32_e32 v2, v6, v2
	v_cndmask_b32_e32 v5, v7, v5, vcc_lo
	v_and_b32_e32 v2, 3, v2
	v_cndmask_b32_e32 v2, v3, v2, vcc_lo
	v_and_b32_e32 v3, 0x80000000, v4
	v_lshl_add_u32 v4, v5, 23, 0x37800000
	v_lshlrev_b32_e32 v2, 21, v2
	v_or3_b32 v2, v3, v4, v2
	v_cvt_f64_f32_e32 v[2:3], v2
.LBB6_180:
	s_or_b32 exec_lo, exec_lo, s16
	s_mov_b32 s7, 0
	s_branch .LBB6_184
.LBB6_181:
	s_mov_b32 s16, -1
                                        ; implicit-def: $vgpr2_vgpr3
	s_branch .LBB6_190
.LBB6_182:
	s_mov_b32 s7, -1
                                        ; implicit-def: $vgpr2_vgpr3
	s_branch .LBB6_187
.LBB6_183:
	s_mov_b32 s7, -1
                                        ; implicit-def: $vgpr2_vgpr3
.LBB6_184:
	s_and_b32 vcc_lo, exec_lo, s7
	s_cbranch_vccz .LBB6_186
; %bb.185:
	global_load_ubyte v2, v[0:1], off
	s_waitcnt vmcnt(0)
	v_lshlrev_b32_e32 v2, 24, v2
	v_and_b32_e32 v3, 0x7f000000, v2
	v_ffbh_u32_e32 v4, v3
	v_add_nc_u32_e32 v6, 0x1000000, v3
	v_cmp_ne_u32_e32 vcc_lo, 0, v3
	v_min_u32_e32 v4, 32, v4
	v_sub_nc_u32_e64 v4, v4, 4 clamp
	v_lshlrev_b32_e32 v5, v4, v3
	v_lshlrev_b32_e32 v4, 23, v4
	v_lshrrev_b32_e32 v5, 4, v5
	v_sub_nc_u32_e32 v4, v5, v4
	v_ashrrev_i32_e32 v5, 8, v6
	v_add_nc_u32_e32 v4, 0x3c000000, v4
	v_and_or_b32 v4, 0x7f800000, v5, v4
	v_cndmask_b32_e32 v3, 0, v4, vcc_lo
	v_and_or_b32 v2, 0x80000000, v2, v3
	v_cvt_f64_f32_e32 v[2:3], v2
.LBB6_186:
	s_mov_b32 s7, 0
.LBB6_187:
	s_andn2_b32 vcc_lo, exec_lo, s7
	s_cbranch_vccnz .LBB6_189
; %bb.188:
	global_load_ubyte v2, v[0:1], off
	s_waitcnt vmcnt(0)
	v_lshlrev_b32_e32 v3, 25, v2
	v_lshlrev_b16 v2, 8, v2
	v_lshrrev_b32_e32 v4, 4, v3
	v_and_or_b32 v5, 0x7f00, v2, 0.5
	v_cmp_gt_u32_e32 vcc_lo, 0x8000000, v3
	v_bfe_i32 v2, v2, 0, 16
	v_or_b32_e32 v4, 0x70000000, v4
	v_add_f32_e32 v5, -0.5, v5
	v_mul_f32_e32 v4, 0x7800000, v4
	v_cndmask_b32_e32 v3, v4, v5, vcc_lo
	v_and_or_b32 v2, 0x80000000, v2, v3
	v_cvt_f64_f32_e32 v[2:3], v2
.LBB6_189:
	s_mov_b32 s16, 0
	s_mov_b32 s7, -1
.LBB6_190:
	s_andn2_b32 vcc_lo, exec_lo, s16
	s_cbranch_vccnz .LBB6_201
; %bb.191:
	s_cmp_gt_i32 s0, 14
	s_cbranch_scc0 .LBB6_194
; %bb.192:
	s_cmp_eq_u32 s0, 15
	s_cbranch_scc0 .LBB6_195
; %bb.193:
	global_load_ushort v2, v[0:1], off
	s_mov_b32 s7, -1
	s_mov_b32 s13, 0
	s_waitcnt vmcnt(0)
	v_lshlrev_b32_e32 v2, 16, v2
	v_cvt_f64_f32_e32 v[2:3], v2
	s_branch .LBB6_196
.LBB6_194:
	s_mov_b32 s16, -1
                                        ; implicit-def: $vgpr2_vgpr3
	s_branch .LBB6_197
.LBB6_195:
	s_mov_b32 s13, -1
                                        ; implicit-def: $vgpr2_vgpr3
.LBB6_196:
	s_mov_b32 s16, 0
.LBB6_197:
	s_and_b32 vcc_lo, exec_lo, s16
	s_cbranch_vccz .LBB6_201
; %bb.198:
	s_cmp_eq_u32 s0, 11
	s_cbranch_scc0 .LBB6_200
; %bb.199:
	global_load_ubyte v2, v[0:1], off
	s_mov_b32 s13, 0
	s_mov_b32 s7, -1
	s_waitcnt vmcnt(0)
	v_cmp_ne_u16_e32 vcc_lo, 0, v2
	v_mov_b32_e32 v2, 0
	v_cndmask_b32_e64 v3, 0, 0x3ff00000, vcc_lo
	s_branch .LBB6_201
.LBB6_200:
	s_mov_b32 s13, -1
                                        ; implicit-def: $vgpr2_vgpr3
.LBB6_201:
	s_branch .LBB6_10
.LBB6_202:
	s_cmp_lt_i32 s0, 5
	s_cbranch_scc1 .LBB6_207
; %bb.203:
	s_cmp_lt_i32 s0, 8
	s_cbranch_scc1 .LBB6_208
; %bb.204:
	;; [unrolled: 3-line block ×3, first 2 shown]
	s_cmp_gt_i32 s0, 9
	s_cbranch_scc0 .LBB6_210
; %bb.206:
	global_load_dwordx2 v[2:3], v[0:1], off
	s_mov_b32 s7, 0
	s_branch .LBB6_211
.LBB6_207:
                                        ; implicit-def: $vgpr2_vgpr3
	s_branch .LBB6_229
.LBB6_208:
	s_mov_b32 s7, -1
                                        ; implicit-def: $vgpr2_vgpr3
	s_branch .LBB6_217
.LBB6_209:
	s_mov_b32 s7, -1
                                        ; implicit-def: $vgpr2_vgpr3
	s_branch .LBB6_214
.LBB6_210:
	s_mov_b32 s7, -1
                                        ; implicit-def: $vgpr2_vgpr3
.LBB6_211:
	s_andn2_b32 vcc_lo, exec_lo, s7
	s_cbranch_vccnz .LBB6_213
; %bb.212:
	global_load_dword v2, v[0:1], off
	s_waitcnt vmcnt(0)
	v_cvt_f64_f32_e32 v[2:3], v2
.LBB6_213:
	s_mov_b32 s7, 0
.LBB6_214:
	s_andn2_b32 vcc_lo, exec_lo, s7
	s_cbranch_vccnz .LBB6_216
; %bb.215:
	global_load_dword v2, v[0:1], off
	s_waitcnt vmcnt(0)
	v_cvt_f32_f16_e32 v2, v2
	v_cvt_f64_f32_e32 v[2:3], v2
.LBB6_216:
	s_mov_b32 s7, 0
.LBB6_217:
	s_andn2_b32 vcc_lo, exec_lo, s7
	s_cbranch_vccnz .LBB6_228
; %bb.218:
	s_cmp_lt_i32 s0, 6
	s_cbranch_scc1 .LBB6_221
; %bb.219:
	s_cmp_gt_i32 s0, 6
	s_cbranch_scc0 .LBB6_222
; %bb.220:
	global_load_dwordx2 v[2:3], v[0:1], off
	s_mov_b32 s7, 0
	s_branch .LBB6_223
.LBB6_221:
	s_mov_b32 s7, -1
                                        ; implicit-def: $vgpr2_vgpr3
	s_branch .LBB6_226
.LBB6_222:
	s_mov_b32 s7, -1
                                        ; implicit-def: $vgpr2_vgpr3
.LBB6_223:
	s_andn2_b32 vcc_lo, exec_lo, s7
	s_cbranch_vccnz .LBB6_225
; %bb.224:
	global_load_dword v2, v[0:1], off
	s_waitcnt vmcnt(0)
	v_cvt_f64_f32_e32 v[2:3], v2
.LBB6_225:
	s_mov_b32 s7, 0
.LBB6_226:
	s_andn2_b32 vcc_lo, exec_lo, s7
	s_cbranch_vccnz .LBB6_228
; %bb.227:
	global_load_ushort v2, v[0:1], off
	s_waitcnt vmcnt(0)
	v_cvt_f32_f16_e32 v2, v2
	v_cvt_f64_f32_e32 v[2:3], v2
.LBB6_228:
	s_cbranch_execnz .LBB6_248
.LBB6_229:
	s_cmp_lt_i32 s0, 2
	s_cbranch_scc1 .LBB6_233
; %bb.230:
	s_cmp_lt_i32 s0, 3
	s_cbranch_scc1 .LBB6_234
; %bb.231:
	s_cmp_gt_i32 s0, 3
	s_cbranch_scc0 .LBB6_235
; %bb.232:
	global_load_dwordx2 v[2:3], v[0:1], off
	s_mov_b32 s7, 0
	s_waitcnt vmcnt(0)
	v_cvt_f64_i32_e32 v[3:4], v3
	v_cvt_f64_u32_e32 v[5:6], v2
	v_ldexp_f64 v[3:4], v[3:4], 32
	v_add_f64 v[2:3], v[3:4], v[5:6]
	s_branch .LBB6_236
.LBB6_233:
	s_mov_b32 s7, -1
                                        ; implicit-def: $vgpr2_vgpr3
	s_branch .LBB6_242
.LBB6_234:
	s_mov_b32 s7, -1
                                        ; implicit-def: $vgpr2_vgpr3
	s_branch .LBB6_239
.LBB6_235:
	s_mov_b32 s7, -1
                                        ; implicit-def: $vgpr2_vgpr3
.LBB6_236:
	s_andn2_b32 vcc_lo, exec_lo, s7
	s_cbranch_vccnz .LBB6_238
; %bb.237:
	global_load_dword v2, v[0:1], off
	s_waitcnt vmcnt(0)
	v_cvt_f64_i32_e32 v[2:3], v2
.LBB6_238:
	s_mov_b32 s7, 0
.LBB6_239:
	s_andn2_b32 vcc_lo, exec_lo, s7
	s_cbranch_vccnz .LBB6_241
; %bb.240:
	global_load_sshort v2, v[0:1], off
	s_waitcnt vmcnt(0)
	v_cvt_f64_i32_e32 v[2:3], v2
.LBB6_241:
	s_mov_b32 s7, 0
.LBB6_242:
	s_andn2_b32 vcc_lo, exec_lo, s7
	s_cbranch_vccnz .LBB6_248
; %bb.243:
	s_cmp_gt_i32 s0, 0
	s_mov_b32 s0, 0
	s_cbranch_scc0 .LBB6_245
; %bb.244:
	global_load_sbyte v2, v[0:1], off
	s_waitcnt vmcnt(0)
	v_cvt_f64_i32_e32 v[2:3], v2
	s_branch .LBB6_246
.LBB6_245:
	s_mov_b32 s0, -1
                                        ; implicit-def: $vgpr2_vgpr3
.LBB6_246:
	s_andn2_b32 vcc_lo, exec_lo, s0
	s_cbranch_vccnz .LBB6_248
; %bb.247:
	global_load_ubyte v0, v[0:1], off
	s_waitcnt vmcnt(0)
	v_cvt_f64_u32_e32 v[2:3], v0
.LBB6_248:
	s_branch .LBB6_11
.LBB6_249:
	s_mov_b32 s0, 0
.LBB6_250:
	s_mov_b32 s16, 0
                                        ; implicit-def: $vgpr10
.LBB6_251:
	s_and_b32 s7, s0, exec_lo
	s_and_b32 s13, s13, exec_lo
	s_orn2_b32 s17, s16, exec_lo
.LBB6_252:
	s_or_b32 exec_lo, exec_lo, s14
	s_mov_b32 s16, 0
	s_mov_b32 s0, 0
                                        ; implicit-def: $vgpr0_vgpr1
                                        ; implicit-def: $vgpr2_vgpr3
	s_and_saveexec_b32 s14, s17
	s_cbranch_execz .LBB6_261
; %bb.253:
	s_mov_b32 s0, -1
	s_mov_b32 s15, s13
	s_mov_b32 s16, s7
	s_mov_b32 s17, exec_lo
	v_cmpx_gt_i32_e64 s12, v10
	s_cbranch_execz .LBB6_515
; %bb.254:
	v_mul_lo_u32 v0, v10, s3
	s_and_b32 s0, 0xffff, s5
	s_cmp_lt_i32 s0, 11
	v_ashrrev_i32_e32 v1, 31, v0
	v_add_co_u32 v0, vcc_lo, s10, v0
	v_add_co_ci_u32_e64 v1, null, s11, v1, vcc_lo
	s_cbranch_scc1 .LBB6_264
; %bb.255:
	s_cmp_gt_i32 s0, 25
	s_cbranch_scc0 .LBB6_273
; %bb.256:
	s_cmp_gt_i32 s0, 28
	s_cbranch_scc0 .LBB6_275
	;; [unrolled: 3-line block ×4, first 2 shown]
; %bb.259:
	s_cmp_eq_u32 s0, 46
	s_mov_b32 s18, 0
	s_cbranch_scc0 .LBB6_285
; %bb.260:
	global_load_dword v2, v[0:1], off
	s_mov_b32 s16, -1
	s_mov_b32 s15, 0
	s_waitcnt vmcnt(0)
	v_lshlrev_b32_e32 v2, 16, v2
	v_cvt_f64_f32_e32 v[2:3], v2
	s_branch .LBB6_287
.LBB6_261:
	s_or_b32 exec_lo, exec_lo, s14
	s_mov_b32 s12, 0
	s_and_saveexec_b32 s14, s13
	s_cbranch_execnz .LBB6_863
.LBB6_262:
	s_or_b32 exec_lo, exec_lo, s14
	s_and_saveexec_b32 s13, s15
	s_xor_b32 s13, exec_lo, s13
	s_cbranch_execz .LBB6_864
.LBB6_263:
	global_load_ubyte v2, v[0:1], off
	s_or_b32 s0, s0, exec_lo
	s_waitcnt vmcnt(0)
	v_cmp_ne_u16_e32 vcc_lo, 0, v2
	v_mov_b32_e32 v2, 0
	v_cndmask_b32_e64 v3, 0, 0x3ff00000, vcc_lo
	s_or_b32 exec_lo, exec_lo, s13
	s_and_saveexec_b32 s13, s16
	s_cbranch_execz .LBB6_910
	s_branch .LBB6_865
.LBB6_264:
	s_mov_b32 s16, 0
	s_mov_b32 s15, s13
                                        ; implicit-def: $vgpr2_vgpr3
	s_cbranch_execnz .LBB6_464
.LBB6_265:
	s_andn2_b32 vcc_lo, exec_lo, s16
	s_cbranch_vccnz .LBB6_512
.LBB6_266:
	s_waitcnt vmcnt(0)
	v_and_b32_e32 v1, 0x7fffffff, v3
	v_mov_b32_e32 v0, v2
	s_mov_b32 s18, 0xbd3237f4
	s_mov_b32 s20, 0xb5e68a13
	;; [unrolled: 1-line block ×4, first 2 shown]
	v_div_scale_f64 v[4:5], null, v[0:1], v[0:1], 1.0
	v_div_scale_f64 v[11:12], vcc_lo, 1.0, v[0:1], 1.0
	s_and_b32 s16, s1, 0xff
	s_cmp_lt_i32 s16, 11
	v_rcp_f64_e32 v[6:7], v[4:5]
	v_fma_f64 v[8:9], -v[4:5], v[6:7], 1.0
	v_fma_f64 v[6:7], v[6:7], v[8:9], v[6:7]
	v_fma_f64 v[8:9], -v[4:5], v[6:7], 1.0
	v_fma_f64 v[6:7], v[6:7], v[8:9], v[6:7]
	v_mul_f64 v[8:9], v[11:12], v[6:7]
	v_fma_f64 v[4:5], -v[4:5], v[8:9], v[11:12]
	v_div_fmas_f64 v[4:5], v[4:5], v[6:7], v[8:9]
	v_cmp_gt_f64_e64 vcc_lo, |v[2:3]|, 1.0
	v_div_fixup_f64 v[4:5], v[4:5], |v[2:3]|, 1.0
	v_cndmask_b32_e32 v1, v1, v5, vcc_lo
	v_cndmask_b32_e32 v0, v2, v4, vcc_lo
	v_mul_lo_u32 v2, v10, s2
	v_mul_f64 v[4:5], v[0:1], v[0:1]
	v_fma_f64 v[6:7], v[4:5], s[20:21], s[18:19]
	s_mov_b32 s18, 0x69efb384
	s_mov_b32 s19, 0x3f4b2bb0
	;; [unrolled: 1-line block ×4, first 2 shown]
	v_fma_f64 v[6:7], v[4:5], v[6:7], s[18:19]
	s_mov_b32 s18, 0xaf56de9b
	s_mov_b32 s19, 0xbf67952d
	v_fma_f64 v[6:7], v[4:5], v[6:7], s[18:19]
	s_mov_b32 s18, 0xa595c56f
	s_mov_b32 s19, 0x3f7d6d43
	;; [unrolled: 3-line block ×18, first 2 shown]
	v_mul_f64 v[4:5], v[4:5], v[6:7]
	v_fma_f64 v[0:1], v[0:1], v[4:5], v[0:1]
	v_ashrrev_i32_e32 v5, 31, v2
	v_add_co_u32 v4, s0, s8, v2
	v_add_co_ci_u32_e64 v5, null, s9, v5, s0
	v_fma_f64 v[6:7], s[20:21], s[18:19], -v[0:1]
	v_cndmask_b32_e32 v1, v1, v7, vcc_lo
	v_cndmask_b32_e32 v0, v0, v6, vcc_lo
	v_bfi_b32 v1, 0x7fffffff, v1, v3
	s_cbranch_scc1 .LBB6_274
; %bb.267:
	s_and_b32 s18, 0xffff, s16
	s_cmp_gt_i32 s18, 25
	s_cbranch_scc0 .LBB6_276
; %bb.268:
	s_cmp_gt_i32 s18, 28
	s_cbranch_scc0 .LBB6_278
; %bb.269:
	;; [unrolled: 3-line block ×4, first 2 shown]
	s_mov_b32 s20, 0
	s_mov_b32 s0, -1
	s_cmp_eq_u32 s18, 46
	s_mov_b32 s19, 0
	s_cbranch_scc0 .LBB6_291
; %bb.272:
	v_cvt_f32_f64_e32 v2, v[0:1]
	s_mov_b32 s19, -1
	s_mov_b32 s0, 0
	v_bfe_u32 v3, v2, 16, 1
	v_cmp_o_f32_e32 vcc_lo, v2, v2
	v_add3_u32 v2, v2, v3, 0x7fff
	v_mov_b32_e32 v3, 0x7fc0
	v_cndmask_b32_sdwa v2, v3, v2, vcc_lo dst_sel:DWORD dst_unused:UNUSED_PAD src0_sel:DWORD src1_sel:WORD_1
	global_store_dword v[4:5], v2, off
	s_branch .LBB6_291
.LBB6_273:
	s_mov_b32 s18, -1
	s_mov_b32 s16, 0
	s_mov_b32 s15, s13
                                        ; implicit-def: $vgpr2_vgpr3
	s_branch .LBB6_430
.LBB6_274:
	s_mov_b32 s18, -1
	s_mov_b32 s19, 0
	s_mov_b32 s0, s7
	s_branch .LBB6_360
.LBB6_275:
	s_mov_b32 s18, -1
	s_mov_b32 s16, 0
	s_mov_b32 s15, s13
                                        ; implicit-def: $vgpr2_vgpr3
	s_branch .LBB6_409
.LBB6_276:
	s_mov_b32 s20, -1
	s_mov_b32 s19, 0
	s_mov_b32 s0, s7
	s_branch .LBB6_318
.LBB6_277:
	s_mov_b32 s18, -1
	s_mov_b32 s16, 0
	s_mov_b32 s15, s13
                                        ; implicit-def: $vgpr2_vgpr3
	s_branch .LBB6_404
.LBB6_278:
	s_mov_b32 s20, -1
	s_mov_b32 s19, 0
	s_mov_b32 s0, s7
	s_branch .LBB6_301
.LBB6_279:
	s_andn2_saveexec_b32 s19, s19
	s_cbranch_execz .LBB6_54
.LBB6_280:
	v_add_f32_e64 v3, 0x46000000, |v2|
	s_andn2_b32 s18, s18, exec_lo
	v_and_b32_e32 v3, 0xff, v3
	v_cmp_ne_u32_e32 vcc_lo, 0, v3
	s_and_b32 s20, vcc_lo, exec_lo
	s_or_b32 s18, s18, s20
	s_or_b32 exec_lo, exec_lo, s19
	v_mov_b32_e32 v6, 0
	s_and_saveexec_b32 s19, s18
	s_cbranch_execnz .LBB6_55
	s_branch .LBB6_56
.LBB6_281:
	s_mov_b32 s18, -1
	s_mov_b32 s16, 0
	s_mov_b32 s15, s13
	s_branch .LBB6_286
.LBB6_282:
	s_mov_b32 s20, -1
	s_mov_b32 s19, 0
	s_mov_b32 s0, s7
	s_branch .LBB6_297
.LBB6_283:
	s_andn2_saveexec_b32 s19, s19
	s_cbranch_execz .LBB6_67
.LBB6_284:
	v_add_f32_e64 v3, 0x42800000, |v2|
	s_andn2_b32 s18, s18, exec_lo
	v_and_b32_e32 v3, 0xff, v3
	v_cmp_ne_u32_e32 vcc_lo, 0, v3
	s_and_b32 s20, vcc_lo, exec_lo
	s_or_b32 s18, s18, s20
	s_or_b32 exec_lo, exec_lo, s19
	v_mov_b32_e32 v6, 0
	s_and_saveexec_b32 s19, s18
	s_cbranch_execnz .LBB6_68
	s_branch .LBB6_69
.LBB6_285:
	s_mov_b32 s15, -1
	s_mov_b32 s16, 0
.LBB6_286:
                                        ; implicit-def: $vgpr2_vgpr3
.LBB6_287:
	s_and_b32 vcc_lo, exec_lo, s18
	s_cbranch_vccz .LBB6_403
; %bb.288:
	s_cmp_eq_u32 s0, 44
	s_cbranch_scc0 .LBB6_402
; %bb.289:
	global_load_ubyte v4, v[0:1], off
	s_mov_b32 s15, 0
	s_mov_b32 s16, -1
	s_waitcnt vmcnt(0)
	v_lshlrev_b32_e32 v2, 23, v4
	v_cmp_ne_u32_e32 vcc_lo, 0xff, v4
	v_cvt_f64_f32_e32 v[2:3], v2
	v_cndmask_b32_e32 v2, 0x20000000, v2, vcc_lo
	v_cndmask_b32_e32 v3, 0x7ff80000, v3, vcc_lo
	v_cmp_ne_u32_e32 vcc_lo, 0, v4
	v_cndmask_b32_e32 v3, 0x38000000, v3, vcc_lo
	v_cndmask_b32_e32 v2, 0, v2, vcc_lo
	s_branch .LBB6_403
.LBB6_290:
	s_mov_b32 s20, -1
	s_mov_b32 s19, 0
	s_mov_b32 s0, s7
.LBB6_291:
	s_and_b32 vcc_lo, exec_lo, s20
	s_cbranch_vccz .LBB6_296
; %bb.292:
	s_cmp_eq_u32 s18, 44
	s_mov_b32 s0, -1
	s_cbranch_scc0 .LBB6_296
; %bb.293:
	v_cvt_f32_f64_e32 v2, v[0:1]
	v_mov_b32_e32 v3, 0xff
	s_mov_b32 s19, exec_lo
	v_bfe_u32 v6, v2, 23, 8
	v_cmpx_ne_u32_e32 0xff, v6
	s_cbranch_execz .LBB6_295
; %bb.294:
	v_and_b32_e32 v3, 0x400000, v2
	v_and_or_b32 v6, 0x3fffff, v2, v6
	v_lshrrev_b32_e32 v2, 23, v2
	v_cmp_ne_u32_e32 vcc_lo, 0, v3
	v_cmp_ne_u32_e64 s0, 0, v6
	s_and_b32 s0, vcc_lo, s0
	v_cndmask_b32_e64 v3, 0, 1, s0
	v_add_nc_u32_e32 v3, v2, v3
.LBB6_295:
	s_or_b32 exec_lo, exec_lo, s19
	s_mov_b32 s19, -1
	s_mov_b32 s0, 0
	global_store_byte v[4:5], v3, off
.LBB6_296:
	s_mov_b32 s20, 0
.LBB6_297:
	s_and_b32 vcc_lo, exec_lo, s20
	s_cbranch_vccz .LBB6_300
; %bb.298:
	s_cmp_eq_u32 s18, 29
	s_mov_b32 s0, -1
	s_cbranch_scc0 .LBB6_300
; %bb.299:
	v_trunc_f64_e32 v[2:3], v[0:1]
	s_mov_b32 s19, -1
	s_mov_b32 s0, 0
	s_mov_b32 s20, 0
	v_ldexp_f64 v[6:7], v[2:3], 0xffffffe0
	v_floor_f64_e32 v[6:7], v[6:7]
	v_fma_f64 v[2:3], 0xc1f00000, v[6:7], v[2:3]
	v_cvt_u32_f64_e32 v7, v[6:7]
	v_cvt_u32_f64_e32 v6, v[2:3]
	global_store_dwordx2 v[4:5], v[6:7], off
	s_branch .LBB6_301
.LBB6_300:
	s_mov_b32 s20, 0
.LBB6_301:
	s_and_b32 vcc_lo, exec_lo, s20
	s_cbranch_vccz .LBB6_317
; %bb.302:
	s_cmp_lt_i32 s18, 27
	s_mov_b32 s19, -1
	s_cbranch_scc1 .LBB6_308
; %bb.303:
	v_cvt_u32_f64_e32 v2, v[0:1]
	s_cmp_gt_i32 s18, 27
	s_cbranch_scc0 .LBB6_305
; %bb.304:
	s_mov_b32 s19, 0
	global_store_dword v[4:5], v2, off
.LBB6_305:
	s_andn2_b32 vcc_lo, exec_lo, s19
	s_cbranch_vccnz .LBB6_307
; %bb.306:
	global_store_short v[4:5], v2, off
.LBB6_307:
	s_mov_b32 s19, 0
.LBB6_308:
	s_andn2_b32 vcc_lo, exec_lo, s19
	s_cbranch_vccnz .LBB6_316
; %bb.309:
	v_cvt_f32_f64_e32 v2, v[0:1]
	v_mov_b32_e32 v6, 0x80
	s_mov_b32 s19, exec_lo
	v_and_b32_e32 v3, 0x7fffffff, v2
	v_cmpx_gt_u32_e32 0x43800000, v3
	s_cbranch_execz .LBB6_315
; %bb.310:
	v_cmp_lt_u32_e32 vcc_lo, 0x3bffffff, v3
	s_mov_b32 s20, 0
                                        ; implicit-def: $vgpr3
	s_and_saveexec_b32 s21, vcc_lo
	s_xor_b32 s21, exec_lo, s21
	s_cbranch_execz .LBB6_528
; %bb.311:
	v_bfe_u32 v3, v2, 20, 1
	s_mov_b32 s20, exec_lo
	v_add3_u32 v3, v2, v3, 0x487ffff
	v_lshrrev_b32_e32 v3, 20, v3
	s_andn2_saveexec_b32 s21, s21
	s_cbranch_execnz .LBB6_529
.LBB6_312:
	s_or_b32 exec_lo, exec_lo, s21
	v_mov_b32_e32 v6, 0
	s_and_saveexec_b32 s21, s20
.LBB6_313:
	v_lshrrev_b32_e32 v2, 24, v2
	v_and_or_b32 v6, 0x80, v2, v3
.LBB6_314:
	s_or_b32 exec_lo, exec_lo, s21
.LBB6_315:
	s_or_b32 exec_lo, exec_lo, s19
	global_store_byte v[4:5], v6, off
.LBB6_316:
	s_mov_b32 s19, -1
.LBB6_317:
	s_mov_b32 s20, 0
.LBB6_318:
	s_and_b32 vcc_lo, exec_lo, s20
	s_cbranch_vccz .LBB6_359
; %bb.319:
	s_cmp_gt_i32 s18, 22
	s_mov_b32 s20, -1
	s_cbranch_scc0 .LBB6_351
; %bb.320:
	s_cmp_lt_i32 s18, 24
	s_mov_b32 s19, -1
	s_cbranch_scc1 .LBB6_340
; %bb.321:
	s_cmp_gt_i32 s18, 24
	s_cbranch_scc0 .LBB6_329
; %bb.322:
	v_cvt_f32_f64_e32 v2, v[0:1]
	v_mov_b32_e32 v6, 0x80
	s_mov_b32 s19, exec_lo
	v_and_b32_e32 v3, 0x7fffffff, v2
	v_cmpx_gt_u32_e32 0x47800000, v3
	s_cbranch_execz .LBB6_328
; %bb.323:
	v_cmp_lt_u32_e32 vcc_lo, 0x37ffffff, v3
	s_mov_b32 s20, 0
                                        ; implicit-def: $vgpr3
	s_and_saveexec_b32 s21, vcc_lo
	s_xor_b32 s21, exec_lo, s21
	s_cbranch_execz .LBB6_531
; %bb.324:
	v_bfe_u32 v3, v2, 21, 1
	s_mov_b32 s20, exec_lo
	v_add3_u32 v3, v2, v3, 0x88fffff
	v_lshrrev_b32_e32 v3, 21, v3
	s_andn2_saveexec_b32 s21, s21
	s_cbranch_execnz .LBB6_532
.LBB6_325:
	s_or_b32 exec_lo, exec_lo, s21
	v_mov_b32_e32 v6, 0
	s_and_saveexec_b32 s21, s20
.LBB6_326:
	v_lshrrev_b32_e32 v2, 24, v2
	v_and_or_b32 v6, 0x80, v2, v3
.LBB6_327:
	s_or_b32 exec_lo, exec_lo, s21
.LBB6_328:
	s_or_b32 exec_lo, exec_lo, s19
	s_mov_b32 s19, 0
	global_store_byte v[4:5], v6, off
.LBB6_329:
	s_and_b32 vcc_lo, exec_lo, s19
	s_cbranch_vccz .LBB6_339
; %bb.330:
	v_cvt_f32_f64_e32 v2, v[0:1]
	s_mov_b32 s19, exec_lo
                                        ; implicit-def: $vgpr3
	v_and_b32_e32 v6, 0x7fffffff, v2
	v_cmpx_gt_u32_e32 0x43f00000, v6
	s_xor_b32 s19, exec_lo, s19
	s_cbranch_execz .LBB6_336
; %bb.331:
	s_mov_b32 s20, exec_lo
                                        ; implicit-def: $vgpr3
	v_cmpx_lt_u32_e32 0x3c7fffff, v6
	s_xor_b32 s20, exec_lo, s20
; %bb.332:
	v_bfe_u32 v3, v2, 20, 1
	v_add3_u32 v3, v2, v3, 0x407ffff
	v_and_b32_e32 v6, 0xff00000, v3
	v_lshrrev_b32_e32 v3, 20, v3
	v_cmp_ne_u32_e32 vcc_lo, 0x7f00000, v6
	v_cndmask_b32_e32 v3, 0x7e, v3, vcc_lo
; %bb.333:
	s_andn2_saveexec_b32 s20, s20
; %bb.334:
	v_add_f32_e64 v3, 0x46800000, |v2|
; %bb.335:
	s_or_b32 exec_lo, exec_lo, s20
                                        ; implicit-def: $vgpr6
.LBB6_336:
	s_andn2_saveexec_b32 s19, s19
; %bb.337:
	v_mov_b32_e32 v3, 0x7f
	v_cmp_lt_u32_e32 vcc_lo, 0x7f800000, v6
	v_cndmask_b32_e32 v3, 0x7e, v3, vcc_lo
; %bb.338:
	s_or_b32 exec_lo, exec_lo, s19
	v_lshrrev_b32_e32 v2, 24, v2
	v_and_or_b32 v2, 0x80, v2, v3
	global_store_byte v[4:5], v2, off
.LBB6_339:
	s_mov_b32 s19, 0
.LBB6_340:
	s_andn2_b32 vcc_lo, exec_lo, s19
	s_cbranch_vccnz .LBB6_350
; %bb.341:
	v_cvt_f32_f64_e32 v2, v[0:1]
	s_mov_b32 s19, exec_lo
                                        ; implicit-def: $vgpr3
	v_and_b32_e32 v6, 0x7fffffff, v2
	v_cmpx_gt_u32_e32 0x47800000, v6
	s_xor_b32 s19, exec_lo, s19
	s_cbranch_execz .LBB6_347
; %bb.342:
	s_mov_b32 s20, exec_lo
                                        ; implicit-def: $vgpr3
	v_cmpx_lt_u32_e32 0x387fffff, v6
	s_xor_b32 s20, exec_lo, s20
; %bb.343:
	v_bfe_u32 v3, v2, 21, 1
	v_add3_u32 v3, v2, v3, 0x80fffff
	v_lshrrev_b32_e32 v3, 21, v3
; %bb.344:
	s_andn2_saveexec_b32 s20, s20
; %bb.345:
	v_add_f32_e64 v3, 0x43000000, |v2|
; %bb.346:
	s_or_b32 exec_lo, exec_lo, s20
                                        ; implicit-def: $vgpr6
.LBB6_347:
	s_andn2_saveexec_b32 s19, s19
; %bb.348:
	v_mov_b32_e32 v3, 0x7f
	v_cmp_lt_u32_e32 vcc_lo, 0x7f800000, v6
	v_cndmask_b32_e32 v3, 0x7c, v3, vcc_lo
; %bb.349:
	s_or_b32 exec_lo, exec_lo, s19
	v_lshrrev_b32_e32 v2, 24, v2
	v_and_or_b32 v2, 0x80, v2, v3
	global_store_byte v[4:5], v2, off
.LBB6_350:
	s_mov_b32 s20, 0
	s_mov_b32 s19, -1
.LBB6_351:
	s_andn2_b32 vcc_lo, exec_lo, s20
	s_cbranch_vccnz .LBB6_359
; %bb.352:
	s_cmp_gt_i32 s18, 14
	s_mov_b32 s20, -1
	s_cbranch_scc0 .LBB6_356
; %bb.353:
	s_cmp_eq_u32 s18, 15
	s_mov_b32 s0, -1
	s_cbranch_scc0 .LBB6_355
; %bb.354:
	v_cvt_f32_f64_e32 v2, v[0:1]
	s_mov_b32 s19, -1
	s_mov_b32 s0, 0
	v_bfe_u32 v3, v2, 16, 1
	v_cmp_o_f32_e32 vcc_lo, v2, v2
	v_add3_u32 v2, v2, v3, 0x7fff
	v_mov_b32_e32 v3, 0x7fc0
	v_cndmask_b32_sdwa v2, v3, v2, vcc_lo dst_sel:DWORD dst_unused:UNUSED_PAD src0_sel:DWORD src1_sel:WORD_1
	global_store_short v[4:5], v2, off
.LBB6_355:
	s_mov_b32 s20, 0
.LBB6_356:
	s_and_b32 vcc_lo, exec_lo, s20
	s_cbranch_vccz .LBB6_359
; %bb.357:
	s_cmp_eq_u32 s18, 11
	s_mov_b32 s0, -1
	s_cbranch_scc0 .LBB6_359
; %bb.358:
	v_cmp_neq_f64_e32 vcc_lo, 0, v[0:1]
	s_mov_b32 s19, -1
	s_mov_b32 s0, 0
	v_cndmask_b32_e64 v2, 0, 1, vcc_lo
	global_store_byte v[4:5], v2, off
.LBB6_359:
	s_mov_b32 s18, 0
.LBB6_360:
	s_and_b32 vcc_lo, exec_lo, s18
	s_cbranch_vccz .LBB6_399
; %bb.361:
	s_and_b32 s16, 0xffff, s16
	s_mov_b32 s18, -1
	s_cmp_lt_i32 s16, 5
	s_cbranch_scc1 .LBB6_382
; %bb.362:
	s_cmp_lt_i32 s16, 8
	s_cbranch_scc1 .LBB6_372
; %bb.363:
	;; [unrolled: 3-line block ×3, first 2 shown]
	s_cmp_gt_i32 s16, 9
	s_cbranch_scc0 .LBB6_366
; %bb.365:
	v_mov_b32_e32 v2, 0
	s_mov_b32 s18, 0
	v_mov_b32_e32 v3, v2
	global_store_dwordx4 v[4:5], v[0:3], off
.LBB6_366:
	s_andn2_b32 vcc_lo, exec_lo, s18
	s_cbranch_vccnz .LBB6_368
; %bb.367:
	v_cvt_f32_f64_e32 v2, v[0:1]
	v_mov_b32_e32 v3, 0
	global_store_dwordx2 v[4:5], v[2:3], off
.LBB6_368:
	s_mov_b32 s18, 0
.LBB6_369:
	s_andn2_b32 vcc_lo, exec_lo, s18
	s_cbranch_vccnz .LBB6_371
; %bb.370:
	v_and_or_b32 v2, 0x1ff, v1, v0
	v_lshrrev_b32_e32 v3, 8, v1
	v_bfe_u32 v6, v1, 20, 11
	v_cmp_ne_u32_e32 vcc_lo, 0, v2
	v_sub_nc_u32_e32 v7, 0x3f1, v6
	v_add_nc_u32_e32 v6, 0xfffffc10, v6
	v_cndmask_b32_e64 v2, 0, 1, vcc_lo
	v_and_or_b32 v2, 0xffe, v3, v2
	v_med3_i32 v3, v7, 0, 13
	v_or_b32_e32 v7, 0x1000, v2
	v_lshrrev_b32_e32 v8, v3, v7
	v_lshlrev_b32_e32 v3, v3, v8
	v_cmp_ne_u32_e32 vcc_lo, v3, v7
	v_lshl_or_b32 v7, v6, 12, v2
	v_cndmask_b32_e64 v3, 0, 1, vcc_lo
	v_cmp_gt_i32_e32 vcc_lo, 1, v6
	v_or_b32_e32 v3, v8, v3
	v_cndmask_b32_e32 v3, v7, v3, vcc_lo
	v_and_b32_e32 v7, 7, v3
	v_lshrrev_b32_e32 v3, 2, v3
	v_cmp_lt_i32_e32 vcc_lo, 5, v7
	v_cndmask_b32_e64 v8, 0, 1, vcc_lo
	v_cmp_eq_u32_e32 vcc_lo, 3, v7
	v_cndmask_b32_e64 v7, 0, 1, vcc_lo
	v_cmp_ne_u32_e32 vcc_lo, 0, v2
	v_or_b32_e32 v7, v7, v8
	v_mov_b32_e32 v8, 0x7e00
	v_add_nc_u32_e32 v3, v3, v7
	v_cndmask_b32_e32 v2, 0x7c00, v8, vcc_lo
	v_cmp_gt_i32_e32 vcc_lo, 31, v6
	v_cndmask_b32_e32 v3, 0x7c00, v3, vcc_lo
	v_cmp_eq_u32_e32 vcc_lo, 0x40f, v6
	v_cndmask_b32_e32 v2, v3, v2, vcc_lo
	v_lshrrev_b32_e32 v3, 16, v1
	v_and_or_b32 v2, 0x8000, v3, v2
	v_and_b32_e32 v2, 0xffff, v2
	global_store_dword v[4:5], v2, off
.LBB6_371:
	s_mov_b32 s18, 0
.LBB6_372:
	s_andn2_b32 vcc_lo, exec_lo, s18
	s_cbranch_vccnz .LBB6_381
; %bb.373:
	s_cmp_lt_i32 s16, 6
	s_mov_b32 s18, -1
	s_cbranch_scc1 .LBB6_379
; %bb.374:
	s_cmp_gt_i32 s16, 6
	s_cbranch_scc0 .LBB6_376
; %bb.375:
	s_mov_b32 s18, 0
	global_store_dwordx2 v[4:5], v[0:1], off
.LBB6_376:
	s_andn2_b32 vcc_lo, exec_lo, s18
	s_cbranch_vccnz .LBB6_378
; %bb.377:
	v_cvt_f32_f64_e32 v2, v[0:1]
	global_store_dword v[4:5], v2, off
.LBB6_378:
	s_mov_b32 s18, 0
.LBB6_379:
	s_andn2_b32 vcc_lo, exec_lo, s18
	s_cbranch_vccnz .LBB6_381
; %bb.380:
	v_and_or_b32 v2, 0x1ff, v1, v0
	v_lshrrev_b32_e32 v3, 8, v1
	v_bfe_u32 v6, v1, 20, 11
	v_cmp_ne_u32_e32 vcc_lo, 0, v2
	v_sub_nc_u32_e32 v7, 0x3f1, v6
	v_add_nc_u32_e32 v6, 0xfffffc10, v6
	v_cndmask_b32_e64 v2, 0, 1, vcc_lo
	v_and_or_b32 v2, 0xffe, v3, v2
	v_med3_i32 v3, v7, 0, 13
	v_or_b32_e32 v7, 0x1000, v2
	v_lshrrev_b32_e32 v8, v3, v7
	v_lshlrev_b32_e32 v3, v3, v8
	v_cmp_ne_u32_e32 vcc_lo, v3, v7
	v_lshl_or_b32 v7, v6, 12, v2
	v_cndmask_b32_e64 v3, 0, 1, vcc_lo
	v_cmp_gt_i32_e32 vcc_lo, 1, v6
	v_or_b32_e32 v3, v8, v3
	v_cndmask_b32_e32 v3, v7, v3, vcc_lo
	v_and_b32_e32 v7, 7, v3
	v_lshrrev_b32_e32 v3, 2, v3
	v_cmp_lt_i32_e32 vcc_lo, 5, v7
	v_cndmask_b32_e64 v8, 0, 1, vcc_lo
	v_cmp_eq_u32_e32 vcc_lo, 3, v7
	v_cndmask_b32_e64 v7, 0, 1, vcc_lo
	v_cmp_ne_u32_e32 vcc_lo, 0, v2
	v_or_b32_e32 v7, v7, v8
	v_mov_b32_e32 v8, 0x7e00
	v_add_nc_u32_e32 v3, v3, v7
	v_cndmask_b32_e32 v2, 0x7c00, v8, vcc_lo
	v_cmp_gt_i32_e32 vcc_lo, 31, v6
	v_cndmask_b32_e32 v3, 0x7c00, v3, vcc_lo
	v_cmp_eq_u32_e32 vcc_lo, 0x40f, v6
	v_cndmask_b32_e32 v2, v3, v2, vcc_lo
	v_lshrrev_b32_e32 v3, 16, v1
	v_and_or_b32 v2, 0x8000, v3, v2
	global_store_short v[4:5], v2, off
.LBB6_381:
	s_mov_b32 s18, 0
.LBB6_382:
	s_andn2_b32 vcc_lo, exec_lo, s18
	s_cbranch_vccnz .LBB6_398
; %bb.383:
	s_cmp_lt_i32 s16, 2
	s_mov_b32 s18, -1
	s_cbranch_scc1 .LBB6_393
; %bb.384:
	s_cmp_lt_i32 s16, 3
	s_cbranch_scc1 .LBB6_390
; %bb.385:
	s_cmp_gt_i32 s16, 3
	s_cbranch_scc0 .LBB6_387
; %bb.386:
	v_trunc_f64_e32 v[2:3], v[0:1]
	s_mov_b32 s18, 0
	v_ldexp_f64 v[6:7], v[2:3], 0xffffffe0
	v_floor_f64_e32 v[6:7], v[6:7]
	v_fma_f64 v[2:3], 0xc1f00000, v[6:7], v[2:3]
	v_cvt_i32_f64_e32 v7, v[6:7]
	v_cvt_u32_f64_e32 v6, v[2:3]
	global_store_dwordx2 v[4:5], v[6:7], off
.LBB6_387:
	s_andn2_b32 vcc_lo, exec_lo, s18
	s_cbranch_vccnz .LBB6_389
; %bb.388:
	v_cvt_i32_f64_e32 v2, v[0:1]
	global_store_dword v[4:5], v2, off
.LBB6_389:
	s_mov_b32 s18, 0
.LBB6_390:
	s_andn2_b32 vcc_lo, exec_lo, s18
	s_cbranch_vccnz .LBB6_392
; %bb.391:
	v_cvt_i32_f64_e32 v2, v[0:1]
	global_store_short v[4:5], v2, off
.LBB6_392:
	s_mov_b32 s18, 0
.LBB6_393:
	s_andn2_b32 vcc_lo, exec_lo, s18
	s_cbranch_vccnz .LBB6_398
; %bb.394:
	s_cmp_gt_i32 s16, 0
	s_mov_b32 s16, -1
	s_cbranch_scc0 .LBB6_396
; %bb.395:
	v_cvt_i32_f64_e32 v2, v[0:1]
	s_mov_b32 s16, 0
	global_store_byte v[4:5], v2, off
.LBB6_396:
	s_andn2_b32 vcc_lo, exec_lo, s16
	s_cbranch_vccnz .LBB6_398
; %bb.397:
	v_trunc_f64_e32 v[0:1], v[0:1]
	v_ldexp_f64 v[2:3], v[0:1], 0xffffffe0
	v_floor_f64_e32 v[2:3], v[2:3]
	v_fma_f64 v[0:1], 0xc1f00000, v[2:3], v[0:1]
	v_cvt_u32_f64_e32 v0, v[0:1]
	global_store_byte v[4:5], v0, off
.LBB6_398:
	s_mov_b32 s19, -1
.LBB6_399:
	s_andn2_b32 vcc_lo, exec_lo, s19
	s_cbranch_vccnz .LBB6_401
; %bb.400:
	v_add_nc_u32_e32 v10, 0x80, v10
	s_mov_b32 s18, -1
	s_branch .LBB6_514
.LBB6_401:
	s_mov_b32 s18, 0
	s_branch .LBB6_513
.LBB6_402:
	s_mov_b32 s15, -1
                                        ; implicit-def: $vgpr2_vgpr3
.LBB6_403:
	s_mov_b32 s18, 0
.LBB6_404:
	s_and_b32 vcc_lo, exec_lo, s18
	s_cbranch_vccz .LBB6_408
; %bb.405:
	s_cmp_eq_u32 s0, 29
	s_cbranch_scc0 .LBB6_407
; %bb.406:
	global_load_dwordx2 v[2:3], v[0:1], off
	s_mov_b32 s16, -1
	s_mov_b32 s15, 0
	s_mov_b32 s18, 0
	s_waitcnt vmcnt(0)
	v_cvt_f64_u32_e32 v[3:4], v3
	v_cvt_f64_u32_e32 v[5:6], v2
	v_ldexp_f64 v[3:4], v[3:4], 32
	v_add_f64 v[2:3], v[3:4], v[5:6]
	s_branch .LBB6_409
.LBB6_407:
	s_mov_b32 s15, -1
                                        ; implicit-def: $vgpr2_vgpr3
.LBB6_408:
	s_mov_b32 s18, 0
.LBB6_409:
	s_and_b32 vcc_lo, exec_lo, s18
	s_cbranch_vccz .LBB6_429
; %bb.410:
	s_cmp_lt_i32 s0, 27
	s_cbranch_scc1 .LBB6_413
; %bb.411:
	s_cmp_gt_i32 s0, 27
	s_cbranch_scc0 .LBB6_414
; %bb.412:
	global_load_dword v2, v[0:1], off
	s_mov_b32 s16, 0
	s_waitcnt vmcnt(0)
	v_cvt_f64_u32_e32 v[2:3], v2
	s_branch .LBB6_415
.LBB6_413:
	s_mov_b32 s16, -1
                                        ; implicit-def: $vgpr2_vgpr3
	s_branch .LBB6_418
.LBB6_414:
	s_mov_b32 s16, -1
                                        ; implicit-def: $vgpr2_vgpr3
.LBB6_415:
	s_andn2_b32 vcc_lo, exec_lo, s16
	s_cbranch_vccnz .LBB6_417
; %bb.416:
	global_load_ushort v2, v[0:1], off
	s_waitcnt vmcnt(0)
	v_cvt_f64_u32_e32 v[2:3], v2
.LBB6_417:
	s_mov_b32 s16, 0
.LBB6_418:
	s_andn2_b32 vcc_lo, exec_lo, s16
	s_cbranch_vccnz .LBB6_428
; %bb.419:
	global_load_ubyte v4, v[0:1], off
	s_mov_b32 s16, 0
	s_mov_b32 s18, exec_lo
	s_waitcnt vmcnt(0)
	v_cmpx_lt_i16_e32 0x7f, v4
	s_xor_b32 s18, exec_lo, s18
	s_cbranch_execz .LBB6_423
; %bb.420:
	s_mov_b32 s16, -1
	s_mov_b32 s19, exec_lo
	v_cmpx_eq_u16_e32 0x80, v4
; %bb.421:
	s_xor_b32 s16, exec_lo, -1
; %bb.422:
	s_or_b32 exec_lo, exec_lo, s19
	s_and_b32 s16, s16, exec_lo
.LBB6_423:
	s_or_saveexec_b32 s18, s18
	v_bfrev_b32_e32 v2, 4
	v_mov_b32_e32 v3, 0x7ff80000
	s_xor_b32 exec_lo, exec_lo, s18
; %bb.424:
	v_cmp_ne_u16_e32 vcc_lo, 0, v4
	v_mov_b32_e32 v2, 0
	v_mov_b32_e32 v3, 0
	s_andn2_b32 s16, s16, exec_lo
	s_and_b32 s19, vcc_lo, exec_lo
	s_or_b32 s16, s16, s19
; %bb.425:
	s_or_b32 exec_lo, exec_lo, s18
	s_and_saveexec_b32 s18, s16
	s_cbranch_execz .LBB6_427
; %bb.426:
	v_and_b32_e32 v2, 0xffff, v4
	v_lshlrev_b32_e32 v4, 24, v4
	v_and_b32_e32 v3, 7, v2
	v_bfe_u32 v7, v2, 3, 4
	v_ffbh_u32_e32 v5, v3
	v_cmp_eq_u32_e32 vcc_lo, 0, v7
	v_min_u32_e32 v5, 32, v5
	v_subrev_nc_u32_e32 v6, 28, v5
	v_sub_nc_u32_e32 v5, 29, v5
	v_lshlrev_b32_e32 v2, v6, v2
	v_cndmask_b32_e32 v5, v7, v5, vcc_lo
	v_and_b32_e32 v2, 7, v2
	v_cndmask_b32_e32 v2, v3, v2, vcc_lo
	v_and_b32_e32 v3, 0x80000000, v4
	v_lshl_add_u32 v4, v5, 23, 0x3b800000
	v_lshlrev_b32_e32 v2, 20, v2
	v_or3_b32 v2, v3, v4, v2
	v_cvt_f64_f32_e32 v[2:3], v2
.LBB6_427:
	s_or_b32 exec_lo, exec_lo, s18
.LBB6_428:
	s_mov_b32 s16, -1
.LBB6_429:
	s_mov_b32 s18, 0
.LBB6_430:
	s_and_b32 vcc_lo, exec_lo, s18
	s_cbranch_vccz .LBB6_463
; %bb.431:
	s_cmp_gt_i32 s0, 22
	s_cbranch_scc0 .LBB6_443
; %bb.432:
	s_cmp_lt_i32 s0, 24
	s_cbranch_scc1 .LBB6_444
; %bb.433:
	s_cmp_gt_i32 s0, 24
	s_cbranch_scc0 .LBB6_445
; %bb.434:
	global_load_ubyte v4, v[0:1], off
	s_mov_b32 s16, 0
	s_mov_b32 s18, exec_lo
	s_waitcnt vmcnt(0)
	v_cmpx_lt_i16_e32 0x7f, v4
	s_xor_b32 s18, exec_lo, s18
	s_cbranch_execz .LBB6_438
; %bb.435:
	s_mov_b32 s16, -1
	s_mov_b32 s19, exec_lo
	v_cmpx_eq_u16_e32 0x80, v4
; %bb.436:
	s_xor_b32 s16, exec_lo, -1
; %bb.437:
	s_or_b32 exec_lo, exec_lo, s19
	s_and_b32 s16, s16, exec_lo
.LBB6_438:
	s_or_saveexec_b32 s18, s18
	v_bfrev_b32_e32 v2, 4
	v_mov_b32_e32 v3, 0x7ff80000
	s_xor_b32 exec_lo, exec_lo, s18
; %bb.439:
	v_cmp_ne_u16_e32 vcc_lo, 0, v4
	v_mov_b32_e32 v2, 0
	v_mov_b32_e32 v3, 0
	s_andn2_b32 s16, s16, exec_lo
	s_and_b32 s19, vcc_lo, exec_lo
	s_or_b32 s16, s16, s19
; %bb.440:
	s_or_b32 exec_lo, exec_lo, s18
	s_and_saveexec_b32 s18, s16
	s_cbranch_execz .LBB6_442
; %bb.441:
	v_and_b32_e32 v2, 0xffff, v4
	v_lshlrev_b32_e32 v4, 24, v4
	v_and_b32_e32 v3, 3, v2
	v_bfe_u32 v7, v2, 2, 5
	v_ffbh_u32_e32 v5, v3
	v_cmp_eq_u32_e32 vcc_lo, 0, v7
	v_min_u32_e32 v5, 32, v5
	v_subrev_nc_u32_e32 v6, 29, v5
	v_sub_nc_u32_e32 v5, 30, v5
	v_lshlrev_b32_e32 v2, v6, v2
	v_cndmask_b32_e32 v5, v7, v5, vcc_lo
	v_and_b32_e32 v2, 3, v2
	v_cndmask_b32_e32 v2, v3, v2, vcc_lo
	v_and_b32_e32 v3, 0x80000000, v4
	v_lshl_add_u32 v4, v5, 23, 0x37800000
	v_lshlrev_b32_e32 v2, 21, v2
	v_or3_b32 v2, v3, v4, v2
	v_cvt_f64_f32_e32 v[2:3], v2
.LBB6_442:
	s_or_b32 exec_lo, exec_lo, s18
	s_mov_b32 s16, 0
	s_branch .LBB6_446
.LBB6_443:
	s_mov_b32 s18, -1
                                        ; implicit-def: $vgpr2_vgpr3
	s_branch .LBB6_452
.LBB6_444:
	s_mov_b32 s16, -1
                                        ; implicit-def: $vgpr2_vgpr3
	s_branch .LBB6_449
.LBB6_445:
	s_mov_b32 s16, -1
                                        ; implicit-def: $vgpr2_vgpr3
.LBB6_446:
	s_and_b32 vcc_lo, exec_lo, s16
	s_cbranch_vccz .LBB6_448
; %bb.447:
	global_load_ubyte v2, v[0:1], off
	s_waitcnt vmcnt(0)
	v_lshlrev_b32_e32 v2, 24, v2
	v_and_b32_e32 v3, 0x7f000000, v2
	v_ffbh_u32_e32 v4, v3
	v_add_nc_u32_e32 v6, 0x1000000, v3
	v_cmp_ne_u32_e32 vcc_lo, 0, v3
	v_min_u32_e32 v4, 32, v4
	v_sub_nc_u32_e64 v4, v4, 4 clamp
	v_lshlrev_b32_e32 v5, v4, v3
	v_lshlrev_b32_e32 v4, 23, v4
	v_lshrrev_b32_e32 v5, 4, v5
	v_sub_nc_u32_e32 v4, v5, v4
	v_ashrrev_i32_e32 v5, 8, v6
	v_add_nc_u32_e32 v4, 0x3c000000, v4
	v_and_or_b32 v4, 0x7f800000, v5, v4
	v_cndmask_b32_e32 v3, 0, v4, vcc_lo
	v_and_or_b32 v2, 0x80000000, v2, v3
	v_cvt_f64_f32_e32 v[2:3], v2
.LBB6_448:
	s_mov_b32 s16, 0
.LBB6_449:
	s_andn2_b32 vcc_lo, exec_lo, s16
	s_cbranch_vccnz .LBB6_451
; %bb.450:
	global_load_ubyte v2, v[0:1], off
	s_waitcnt vmcnt(0)
	v_lshlrev_b32_e32 v3, 25, v2
	v_lshlrev_b16 v2, 8, v2
	v_lshrrev_b32_e32 v4, 4, v3
	v_and_or_b32 v5, 0x7f00, v2, 0.5
	v_cmp_gt_u32_e32 vcc_lo, 0x8000000, v3
	v_bfe_i32 v2, v2, 0, 16
	v_or_b32_e32 v4, 0x70000000, v4
	v_add_f32_e32 v5, -0.5, v5
	v_mul_f32_e32 v4, 0x7800000, v4
	v_cndmask_b32_e32 v3, v4, v5, vcc_lo
	v_and_or_b32 v2, 0x80000000, v2, v3
	v_cvt_f64_f32_e32 v[2:3], v2
.LBB6_451:
	s_mov_b32 s18, 0
	s_mov_b32 s16, -1
.LBB6_452:
	s_andn2_b32 vcc_lo, exec_lo, s18
	s_cbranch_vccnz .LBB6_463
; %bb.453:
	s_cmp_gt_i32 s0, 14
	s_cbranch_scc0 .LBB6_456
; %bb.454:
	s_cmp_eq_u32 s0, 15
	s_cbranch_scc0 .LBB6_457
; %bb.455:
	global_load_ushort v2, v[0:1], off
	s_mov_b32 s16, -1
	s_mov_b32 s15, 0
	s_waitcnt vmcnt(0)
	v_lshlrev_b32_e32 v2, 16, v2
	v_cvt_f64_f32_e32 v[2:3], v2
	s_branch .LBB6_458
.LBB6_456:
	s_mov_b32 s18, -1
                                        ; implicit-def: $vgpr2_vgpr3
	s_branch .LBB6_459
.LBB6_457:
	s_mov_b32 s15, -1
                                        ; implicit-def: $vgpr2_vgpr3
.LBB6_458:
	s_mov_b32 s18, 0
.LBB6_459:
	s_and_b32 vcc_lo, exec_lo, s18
	s_cbranch_vccz .LBB6_463
; %bb.460:
	s_cmp_eq_u32 s0, 11
	s_cbranch_scc0 .LBB6_462
; %bb.461:
	global_load_ubyte v2, v[0:1], off
	s_mov_b32 s15, 0
	s_mov_b32 s16, -1
	s_waitcnt vmcnt(0)
	v_cmp_ne_u16_e32 vcc_lo, 0, v2
	v_mov_b32_e32 v2, 0
	v_cndmask_b32_e64 v3, 0, 0x3ff00000, vcc_lo
	s_branch .LBB6_463
.LBB6_462:
	s_mov_b32 s15, -1
                                        ; implicit-def: $vgpr2_vgpr3
.LBB6_463:
	s_branch .LBB6_265
.LBB6_464:
	s_cmp_lt_i32 s0, 5
	s_cbranch_scc1 .LBB6_469
; %bb.465:
	s_cmp_lt_i32 s0, 8
	s_cbranch_scc1 .LBB6_470
; %bb.466:
	;; [unrolled: 3-line block ×3, first 2 shown]
	s_cmp_gt_i32 s0, 9
	s_cbranch_scc0 .LBB6_472
; %bb.468:
	global_load_dwordx2 v[2:3], v[0:1], off
	s_mov_b32 s16, 0
	s_branch .LBB6_473
.LBB6_469:
	s_mov_b32 s16, -1
                                        ; implicit-def: $vgpr2_vgpr3
	s_branch .LBB6_491
.LBB6_470:
	s_mov_b32 s16, -1
                                        ; implicit-def: $vgpr2_vgpr3
	s_branch .LBB6_479
.LBB6_471:
	s_mov_b32 s16, -1
                                        ; implicit-def: $vgpr2_vgpr3
	s_branch .LBB6_476
.LBB6_472:
	s_mov_b32 s16, -1
                                        ; implicit-def: $vgpr2_vgpr3
.LBB6_473:
	s_andn2_b32 vcc_lo, exec_lo, s16
	s_cbranch_vccnz .LBB6_475
; %bb.474:
	global_load_dword v2, v[0:1], off
	s_waitcnt vmcnt(0)
	v_cvt_f64_f32_e32 v[2:3], v2
.LBB6_475:
	s_mov_b32 s16, 0
.LBB6_476:
	s_andn2_b32 vcc_lo, exec_lo, s16
	s_cbranch_vccnz .LBB6_478
; %bb.477:
	global_load_dword v2, v[0:1], off
	s_waitcnt vmcnt(0)
	v_cvt_f32_f16_e32 v2, v2
	v_cvt_f64_f32_e32 v[2:3], v2
.LBB6_478:
	s_mov_b32 s16, 0
.LBB6_479:
	s_andn2_b32 vcc_lo, exec_lo, s16
	s_cbranch_vccnz .LBB6_490
; %bb.480:
	s_cmp_lt_i32 s0, 6
	s_cbranch_scc1 .LBB6_483
; %bb.481:
	s_cmp_gt_i32 s0, 6
	s_cbranch_scc0 .LBB6_484
; %bb.482:
	global_load_dwordx2 v[2:3], v[0:1], off
	s_mov_b32 s16, 0
	s_branch .LBB6_485
.LBB6_483:
	s_mov_b32 s16, -1
                                        ; implicit-def: $vgpr2_vgpr3
	s_branch .LBB6_488
.LBB6_484:
	s_mov_b32 s16, -1
                                        ; implicit-def: $vgpr2_vgpr3
.LBB6_485:
	s_andn2_b32 vcc_lo, exec_lo, s16
	s_cbranch_vccnz .LBB6_487
; %bb.486:
	global_load_dword v2, v[0:1], off
	s_waitcnt vmcnt(0)
	v_cvt_f64_f32_e32 v[2:3], v2
.LBB6_487:
	s_mov_b32 s16, 0
.LBB6_488:
	s_andn2_b32 vcc_lo, exec_lo, s16
	s_cbranch_vccnz .LBB6_490
; %bb.489:
	global_load_ushort v2, v[0:1], off
	s_waitcnt vmcnt(0)
	v_cvt_f32_f16_e32 v2, v2
	v_cvt_f64_f32_e32 v[2:3], v2
.LBB6_490:
	s_mov_b32 s16, 0
.LBB6_491:
	s_andn2_b32 vcc_lo, exec_lo, s16
	s_cbranch_vccnz .LBB6_511
; %bb.492:
	s_cmp_lt_i32 s0, 2
	s_cbranch_scc1 .LBB6_496
; %bb.493:
	s_cmp_lt_i32 s0, 3
	s_cbranch_scc1 .LBB6_497
; %bb.494:
	s_cmp_gt_i32 s0, 3
	s_cbranch_scc0 .LBB6_498
; %bb.495:
	global_load_dwordx2 v[2:3], v[0:1], off
	s_mov_b32 s16, 0
	s_waitcnt vmcnt(0)
	v_cvt_f64_i32_e32 v[3:4], v3
	v_cvt_f64_u32_e32 v[5:6], v2
	v_ldexp_f64 v[3:4], v[3:4], 32
	v_add_f64 v[2:3], v[3:4], v[5:6]
	s_branch .LBB6_499
.LBB6_496:
	s_mov_b32 s16, -1
                                        ; implicit-def: $vgpr2_vgpr3
	s_branch .LBB6_505
.LBB6_497:
	s_mov_b32 s16, -1
                                        ; implicit-def: $vgpr2_vgpr3
	s_branch .LBB6_502
.LBB6_498:
	s_mov_b32 s16, -1
                                        ; implicit-def: $vgpr2_vgpr3
.LBB6_499:
	s_andn2_b32 vcc_lo, exec_lo, s16
	s_cbranch_vccnz .LBB6_501
; %bb.500:
	global_load_dword v2, v[0:1], off
	s_waitcnt vmcnt(0)
	v_cvt_f64_i32_e32 v[2:3], v2
.LBB6_501:
	s_mov_b32 s16, 0
.LBB6_502:
	s_andn2_b32 vcc_lo, exec_lo, s16
	s_cbranch_vccnz .LBB6_504
; %bb.503:
	global_load_sshort v2, v[0:1], off
	s_waitcnt vmcnt(0)
	v_cvt_f64_i32_e32 v[2:3], v2
.LBB6_504:
	s_mov_b32 s16, 0
.LBB6_505:
	s_andn2_b32 vcc_lo, exec_lo, s16
	s_cbranch_vccnz .LBB6_511
; %bb.506:
	s_cmp_gt_i32 s0, 0
	s_mov_b32 s0, 0
	s_cbranch_scc0 .LBB6_508
; %bb.507:
	global_load_sbyte v2, v[0:1], off
	s_waitcnt vmcnt(0)
	v_cvt_f64_i32_e32 v[2:3], v2
	s_branch .LBB6_509
.LBB6_508:
	s_mov_b32 s0, -1
                                        ; implicit-def: $vgpr2_vgpr3
.LBB6_509:
	s_andn2_b32 vcc_lo, exec_lo, s0
	s_cbranch_vccnz .LBB6_511
; %bb.510:
	global_load_ubyte v0, v[0:1], off
	s_waitcnt vmcnt(0)
	v_cvt_f64_u32_e32 v[2:3], v0
.LBB6_511:
	s_branch .LBB6_266
.LBB6_512:
	s_mov_b32 s18, 0
	s_mov_b32 s0, s7
.LBB6_513:
                                        ; implicit-def: $vgpr10
.LBB6_514:
	s_andn2_b32 s16, s7, exec_lo
	s_and_b32 s0, s0, exec_lo
	s_andn2_b32 s19, s13, exec_lo
	s_and_b32 s15, s15, exec_lo
	s_or_b32 s16, s16, s0
	s_or_b32 s15, s19, s15
	s_orn2_b32 s0, s18, exec_lo
.LBB6_515:
	s_or_b32 exec_lo, exec_lo, s17
	s_mov_b32 s18, 0
	s_mov_b32 s19, 0
	;; [unrolled: 1-line block ×3, first 2 shown]
                                        ; implicit-def: $vgpr0_vgpr1
                                        ; implicit-def: $vgpr2_vgpr3
	s_and_saveexec_b32 s17, s0
	s_cbranch_execz .LBB6_862
; %bb.516:
	s_mov_b32 s20, -1
	s_mov_b32 s0, s15
	s_mov_b32 s19, s16
	s_mov_b32 s18, exec_lo
	v_cmpx_gt_i32_e64 s12, v10
	s_cbranch_execz .LBB6_776
; %bb.517:
	v_mul_lo_u32 v0, v10, s3
	s_and_b32 s0, 0xffff, s5
	s_cmp_lt_i32 s0, 11
	v_ashrrev_i32_e32 v1, 31, v0
	v_add_co_u32 v0, vcc_lo, s10, v0
	v_add_co_ci_u32_e64 v1, null, s11, v1, vcc_lo
	s_cbranch_scc1 .LBB6_524
; %bb.518:
	s_cmp_gt_i32 s0, 25
	s_cbranch_scc0 .LBB6_525
; %bb.519:
	s_cmp_gt_i32 s0, 28
	s_cbranch_scc0 .LBB6_526
	;; [unrolled: 3-line block ×4, first 2 shown]
; %bb.522:
	s_cmp_eq_u32 s0, 46
	s_mov_b32 s21, 0
	s_cbranch_scc0 .LBB6_533
; %bb.523:
	global_load_dword v2, v[0:1], off
	s_mov_b32 s19, 0
	s_waitcnt vmcnt(0)
	v_lshlrev_b32_e32 v2, 16, v2
	v_cvt_f64_f32_e32 v[2:3], v2
	s_branch .LBB6_535
.LBB6_524:
	s_mov_b32 s21, -1
	s_mov_b32 s20, 0
	s_mov_b32 s19, s15
                                        ; implicit-def: $vgpr2_vgpr3
	s_branch .LBB6_600
.LBB6_525:
	s_mov_b32 s21, -1
	s_mov_b32 s20, 0
	s_mov_b32 s19, s15
                                        ; implicit-def: $vgpr2_vgpr3
	s_branch .LBB6_566
.LBB6_526:
	s_mov_b32 s21, -1
	s_mov_b32 s20, 0
	s_mov_b32 s19, s15
                                        ; implicit-def: $vgpr2_vgpr3
	s_branch .LBB6_545
.LBB6_527:
	s_mov_b32 s21, -1
	s_mov_b32 s20, 0
	s_mov_b32 s19, s15
                                        ; implicit-def: $vgpr2_vgpr3
	s_branch .LBB6_540
.LBB6_528:
	s_andn2_saveexec_b32 s21, s21
	s_cbranch_execz .LBB6_312
.LBB6_529:
	v_add_f32_e64 v3, 0x46000000, |v2|
	s_andn2_b32 s20, s20, exec_lo
	v_and_b32_e32 v3, 0xff, v3
	v_cmp_ne_u32_e32 vcc_lo, 0, v3
	s_and_b32 s22, vcc_lo, exec_lo
	s_or_b32 s20, s20, s22
	s_or_b32 exec_lo, exec_lo, s21
	v_mov_b32_e32 v6, 0
	s_and_saveexec_b32 s21, s20
	s_cbranch_execnz .LBB6_313
	s_branch .LBB6_314
.LBB6_530:
	s_mov_b32 s21, -1
	s_mov_b32 s20, 0
	s_mov_b32 s19, s15
	s_branch .LBB6_534
.LBB6_531:
	s_andn2_saveexec_b32 s21, s21
	s_cbranch_execz .LBB6_325
.LBB6_532:
	v_add_f32_e64 v3, 0x42800000, |v2|
	s_andn2_b32 s20, s20, exec_lo
	v_and_b32_e32 v3, 0xff, v3
	v_cmp_ne_u32_e32 vcc_lo, 0, v3
	s_and_b32 s22, vcc_lo, exec_lo
	s_or_b32 s20, s20, s22
	s_or_b32 exec_lo, exec_lo, s21
	v_mov_b32_e32 v6, 0
	s_and_saveexec_b32 s21, s20
	s_cbranch_execnz .LBB6_326
	s_branch .LBB6_327
.LBB6_533:
	s_mov_b32 s19, -1
	s_mov_b32 s20, 0
.LBB6_534:
                                        ; implicit-def: $vgpr2_vgpr3
.LBB6_535:
	s_and_b32 vcc_lo, exec_lo, s21
	s_cbranch_vccz .LBB6_539
; %bb.536:
	s_cmp_eq_u32 s0, 44
	s_cbranch_scc0 .LBB6_538
; %bb.537:
	global_load_ubyte v4, v[0:1], off
	s_mov_b32 s19, 0
	s_mov_b32 s20, -1
	s_waitcnt vmcnt(0)
	v_lshlrev_b32_e32 v2, 23, v4
	v_cmp_ne_u32_e32 vcc_lo, 0xff, v4
	v_cvt_f64_f32_e32 v[2:3], v2
	v_cndmask_b32_e32 v2, 0x20000000, v2, vcc_lo
	v_cndmask_b32_e32 v3, 0x7ff80000, v3, vcc_lo
	v_cmp_ne_u32_e32 vcc_lo, 0, v4
	v_cndmask_b32_e32 v3, 0x38000000, v3, vcc_lo
	v_cndmask_b32_e32 v2, 0, v2, vcc_lo
	s_branch .LBB6_539
.LBB6_538:
	s_mov_b32 s19, -1
                                        ; implicit-def: $vgpr2_vgpr3
.LBB6_539:
	s_mov_b32 s21, 0
.LBB6_540:
	s_and_b32 vcc_lo, exec_lo, s21
	s_cbranch_vccz .LBB6_544
; %bb.541:
	s_cmp_eq_u32 s0, 29
	s_cbranch_scc0 .LBB6_543
; %bb.542:
	global_load_dwordx2 v[2:3], v[0:1], off
	s_mov_b32 s20, -1
	s_mov_b32 s19, 0
	s_mov_b32 s21, 0
	s_waitcnt vmcnt(0)
	v_cvt_f64_u32_e32 v[3:4], v3
	v_cvt_f64_u32_e32 v[5:6], v2
	v_ldexp_f64 v[3:4], v[3:4], 32
	v_add_f64 v[2:3], v[3:4], v[5:6]
	s_branch .LBB6_545
.LBB6_543:
	s_mov_b32 s19, -1
                                        ; implicit-def: $vgpr2_vgpr3
.LBB6_544:
	s_mov_b32 s21, 0
.LBB6_545:
	s_and_b32 vcc_lo, exec_lo, s21
	s_cbranch_vccz .LBB6_565
; %bb.546:
	s_cmp_lt_i32 s0, 27
	s_cbranch_scc1 .LBB6_549
; %bb.547:
	s_cmp_gt_i32 s0, 27
	s_cbranch_scc0 .LBB6_550
; %bb.548:
	global_load_dword v2, v[0:1], off
	s_mov_b32 s20, 0
	s_waitcnt vmcnt(0)
	v_cvt_f64_u32_e32 v[2:3], v2
	s_branch .LBB6_551
.LBB6_549:
	s_mov_b32 s20, -1
                                        ; implicit-def: $vgpr2_vgpr3
	s_branch .LBB6_554
.LBB6_550:
	s_mov_b32 s20, -1
                                        ; implicit-def: $vgpr2_vgpr3
.LBB6_551:
	s_andn2_b32 vcc_lo, exec_lo, s20
	s_cbranch_vccnz .LBB6_553
; %bb.552:
	global_load_ushort v2, v[0:1], off
	s_waitcnt vmcnt(0)
	v_cvt_f64_u32_e32 v[2:3], v2
.LBB6_553:
	s_mov_b32 s20, 0
.LBB6_554:
	s_andn2_b32 vcc_lo, exec_lo, s20
	s_cbranch_vccnz .LBB6_564
; %bb.555:
	global_load_ubyte v4, v[0:1], off
	s_mov_b32 s20, 0
	s_mov_b32 s21, exec_lo
	s_waitcnt vmcnt(0)
	v_cmpx_lt_i16_e32 0x7f, v4
	s_xor_b32 s21, exec_lo, s21
	s_cbranch_execz .LBB6_559
; %bb.556:
	s_mov_b32 s20, -1
	s_mov_b32 s22, exec_lo
	v_cmpx_eq_u16_e32 0x80, v4
; %bb.557:
	s_xor_b32 s20, exec_lo, -1
; %bb.558:
	s_or_b32 exec_lo, exec_lo, s22
	s_and_b32 s20, s20, exec_lo
.LBB6_559:
	s_or_saveexec_b32 s21, s21
	v_bfrev_b32_e32 v2, 4
	v_mov_b32_e32 v3, 0x7ff80000
	s_xor_b32 exec_lo, exec_lo, s21
; %bb.560:
	v_cmp_ne_u16_e32 vcc_lo, 0, v4
	v_mov_b32_e32 v2, 0
	v_mov_b32_e32 v3, 0
	s_andn2_b32 s20, s20, exec_lo
	s_and_b32 s22, vcc_lo, exec_lo
	s_or_b32 s20, s20, s22
; %bb.561:
	s_or_b32 exec_lo, exec_lo, s21
	s_and_saveexec_b32 s21, s20
	s_cbranch_execz .LBB6_563
; %bb.562:
	v_and_b32_e32 v2, 0xffff, v4
	v_lshlrev_b32_e32 v4, 24, v4
	v_and_b32_e32 v3, 7, v2
	v_bfe_u32 v7, v2, 3, 4
	v_ffbh_u32_e32 v5, v3
	v_cmp_eq_u32_e32 vcc_lo, 0, v7
	v_min_u32_e32 v5, 32, v5
	v_subrev_nc_u32_e32 v6, 28, v5
	v_sub_nc_u32_e32 v5, 29, v5
	v_lshlrev_b32_e32 v2, v6, v2
	v_cndmask_b32_e32 v5, v7, v5, vcc_lo
	v_and_b32_e32 v2, 7, v2
	v_cndmask_b32_e32 v2, v3, v2, vcc_lo
	v_and_b32_e32 v3, 0x80000000, v4
	v_lshl_add_u32 v4, v5, 23, 0x3b800000
	v_lshlrev_b32_e32 v2, 20, v2
	v_or3_b32 v2, v3, v4, v2
	v_cvt_f64_f32_e32 v[2:3], v2
.LBB6_563:
	s_or_b32 exec_lo, exec_lo, s21
.LBB6_564:
	s_mov_b32 s20, -1
.LBB6_565:
	s_mov_b32 s21, 0
.LBB6_566:
	s_and_b32 vcc_lo, exec_lo, s21
	s_cbranch_vccz .LBB6_599
; %bb.567:
	s_cmp_gt_i32 s0, 22
	s_cbranch_scc0 .LBB6_579
; %bb.568:
	s_cmp_lt_i32 s0, 24
	s_cbranch_scc1 .LBB6_580
; %bb.569:
	s_cmp_gt_i32 s0, 24
	s_cbranch_scc0 .LBB6_581
; %bb.570:
	global_load_ubyte v4, v[0:1], off
	s_mov_b32 s20, 0
	s_mov_b32 s21, exec_lo
	s_waitcnt vmcnt(0)
	v_cmpx_lt_i16_e32 0x7f, v4
	s_xor_b32 s21, exec_lo, s21
	s_cbranch_execz .LBB6_574
; %bb.571:
	s_mov_b32 s20, -1
	s_mov_b32 s22, exec_lo
	v_cmpx_eq_u16_e32 0x80, v4
; %bb.572:
	s_xor_b32 s20, exec_lo, -1
; %bb.573:
	s_or_b32 exec_lo, exec_lo, s22
	s_and_b32 s20, s20, exec_lo
.LBB6_574:
	s_or_saveexec_b32 s21, s21
	v_bfrev_b32_e32 v2, 4
	v_mov_b32_e32 v3, 0x7ff80000
	s_xor_b32 exec_lo, exec_lo, s21
; %bb.575:
	v_cmp_ne_u16_e32 vcc_lo, 0, v4
	v_mov_b32_e32 v2, 0
	v_mov_b32_e32 v3, 0
	s_andn2_b32 s20, s20, exec_lo
	s_and_b32 s22, vcc_lo, exec_lo
	s_or_b32 s20, s20, s22
; %bb.576:
	s_or_b32 exec_lo, exec_lo, s21
	s_and_saveexec_b32 s21, s20
	s_cbranch_execz .LBB6_578
; %bb.577:
	v_and_b32_e32 v2, 0xffff, v4
	v_lshlrev_b32_e32 v4, 24, v4
	v_and_b32_e32 v3, 3, v2
	v_bfe_u32 v7, v2, 2, 5
	v_ffbh_u32_e32 v5, v3
	v_cmp_eq_u32_e32 vcc_lo, 0, v7
	v_min_u32_e32 v5, 32, v5
	v_subrev_nc_u32_e32 v6, 29, v5
	v_sub_nc_u32_e32 v5, 30, v5
	v_lshlrev_b32_e32 v2, v6, v2
	v_cndmask_b32_e32 v5, v7, v5, vcc_lo
	v_and_b32_e32 v2, 3, v2
	v_cndmask_b32_e32 v2, v3, v2, vcc_lo
	v_and_b32_e32 v3, 0x80000000, v4
	v_lshl_add_u32 v4, v5, 23, 0x37800000
	v_lshlrev_b32_e32 v2, 21, v2
	v_or3_b32 v2, v3, v4, v2
	v_cvt_f64_f32_e32 v[2:3], v2
.LBB6_578:
	s_or_b32 exec_lo, exec_lo, s21
	s_mov_b32 s20, 0
	s_branch .LBB6_582
.LBB6_579:
	s_mov_b32 s21, -1
                                        ; implicit-def: $vgpr2_vgpr3
	s_branch .LBB6_588
.LBB6_580:
	s_mov_b32 s20, -1
                                        ; implicit-def: $vgpr2_vgpr3
	s_branch .LBB6_585
.LBB6_581:
	s_mov_b32 s20, -1
                                        ; implicit-def: $vgpr2_vgpr3
.LBB6_582:
	s_and_b32 vcc_lo, exec_lo, s20
	s_cbranch_vccz .LBB6_584
; %bb.583:
	global_load_ubyte v2, v[0:1], off
	s_waitcnt vmcnt(0)
	v_lshlrev_b32_e32 v2, 24, v2
	v_and_b32_e32 v3, 0x7f000000, v2
	v_ffbh_u32_e32 v4, v3
	v_add_nc_u32_e32 v6, 0x1000000, v3
	v_cmp_ne_u32_e32 vcc_lo, 0, v3
	v_min_u32_e32 v4, 32, v4
	v_sub_nc_u32_e64 v4, v4, 4 clamp
	v_lshlrev_b32_e32 v5, v4, v3
	v_lshlrev_b32_e32 v4, 23, v4
	v_lshrrev_b32_e32 v5, 4, v5
	v_sub_nc_u32_e32 v4, v5, v4
	v_ashrrev_i32_e32 v5, 8, v6
	v_add_nc_u32_e32 v4, 0x3c000000, v4
	v_and_or_b32 v4, 0x7f800000, v5, v4
	v_cndmask_b32_e32 v3, 0, v4, vcc_lo
	v_and_or_b32 v2, 0x80000000, v2, v3
	v_cvt_f64_f32_e32 v[2:3], v2
.LBB6_584:
	s_mov_b32 s20, 0
.LBB6_585:
	s_andn2_b32 vcc_lo, exec_lo, s20
	s_cbranch_vccnz .LBB6_587
; %bb.586:
	global_load_ubyte v2, v[0:1], off
	s_waitcnt vmcnt(0)
	v_lshlrev_b32_e32 v3, 25, v2
	v_lshlrev_b16 v2, 8, v2
	v_lshrrev_b32_e32 v4, 4, v3
	v_and_or_b32 v5, 0x7f00, v2, 0.5
	v_cmp_gt_u32_e32 vcc_lo, 0x8000000, v3
	v_bfe_i32 v2, v2, 0, 16
	v_or_b32_e32 v4, 0x70000000, v4
	v_add_f32_e32 v5, -0.5, v5
	v_mul_f32_e32 v4, 0x7800000, v4
	v_cndmask_b32_e32 v3, v4, v5, vcc_lo
	v_and_or_b32 v2, 0x80000000, v2, v3
	v_cvt_f64_f32_e32 v[2:3], v2
.LBB6_587:
	s_mov_b32 s21, 0
	s_mov_b32 s20, -1
.LBB6_588:
	s_andn2_b32 vcc_lo, exec_lo, s21
	s_cbranch_vccnz .LBB6_599
; %bb.589:
	s_cmp_gt_i32 s0, 14
	s_cbranch_scc0 .LBB6_592
; %bb.590:
	s_cmp_eq_u32 s0, 15
	s_cbranch_scc0 .LBB6_593
; %bb.591:
	global_load_ushort v2, v[0:1], off
	s_mov_b32 s20, -1
	s_mov_b32 s19, 0
	s_waitcnt vmcnt(0)
	v_lshlrev_b32_e32 v2, 16, v2
	v_cvt_f64_f32_e32 v[2:3], v2
	s_branch .LBB6_594
.LBB6_592:
	s_mov_b32 s21, -1
                                        ; implicit-def: $vgpr2_vgpr3
	s_branch .LBB6_595
.LBB6_593:
	s_mov_b32 s19, -1
                                        ; implicit-def: $vgpr2_vgpr3
.LBB6_594:
	s_mov_b32 s21, 0
.LBB6_595:
	s_and_b32 vcc_lo, exec_lo, s21
	s_cbranch_vccz .LBB6_599
; %bb.596:
	s_cmp_eq_u32 s0, 11
	s_cbranch_scc0 .LBB6_598
; %bb.597:
	global_load_ubyte v2, v[0:1], off
	s_mov_b32 s19, 0
	s_mov_b32 s20, -1
	s_waitcnt vmcnt(0)
	v_cmp_ne_u16_e32 vcc_lo, 0, v2
	v_mov_b32_e32 v2, 0
	v_cndmask_b32_e64 v3, 0, 0x3ff00000, vcc_lo
	s_branch .LBB6_599
.LBB6_598:
	s_mov_b32 s19, -1
                                        ; implicit-def: $vgpr2_vgpr3
.LBB6_599:
	s_mov_b32 s21, 0
.LBB6_600:
	s_and_b32 vcc_lo, exec_lo, s21
	s_cbranch_vccz .LBB6_649
; %bb.601:
	s_cmp_lt_i32 s0, 5
	s_cbranch_scc1 .LBB6_606
; %bb.602:
	s_cmp_lt_i32 s0, 8
	s_cbranch_scc1 .LBB6_607
	;; [unrolled: 3-line block ×3, first 2 shown]
; %bb.604:
	s_cmp_gt_i32 s0, 9
	s_cbranch_scc0 .LBB6_609
; %bb.605:
	global_load_dwordx2 v[2:3], v[0:1], off
	s_mov_b32 s20, 0
	s_branch .LBB6_610
.LBB6_606:
	s_mov_b32 s20, -1
                                        ; implicit-def: $vgpr2_vgpr3
	s_branch .LBB6_628
.LBB6_607:
	s_mov_b32 s20, -1
                                        ; implicit-def: $vgpr2_vgpr3
	s_branch .LBB6_616
.LBB6_608:
	s_mov_b32 s20, -1
                                        ; implicit-def: $vgpr2_vgpr3
	s_branch .LBB6_613
.LBB6_609:
	s_mov_b32 s20, -1
                                        ; implicit-def: $vgpr2_vgpr3
.LBB6_610:
	s_andn2_b32 vcc_lo, exec_lo, s20
	s_cbranch_vccnz .LBB6_612
; %bb.611:
	global_load_dword v2, v[0:1], off
	s_waitcnt vmcnt(0)
	v_cvt_f64_f32_e32 v[2:3], v2
.LBB6_612:
	s_mov_b32 s20, 0
.LBB6_613:
	s_andn2_b32 vcc_lo, exec_lo, s20
	s_cbranch_vccnz .LBB6_615
; %bb.614:
	global_load_dword v2, v[0:1], off
	s_waitcnt vmcnt(0)
	v_cvt_f32_f16_e32 v2, v2
	v_cvt_f64_f32_e32 v[2:3], v2
.LBB6_615:
	s_mov_b32 s20, 0
.LBB6_616:
	s_andn2_b32 vcc_lo, exec_lo, s20
	s_cbranch_vccnz .LBB6_627
; %bb.617:
	s_cmp_lt_i32 s0, 6
	s_cbranch_scc1 .LBB6_620
; %bb.618:
	s_cmp_gt_i32 s0, 6
	s_cbranch_scc0 .LBB6_621
; %bb.619:
	global_load_dwordx2 v[2:3], v[0:1], off
	s_mov_b32 s20, 0
	s_branch .LBB6_622
.LBB6_620:
	s_mov_b32 s20, -1
                                        ; implicit-def: $vgpr2_vgpr3
	s_branch .LBB6_625
.LBB6_621:
	s_mov_b32 s20, -1
                                        ; implicit-def: $vgpr2_vgpr3
.LBB6_622:
	s_andn2_b32 vcc_lo, exec_lo, s20
	s_cbranch_vccnz .LBB6_624
; %bb.623:
	global_load_dword v2, v[0:1], off
	s_waitcnt vmcnt(0)
	v_cvt_f64_f32_e32 v[2:3], v2
.LBB6_624:
	s_mov_b32 s20, 0
.LBB6_625:
	s_andn2_b32 vcc_lo, exec_lo, s20
	s_cbranch_vccnz .LBB6_627
; %bb.626:
	global_load_ushort v2, v[0:1], off
	s_waitcnt vmcnt(0)
	v_cvt_f32_f16_e32 v2, v2
	v_cvt_f64_f32_e32 v[2:3], v2
.LBB6_627:
	s_mov_b32 s20, 0
.LBB6_628:
	s_andn2_b32 vcc_lo, exec_lo, s20
	s_cbranch_vccnz .LBB6_648
; %bb.629:
	s_cmp_lt_i32 s0, 2
	s_cbranch_scc1 .LBB6_633
; %bb.630:
	s_cmp_lt_i32 s0, 3
	s_cbranch_scc1 .LBB6_634
; %bb.631:
	s_cmp_gt_i32 s0, 3
	s_cbranch_scc0 .LBB6_635
; %bb.632:
	global_load_dwordx2 v[2:3], v[0:1], off
	s_mov_b32 s20, 0
	s_waitcnt vmcnt(0)
	v_cvt_f64_i32_e32 v[3:4], v3
	v_cvt_f64_u32_e32 v[5:6], v2
	v_ldexp_f64 v[3:4], v[3:4], 32
	v_add_f64 v[2:3], v[3:4], v[5:6]
	s_branch .LBB6_636
.LBB6_633:
	s_mov_b32 s20, -1
                                        ; implicit-def: $vgpr2_vgpr3
	s_branch .LBB6_642
.LBB6_634:
	s_mov_b32 s20, -1
                                        ; implicit-def: $vgpr2_vgpr3
	s_branch .LBB6_639
.LBB6_635:
	s_mov_b32 s20, -1
                                        ; implicit-def: $vgpr2_vgpr3
.LBB6_636:
	s_andn2_b32 vcc_lo, exec_lo, s20
	s_cbranch_vccnz .LBB6_638
; %bb.637:
	global_load_dword v2, v[0:1], off
	s_waitcnt vmcnt(0)
	v_cvt_f64_i32_e32 v[2:3], v2
.LBB6_638:
	s_mov_b32 s20, 0
.LBB6_639:
	s_andn2_b32 vcc_lo, exec_lo, s20
	s_cbranch_vccnz .LBB6_641
; %bb.640:
	global_load_sshort v2, v[0:1], off
	s_waitcnt vmcnt(0)
	v_cvt_f64_i32_e32 v[2:3], v2
.LBB6_641:
	s_mov_b32 s20, 0
.LBB6_642:
	s_andn2_b32 vcc_lo, exec_lo, s20
	s_cbranch_vccnz .LBB6_648
; %bb.643:
	s_cmp_gt_i32 s0, 0
	s_mov_b32 s0, 0
	s_cbranch_scc0 .LBB6_645
; %bb.644:
	global_load_sbyte v2, v[0:1], off
	s_waitcnt vmcnt(0)
	v_cvt_f64_i32_e32 v[2:3], v2
	s_branch .LBB6_646
.LBB6_645:
	s_mov_b32 s0, -1
                                        ; implicit-def: $vgpr2_vgpr3
.LBB6_646:
	s_andn2_b32 vcc_lo, exec_lo, s0
	s_cbranch_vccnz .LBB6_648
; %bb.647:
	global_load_ubyte v0, v[0:1], off
	s_waitcnt vmcnt(0)
	v_cvt_f64_u32_e32 v[2:3], v0
.LBB6_648:
	s_mov_b32 s20, -1
.LBB6_649:
	s_andn2_b32 vcc_lo, exec_lo, s20
	s_cbranch_vccnz .LBB6_657
; %bb.650:
	s_waitcnt vmcnt(0)
	v_and_b32_e32 v1, 0x7fffffff, v3
	v_mov_b32_e32 v0, v2
	s_mov_b32 s20, 0xbd3237f4
	s_mov_b32 s22, 0xb5e68a13
	;; [unrolled: 1-line block ×4, first 2 shown]
	v_div_scale_f64 v[4:5], null, v[0:1], v[0:1], 1.0
	v_div_scale_f64 v[11:12], vcc_lo, 1.0, v[0:1], 1.0
	v_rcp_f64_e32 v[6:7], v[4:5]
	v_fma_f64 v[8:9], -v[4:5], v[6:7], 1.0
	v_fma_f64 v[6:7], v[6:7], v[8:9], v[6:7]
	v_fma_f64 v[8:9], -v[4:5], v[6:7], 1.0
	v_fma_f64 v[6:7], v[6:7], v[8:9], v[6:7]
	v_mul_f64 v[8:9], v[11:12], v[6:7]
	v_fma_f64 v[4:5], -v[4:5], v[8:9], v[11:12]
	v_div_fmas_f64 v[4:5], v[4:5], v[6:7], v[8:9]
	v_cmp_gt_f64_e64 vcc_lo, |v[2:3]|, 1.0
	v_div_fixup_f64 v[4:5], v[4:5], |v[2:3]|, 1.0
	v_cndmask_b32_e32 v1, v1, v5, vcc_lo
	v_cndmask_b32_e32 v0, v2, v4, vcc_lo
	v_mul_lo_u32 v2, v10, s2
	v_mul_f64 v[4:5], v[0:1], v[0:1]
	v_fma_f64 v[6:7], v[4:5], s[22:23], s[20:21]
	s_mov_b32 s20, 0x69efb384
	s_mov_b32 s21, 0x3f4b2bb0
	;; [unrolled: 1-line block ×4, first 2 shown]
	v_fma_f64 v[6:7], v[4:5], v[6:7], s[20:21]
	s_mov_b32 s20, 0xaf56de9b
	s_mov_b32 s21, 0xbf67952d
	v_fma_f64 v[6:7], v[4:5], v[6:7], s[20:21]
	s_mov_b32 s20, 0xa595c56f
	s_mov_b32 s21, 0x3f7d6d43
	;; [unrolled: 3-line block ×18, first 2 shown]
	v_mul_f64 v[4:5], v[4:5], v[6:7]
	v_fma_f64 v[0:1], v[0:1], v[4:5], v[0:1]
	v_ashrrev_i32_e32 v5, 31, v2
	v_add_co_u32 v4, s0, s8, v2
	v_add_co_ci_u32_e64 v5, null, s9, v5, s0
	v_fma_f64 v[6:7], s[22:23], s[20:21], -v[0:1]
	s_and_b32 s20, s1, 0xff
	s_cmp_lt_i32 s20, 11
	v_cndmask_b32_e32 v1, v1, v7, vcc_lo
	v_cndmask_b32_e32 v0, v0, v6, vcc_lo
	v_bfi_b32 v1, 0x7fffffff, v1, v3
	s_cbranch_scc1 .LBB6_658
; %bb.651:
	s_and_b32 s21, 0xffff, s20
	s_cmp_gt_i32 s21, 25
	s_cbranch_scc0 .LBB6_659
; %bb.652:
	s_cmp_gt_i32 s21, 28
	s_cbranch_scc0 .LBB6_660
; %bb.653:
	;; [unrolled: 3-line block ×4, first 2 shown]
	s_mov_b32 s23, 0
	s_mov_b32 s0, -1
	s_cmp_eq_u32 s21, 46
	s_mov_b32 s22, 0
	s_cbranch_scc0 .LBB6_663
; %bb.656:
	v_cvt_f32_f64_e32 v2, v[0:1]
	s_mov_b32 s22, -1
	s_mov_b32 s0, 0
	v_bfe_u32 v3, v2, 16, 1
	v_cmp_o_f32_e32 vcc_lo, v2, v2
	v_add3_u32 v2, v2, v3, 0x7fff
	v_mov_b32_e32 v3, 0x7fc0
	v_cndmask_b32_sdwa v2, v3, v2, vcc_lo dst_sel:DWORD dst_unused:UNUSED_PAD src0_sel:DWORD src1_sel:WORD_1
	global_store_dword v[4:5], v2, off
	s_branch .LBB6_663
.LBB6_657:
	s_mov_b32 s20, 0
	s_mov_b32 s0, s16
	s_branch .LBB6_774
.LBB6_658:
	s_mov_b32 s21, -1
	s_mov_b32 s22, 0
	s_mov_b32 s0, s16
	s_branch .LBB6_732
.LBB6_659:
	s_mov_b32 s23, -1
	s_mov_b32 s22, 0
	s_mov_b32 s0, s16
	s_branch .LBB6_690
.LBB6_660:
	s_mov_b32 s23, -1
	s_mov_b32 s22, 0
	s_mov_b32 s0, s16
	s_branch .LBB6_673
.LBB6_661:
	s_mov_b32 s23, -1
	s_mov_b32 s22, 0
	s_mov_b32 s0, s16
	s_branch .LBB6_669
.LBB6_662:
	s_mov_b32 s23, -1
	s_mov_b32 s22, 0
	s_mov_b32 s0, s16
.LBB6_663:
	s_and_b32 vcc_lo, exec_lo, s23
	s_cbranch_vccz .LBB6_668
; %bb.664:
	s_cmp_eq_u32 s21, 44
	s_mov_b32 s0, -1
	s_cbranch_scc0 .LBB6_668
; %bb.665:
	v_cvt_f32_f64_e32 v2, v[0:1]
	v_mov_b32_e32 v3, 0xff
	s_mov_b32 s22, exec_lo
	v_bfe_u32 v6, v2, 23, 8
	v_cmpx_ne_u32_e32 0xff, v6
	s_cbranch_execz .LBB6_667
; %bb.666:
	v_and_b32_e32 v3, 0x400000, v2
	v_and_or_b32 v6, 0x3fffff, v2, v6
	v_lshrrev_b32_e32 v2, 23, v2
	v_cmp_ne_u32_e32 vcc_lo, 0, v3
	v_cmp_ne_u32_e64 s0, 0, v6
	s_and_b32 s0, vcc_lo, s0
	v_cndmask_b32_e64 v3, 0, 1, s0
	v_add_nc_u32_e32 v3, v2, v3
.LBB6_667:
	s_or_b32 exec_lo, exec_lo, s22
	s_mov_b32 s22, -1
	s_mov_b32 s0, 0
	global_store_byte v[4:5], v3, off
.LBB6_668:
	s_mov_b32 s23, 0
.LBB6_669:
	s_and_b32 vcc_lo, exec_lo, s23
	s_cbranch_vccz .LBB6_672
; %bb.670:
	s_cmp_eq_u32 s21, 29
	s_mov_b32 s0, -1
	s_cbranch_scc0 .LBB6_672
; %bb.671:
	v_trunc_f64_e32 v[2:3], v[0:1]
	s_mov_b32 s22, -1
	s_mov_b32 s0, 0
	s_mov_b32 s23, 0
	v_ldexp_f64 v[6:7], v[2:3], 0xffffffe0
	v_floor_f64_e32 v[6:7], v[6:7]
	v_fma_f64 v[2:3], 0xc1f00000, v[6:7], v[2:3]
	v_cvt_u32_f64_e32 v7, v[6:7]
	v_cvt_u32_f64_e32 v6, v[2:3]
	global_store_dwordx2 v[4:5], v[6:7], off
	s_branch .LBB6_673
.LBB6_672:
	s_mov_b32 s23, 0
.LBB6_673:
	s_and_b32 vcc_lo, exec_lo, s23
	s_cbranch_vccz .LBB6_689
; %bb.674:
	s_cmp_lt_i32 s21, 27
	s_mov_b32 s22, -1
	s_cbranch_scc1 .LBB6_680
; %bb.675:
	v_cvt_u32_f64_e32 v2, v[0:1]
	s_cmp_gt_i32 s21, 27
	s_cbranch_scc0 .LBB6_677
; %bb.676:
	s_mov_b32 s22, 0
	global_store_dword v[4:5], v2, off
.LBB6_677:
	s_andn2_b32 vcc_lo, exec_lo, s22
	s_cbranch_vccnz .LBB6_679
; %bb.678:
	global_store_short v[4:5], v2, off
.LBB6_679:
	s_mov_b32 s22, 0
.LBB6_680:
	s_andn2_b32 vcc_lo, exec_lo, s22
	s_cbranch_vccnz .LBB6_688
; %bb.681:
	v_cvt_f32_f64_e32 v2, v[0:1]
	v_mov_b32_e32 v6, 0x80
	s_mov_b32 s22, exec_lo
	v_and_b32_e32 v3, 0x7fffffff, v2
	v_cmpx_gt_u32_e32 0x43800000, v3
	s_cbranch_execz .LBB6_687
; %bb.682:
	v_cmp_lt_u32_e32 vcc_lo, 0x3bffffff, v3
	s_mov_b32 s23, 0
                                        ; implicit-def: $vgpr3
	s_and_saveexec_b32 s24, vcc_lo
	s_xor_b32 s24, exec_lo, s24
	s_cbranch_execz .LBB6_789
; %bb.683:
	v_bfe_u32 v3, v2, 20, 1
	s_mov_b32 s23, exec_lo
	v_add3_u32 v3, v2, v3, 0x487ffff
	v_lshrrev_b32_e32 v3, 20, v3
	s_andn2_saveexec_b32 s24, s24
	s_cbranch_execnz .LBB6_790
.LBB6_684:
	s_or_b32 exec_lo, exec_lo, s24
	v_mov_b32_e32 v6, 0
	s_and_saveexec_b32 s24, s23
.LBB6_685:
	v_lshrrev_b32_e32 v2, 24, v2
	v_and_or_b32 v6, 0x80, v2, v3
.LBB6_686:
	s_or_b32 exec_lo, exec_lo, s24
.LBB6_687:
	s_or_b32 exec_lo, exec_lo, s22
	global_store_byte v[4:5], v6, off
.LBB6_688:
	s_mov_b32 s22, -1
.LBB6_689:
	s_mov_b32 s23, 0
.LBB6_690:
	s_and_b32 vcc_lo, exec_lo, s23
	s_cbranch_vccz .LBB6_731
; %bb.691:
	s_cmp_gt_i32 s21, 22
	s_mov_b32 s23, -1
	s_cbranch_scc0 .LBB6_723
; %bb.692:
	s_cmp_lt_i32 s21, 24
	s_mov_b32 s22, -1
	s_cbranch_scc1 .LBB6_712
; %bb.693:
	s_cmp_gt_i32 s21, 24
	s_cbranch_scc0 .LBB6_701
; %bb.694:
	v_cvt_f32_f64_e32 v2, v[0:1]
	v_mov_b32_e32 v6, 0x80
	s_mov_b32 s22, exec_lo
	v_and_b32_e32 v3, 0x7fffffff, v2
	v_cmpx_gt_u32_e32 0x47800000, v3
	s_cbranch_execz .LBB6_700
; %bb.695:
	v_cmp_lt_u32_e32 vcc_lo, 0x37ffffff, v3
	s_mov_b32 s23, 0
                                        ; implicit-def: $vgpr3
	s_and_saveexec_b32 s24, vcc_lo
	s_xor_b32 s24, exec_lo, s24
	s_cbranch_execz .LBB6_792
; %bb.696:
	v_bfe_u32 v3, v2, 21, 1
	s_mov_b32 s23, exec_lo
	v_add3_u32 v3, v2, v3, 0x88fffff
	v_lshrrev_b32_e32 v3, 21, v3
	s_andn2_saveexec_b32 s24, s24
	s_cbranch_execnz .LBB6_793
.LBB6_697:
	s_or_b32 exec_lo, exec_lo, s24
	v_mov_b32_e32 v6, 0
	s_and_saveexec_b32 s24, s23
.LBB6_698:
	v_lshrrev_b32_e32 v2, 24, v2
	v_and_or_b32 v6, 0x80, v2, v3
.LBB6_699:
	s_or_b32 exec_lo, exec_lo, s24
.LBB6_700:
	s_or_b32 exec_lo, exec_lo, s22
	s_mov_b32 s22, 0
	global_store_byte v[4:5], v6, off
.LBB6_701:
	s_and_b32 vcc_lo, exec_lo, s22
	s_cbranch_vccz .LBB6_711
; %bb.702:
	v_cvt_f32_f64_e32 v2, v[0:1]
	s_mov_b32 s22, exec_lo
                                        ; implicit-def: $vgpr3
	v_and_b32_e32 v6, 0x7fffffff, v2
	v_cmpx_gt_u32_e32 0x43f00000, v6
	s_xor_b32 s22, exec_lo, s22
	s_cbranch_execz .LBB6_708
; %bb.703:
	s_mov_b32 s23, exec_lo
                                        ; implicit-def: $vgpr3
	v_cmpx_lt_u32_e32 0x3c7fffff, v6
	s_xor_b32 s23, exec_lo, s23
; %bb.704:
	v_bfe_u32 v3, v2, 20, 1
	v_add3_u32 v3, v2, v3, 0x407ffff
	v_and_b32_e32 v6, 0xff00000, v3
	v_lshrrev_b32_e32 v3, 20, v3
	v_cmp_ne_u32_e32 vcc_lo, 0x7f00000, v6
	v_cndmask_b32_e32 v3, 0x7e, v3, vcc_lo
; %bb.705:
	s_andn2_saveexec_b32 s23, s23
; %bb.706:
	v_add_f32_e64 v3, 0x46800000, |v2|
; %bb.707:
	s_or_b32 exec_lo, exec_lo, s23
                                        ; implicit-def: $vgpr6
.LBB6_708:
	s_andn2_saveexec_b32 s22, s22
; %bb.709:
	v_mov_b32_e32 v3, 0x7f
	v_cmp_lt_u32_e32 vcc_lo, 0x7f800000, v6
	v_cndmask_b32_e32 v3, 0x7e, v3, vcc_lo
; %bb.710:
	s_or_b32 exec_lo, exec_lo, s22
	v_lshrrev_b32_e32 v2, 24, v2
	v_and_or_b32 v2, 0x80, v2, v3
	global_store_byte v[4:5], v2, off
.LBB6_711:
	s_mov_b32 s22, 0
.LBB6_712:
	s_andn2_b32 vcc_lo, exec_lo, s22
	s_cbranch_vccnz .LBB6_722
; %bb.713:
	v_cvt_f32_f64_e32 v2, v[0:1]
	s_mov_b32 s22, exec_lo
                                        ; implicit-def: $vgpr3
	v_and_b32_e32 v6, 0x7fffffff, v2
	v_cmpx_gt_u32_e32 0x47800000, v6
	s_xor_b32 s22, exec_lo, s22
	s_cbranch_execz .LBB6_719
; %bb.714:
	s_mov_b32 s23, exec_lo
                                        ; implicit-def: $vgpr3
	v_cmpx_lt_u32_e32 0x387fffff, v6
	s_xor_b32 s23, exec_lo, s23
; %bb.715:
	v_bfe_u32 v3, v2, 21, 1
	v_add3_u32 v3, v2, v3, 0x80fffff
	v_lshrrev_b32_e32 v3, 21, v3
; %bb.716:
	s_andn2_saveexec_b32 s23, s23
; %bb.717:
	v_add_f32_e64 v3, 0x43000000, |v2|
; %bb.718:
	s_or_b32 exec_lo, exec_lo, s23
                                        ; implicit-def: $vgpr6
.LBB6_719:
	s_andn2_saveexec_b32 s22, s22
; %bb.720:
	v_mov_b32_e32 v3, 0x7f
	v_cmp_lt_u32_e32 vcc_lo, 0x7f800000, v6
	v_cndmask_b32_e32 v3, 0x7c, v3, vcc_lo
; %bb.721:
	s_or_b32 exec_lo, exec_lo, s22
	v_lshrrev_b32_e32 v2, 24, v2
	v_and_or_b32 v2, 0x80, v2, v3
	global_store_byte v[4:5], v2, off
.LBB6_722:
	s_mov_b32 s23, 0
	s_mov_b32 s22, -1
.LBB6_723:
	s_andn2_b32 vcc_lo, exec_lo, s23
	s_cbranch_vccnz .LBB6_731
; %bb.724:
	s_cmp_gt_i32 s21, 14
	s_mov_b32 s23, -1
	s_cbranch_scc0 .LBB6_728
; %bb.725:
	s_cmp_eq_u32 s21, 15
	s_mov_b32 s0, -1
	s_cbranch_scc0 .LBB6_727
; %bb.726:
	v_cvt_f32_f64_e32 v2, v[0:1]
	s_mov_b32 s22, -1
	s_mov_b32 s0, 0
	v_bfe_u32 v3, v2, 16, 1
	v_cmp_o_f32_e32 vcc_lo, v2, v2
	v_add3_u32 v2, v2, v3, 0x7fff
	v_mov_b32_e32 v3, 0x7fc0
	v_cndmask_b32_sdwa v2, v3, v2, vcc_lo dst_sel:DWORD dst_unused:UNUSED_PAD src0_sel:DWORD src1_sel:WORD_1
	global_store_short v[4:5], v2, off
.LBB6_727:
	s_mov_b32 s23, 0
.LBB6_728:
	s_and_b32 vcc_lo, exec_lo, s23
	s_cbranch_vccz .LBB6_731
; %bb.729:
	s_cmp_eq_u32 s21, 11
	s_mov_b32 s0, -1
	s_cbranch_scc0 .LBB6_731
; %bb.730:
	v_cmp_neq_f64_e32 vcc_lo, 0, v[0:1]
	s_mov_b32 s22, -1
	s_mov_b32 s0, 0
	v_cndmask_b32_e64 v2, 0, 1, vcc_lo
	global_store_byte v[4:5], v2, off
.LBB6_731:
	s_mov_b32 s21, 0
.LBB6_732:
	s_and_b32 vcc_lo, exec_lo, s21
	s_cbranch_vccz .LBB6_771
; %bb.733:
	s_and_b32 s20, 0xffff, s20
	s_mov_b32 s21, -1
	s_cmp_lt_i32 s20, 5
	s_cbranch_scc1 .LBB6_754
; %bb.734:
	s_cmp_lt_i32 s20, 8
	s_cbranch_scc1 .LBB6_744
; %bb.735:
	;; [unrolled: 3-line block ×3, first 2 shown]
	s_cmp_gt_i32 s20, 9
	s_cbranch_scc0 .LBB6_738
; %bb.737:
	v_mov_b32_e32 v2, 0
	s_mov_b32 s21, 0
	v_mov_b32_e32 v3, v2
	global_store_dwordx4 v[4:5], v[0:3], off
.LBB6_738:
	s_andn2_b32 vcc_lo, exec_lo, s21
	s_cbranch_vccnz .LBB6_740
; %bb.739:
	v_cvt_f32_f64_e32 v2, v[0:1]
	v_mov_b32_e32 v3, 0
	global_store_dwordx2 v[4:5], v[2:3], off
.LBB6_740:
	s_mov_b32 s21, 0
.LBB6_741:
	s_andn2_b32 vcc_lo, exec_lo, s21
	s_cbranch_vccnz .LBB6_743
; %bb.742:
	v_and_or_b32 v2, 0x1ff, v1, v0
	v_lshrrev_b32_e32 v3, 8, v1
	v_bfe_u32 v6, v1, 20, 11
	v_cmp_ne_u32_e32 vcc_lo, 0, v2
	v_sub_nc_u32_e32 v7, 0x3f1, v6
	v_add_nc_u32_e32 v6, 0xfffffc10, v6
	v_cndmask_b32_e64 v2, 0, 1, vcc_lo
	v_and_or_b32 v2, 0xffe, v3, v2
	v_med3_i32 v3, v7, 0, 13
	v_or_b32_e32 v7, 0x1000, v2
	v_lshrrev_b32_e32 v8, v3, v7
	v_lshlrev_b32_e32 v3, v3, v8
	v_cmp_ne_u32_e32 vcc_lo, v3, v7
	v_lshl_or_b32 v7, v6, 12, v2
	v_cndmask_b32_e64 v3, 0, 1, vcc_lo
	v_cmp_gt_i32_e32 vcc_lo, 1, v6
	v_or_b32_e32 v3, v8, v3
	v_cndmask_b32_e32 v3, v7, v3, vcc_lo
	v_and_b32_e32 v7, 7, v3
	v_lshrrev_b32_e32 v3, 2, v3
	v_cmp_lt_i32_e32 vcc_lo, 5, v7
	v_cndmask_b32_e64 v8, 0, 1, vcc_lo
	v_cmp_eq_u32_e32 vcc_lo, 3, v7
	v_cndmask_b32_e64 v7, 0, 1, vcc_lo
	v_cmp_ne_u32_e32 vcc_lo, 0, v2
	v_or_b32_e32 v7, v7, v8
	v_mov_b32_e32 v8, 0x7e00
	v_add_nc_u32_e32 v3, v3, v7
	v_cndmask_b32_e32 v2, 0x7c00, v8, vcc_lo
	v_cmp_gt_i32_e32 vcc_lo, 31, v6
	v_cndmask_b32_e32 v3, 0x7c00, v3, vcc_lo
	v_cmp_eq_u32_e32 vcc_lo, 0x40f, v6
	v_cndmask_b32_e32 v2, v3, v2, vcc_lo
	v_lshrrev_b32_e32 v3, 16, v1
	v_and_or_b32 v2, 0x8000, v3, v2
	v_and_b32_e32 v2, 0xffff, v2
	global_store_dword v[4:5], v2, off
.LBB6_743:
	s_mov_b32 s21, 0
.LBB6_744:
	s_andn2_b32 vcc_lo, exec_lo, s21
	s_cbranch_vccnz .LBB6_753
; %bb.745:
	s_cmp_lt_i32 s20, 6
	s_mov_b32 s21, -1
	s_cbranch_scc1 .LBB6_751
; %bb.746:
	s_cmp_gt_i32 s20, 6
	s_cbranch_scc0 .LBB6_748
; %bb.747:
	s_mov_b32 s21, 0
	global_store_dwordx2 v[4:5], v[0:1], off
.LBB6_748:
	s_andn2_b32 vcc_lo, exec_lo, s21
	s_cbranch_vccnz .LBB6_750
; %bb.749:
	v_cvt_f32_f64_e32 v2, v[0:1]
	global_store_dword v[4:5], v2, off
.LBB6_750:
	s_mov_b32 s21, 0
.LBB6_751:
	s_andn2_b32 vcc_lo, exec_lo, s21
	s_cbranch_vccnz .LBB6_753
; %bb.752:
	v_and_or_b32 v2, 0x1ff, v1, v0
	v_lshrrev_b32_e32 v3, 8, v1
	v_bfe_u32 v6, v1, 20, 11
	v_cmp_ne_u32_e32 vcc_lo, 0, v2
	v_sub_nc_u32_e32 v7, 0x3f1, v6
	v_add_nc_u32_e32 v6, 0xfffffc10, v6
	v_cndmask_b32_e64 v2, 0, 1, vcc_lo
	v_and_or_b32 v2, 0xffe, v3, v2
	v_med3_i32 v3, v7, 0, 13
	v_or_b32_e32 v7, 0x1000, v2
	v_lshrrev_b32_e32 v8, v3, v7
	v_lshlrev_b32_e32 v3, v3, v8
	v_cmp_ne_u32_e32 vcc_lo, v3, v7
	v_lshl_or_b32 v7, v6, 12, v2
	v_cndmask_b32_e64 v3, 0, 1, vcc_lo
	v_cmp_gt_i32_e32 vcc_lo, 1, v6
	v_or_b32_e32 v3, v8, v3
	v_cndmask_b32_e32 v3, v7, v3, vcc_lo
	v_and_b32_e32 v7, 7, v3
	v_lshrrev_b32_e32 v3, 2, v3
	v_cmp_lt_i32_e32 vcc_lo, 5, v7
	v_cndmask_b32_e64 v8, 0, 1, vcc_lo
	v_cmp_eq_u32_e32 vcc_lo, 3, v7
	v_cndmask_b32_e64 v7, 0, 1, vcc_lo
	v_cmp_ne_u32_e32 vcc_lo, 0, v2
	v_or_b32_e32 v7, v7, v8
	v_mov_b32_e32 v8, 0x7e00
	v_add_nc_u32_e32 v3, v3, v7
	v_cndmask_b32_e32 v2, 0x7c00, v8, vcc_lo
	v_cmp_gt_i32_e32 vcc_lo, 31, v6
	v_cndmask_b32_e32 v3, 0x7c00, v3, vcc_lo
	v_cmp_eq_u32_e32 vcc_lo, 0x40f, v6
	v_cndmask_b32_e32 v2, v3, v2, vcc_lo
	v_lshrrev_b32_e32 v3, 16, v1
	v_and_or_b32 v2, 0x8000, v3, v2
	global_store_short v[4:5], v2, off
.LBB6_753:
	s_mov_b32 s21, 0
.LBB6_754:
	s_andn2_b32 vcc_lo, exec_lo, s21
	s_cbranch_vccnz .LBB6_770
; %bb.755:
	s_cmp_lt_i32 s20, 2
	s_mov_b32 s21, -1
	s_cbranch_scc1 .LBB6_765
; %bb.756:
	s_cmp_lt_i32 s20, 3
	s_cbranch_scc1 .LBB6_762
; %bb.757:
	s_cmp_gt_i32 s20, 3
	s_cbranch_scc0 .LBB6_759
; %bb.758:
	v_trunc_f64_e32 v[2:3], v[0:1]
	s_mov_b32 s21, 0
	v_ldexp_f64 v[6:7], v[2:3], 0xffffffe0
	v_floor_f64_e32 v[6:7], v[6:7]
	v_fma_f64 v[2:3], 0xc1f00000, v[6:7], v[2:3]
	v_cvt_i32_f64_e32 v7, v[6:7]
	v_cvt_u32_f64_e32 v6, v[2:3]
	global_store_dwordx2 v[4:5], v[6:7], off
.LBB6_759:
	s_andn2_b32 vcc_lo, exec_lo, s21
	s_cbranch_vccnz .LBB6_761
; %bb.760:
	v_cvt_i32_f64_e32 v2, v[0:1]
	global_store_dword v[4:5], v2, off
.LBB6_761:
	s_mov_b32 s21, 0
.LBB6_762:
	s_andn2_b32 vcc_lo, exec_lo, s21
	s_cbranch_vccnz .LBB6_764
; %bb.763:
	v_cvt_i32_f64_e32 v2, v[0:1]
	global_store_short v[4:5], v2, off
.LBB6_764:
	s_mov_b32 s21, 0
.LBB6_765:
	s_andn2_b32 vcc_lo, exec_lo, s21
	s_cbranch_vccnz .LBB6_770
; %bb.766:
	s_cmp_gt_i32 s20, 0
	s_mov_b32 s20, -1
	s_cbranch_scc0 .LBB6_768
; %bb.767:
	v_cvt_i32_f64_e32 v2, v[0:1]
	s_mov_b32 s20, 0
	global_store_byte v[4:5], v2, off
.LBB6_768:
	s_andn2_b32 vcc_lo, exec_lo, s20
	s_cbranch_vccnz .LBB6_770
; %bb.769:
	v_trunc_f64_e32 v[0:1], v[0:1]
	v_ldexp_f64 v[2:3], v[0:1], 0xffffffe0
	v_floor_f64_e32 v[2:3], v[2:3]
	v_fma_f64 v[0:1], 0xc1f00000, v[2:3], v[0:1]
	v_cvt_u32_f64_e32 v0, v[0:1]
	global_store_byte v[4:5], v0, off
.LBB6_770:
	s_mov_b32 s22, -1
.LBB6_771:
	s_andn2_b32 vcc_lo, exec_lo, s22
	s_cbranch_vccnz .LBB6_773
; %bb.772:
	v_add_nc_u32_e32 v10, 0x80, v10
	s_mov_b32 s20, -1
	s_branch .LBB6_775
.LBB6_773:
	s_mov_b32 s20, 0
.LBB6_774:
                                        ; implicit-def: $vgpr10
.LBB6_775:
	s_andn2_b32 s21, s16, exec_lo
	s_and_b32 s0, s0, exec_lo
	s_andn2_b32 s22, s15, exec_lo
	s_and_b32 s23, s19, exec_lo
	s_or_b32 s19, s21, s0
	s_or_b32 s0, s22, s23
	s_orn2_b32 s20, s20, exec_lo
.LBB6_776:
	s_or_b32 exec_lo, exec_lo, s18
	s_mov_b32 s21, 0
	s_mov_b32 s22, 0
	;; [unrolled: 1-line block ×3, first 2 shown]
                                        ; implicit-def: $vgpr0_vgpr1
                                        ; implicit-def: $vgpr2_vgpr3
	s_and_saveexec_b32 s18, s20
	s_cbranch_execz .LBB6_861
; %bb.777:
	v_cmp_gt_i32_e32 vcc_lo, s12, v10
	s_mov_b32 s20, 0
	s_mov_b32 s21, s0
	;; [unrolled: 1-line block ×3, first 2 shown]
                                        ; implicit-def: $vgpr0_vgpr1
                                        ; implicit-def: $vgpr2_vgpr3
	s_and_saveexec_b32 s12, vcc_lo
	s_cbranch_execz .LBB6_860
; %bb.778:
	v_mul_lo_u32 v0, v10, s3
	s_and_b32 s20, 0xffff, s5
	s_cmp_lt_i32 s20, 11
	v_ashrrev_i32_e32 v1, 31, v0
	v_add_co_u32 v0, vcc_lo, s10, v0
	v_add_co_ci_u32_e64 v1, null, s11, v1, vcc_lo
	s_cbranch_scc1 .LBB6_785
; %bb.779:
	s_cmp_gt_i32 s20, 25
	s_cbranch_scc0 .LBB6_786
; %bb.780:
	s_cmp_gt_i32 s20, 28
	s_cbranch_scc0 .LBB6_787
	;; [unrolled: 3-line block ×4, first 2 shown]
; %bb.783:
	s_cmp_eq_u32 s20, 46
	s_cbranch_scc0 .LBB6_794
; %bb.784:
	global_load_dword v2, v[0:1], off
	s_mov_b32 s21, 0
	s_mov_b32 s23, -1
	s_waitcnt vmcnt(0)
	v_lshlrev_b32_e32 v2, 16, v2
	v_cvt_f64_f32_e32 v[2:3], v2
	s_branch .LBB6_796
.LBB6_785:
	s_mov_b32 s20, -1
	s_mov_b32 s21, s0
                                        ; implicit-def: $vgpr2_vgpr3
	s_branch .LBB6_859
.LBB6_786:
	s_mov_b32 s24, -1
	s_mov_b32 s21, s0
                                        ; implicit-def: $vgpr2_vgpr3
	s_branch .LBB6_827
.LBB6_787:
	s_mov_b32 s24, -1
	s_mov_b32 s21, s0
                                        ; implicit-def: $vgpr2_vgpr3
	s_branch .LBB6_806
.LBB6_788:
	s_mov_b32 s24, -1
	s_mov_b32 s21, s0
                                        ; implicit-def: $vgpr2_vgpr3
	s_branch .LBB6_801
.LBB6_789:
	s_andn2_saveexec_b32 s24, s24
	s_cbranch_execz .LBB6_684
.LBB6_790:
	v_add_f32_e64 v3, 0x46000000, |v2|
	s_andn2_b32 s23, s23, exec_lo
	v_and_b32_e32 v3, 0xff, v3
	v_cmp_ne_u32_e32 vcc_lo, 0, v3
	s_and_b32 s25, vcc_lo, exec_lo
	s_or_b32 s23, s23, s25
	s_or_b32 exec_lo, exec_lo, s24
	v_mov_b32_e32 v6, 0
	s_and_saveexec_b32 s24, s23
	s_cbranch_execnz .LBB6_685
	s_branch .LBB6_686
.LBB6_791:
	s_mov_b32 s24, -1
	s_mov_b32 s21, s0
	s_branch .LBB6_795
.LBB6_792:
	s_andn2_saveexec_b32 s24, s24
	s_cbranch_execz .LBB6_697
.LBB6_793:
	v_add_f32_e64 v3, 0x42800000, |v2|
	s_andn2_b32 s23, s23, exec_lo
	v_and_b32_e32 v3, 0xff, v3
	v_cmp_ne_u32_e32 vcc_lo, 0, v3
	s_and_b32 s25, vcc_lo, exec_lo
	s_or_b32 s23, s23, s25
	s_or_b32 exec_lo, exec_lo, s24
	v_mov_b32_e32 v6, 0
	s_and_saveexec_b32 s24, s23
	s_cbranch_execnz .LBB6_698
	s_branch .LBB6_699
.LBB6_794:
	s_mov_b32 s21, -1
.LBB6_795:
                                        ; implicit-def: $vgpr2_vgpr3
.LBB6_796:
	s_and_b32 vcc_lo, exec_lo, s24
	s_cbranch_vccz .LBB6_800
; %bb.797:
	s_cmp_eq_u32 s20, 44
	s_cbranch_scc0 .LBB6_799
; %bb.798:
	global_load_ubyte v4, v[0:1], off
	s_mov_b32 s21, 0
	s_mov_b32 s23, -1
	s_waitcnt vmcnt(0)
	v_lshlrev_b32_e32 v2, 23, v4
	v_cmp_ne_u32_e32 vcc_lo, 0xff, v4
	v_cvt_f64_f32_e32 v[2:3], v2
	v_cndmask_b32_e32 v2, 0x20000000, v2, vcc_lo
	v_cndmask_b32_e32 v3, 0x7ff80000, v3, vcc_lo
	v_cmp_ne_u32_e32 vcc_lo, 0, v4
	v_cndmask_b32_e32 v3, 0x38000000, v3, vcc_lo
	v_cndmask_b32_e32 v2, 0, v2, vcc_lo
	s_branch .LBB6_800
.LBB6_799:
	s_mov_b32 s21, -1
                                        ; implicit-def: $vgpr2_vgpr3
.LBB6_800:
	s_mov_b32 s24, 0
.LBB6_801:
	s_and_b32 vcc_lo, exec_lo, s24
	s_cbranch_vccz .LBB6_805
; %bb.802:
	s_cmp_eq_u32 s20, 29
	s_cbranch_scc0 .LBB6_804
; %bb.803:
	global_load_dwordx2 v[2:3], v[0:1], off
	s_mov_b32 s21, 0
	s_mov_b32 s23, -1
	s_mov_b32 s24, 0
	s_waitcnt vmcnt(0)
	v_cvt_f64_u32_e32 v[3:4], v3
	v_cvt_f64_u32_e32 v[5:6], v2
	v_ldexp_f64 v[3:4], v[3:4], 32
	v_add_f64 v[2:3], v[3:4], v[5:6]
	s_branch .LBB6_806
.LBB6_804:
	s_mov_b32 s21, -1
                                        ; implicit-def: $vgpr2_vgpr3
.LBB6_805:
	s_mov_b32 s24, 0
.LBB6_806:
	s_and_b32 vcc_lo, exec_lo, s24
	s_cbranch_vccz .LBB6_826
; %bb.807:
	s_cmp_lt_i32 s20, 27
	s_cbranch_scc1 .LBB6_810
; %bb.808:
	s_cmp_gt_i32 s20, 27
	s_cbranch_scc0 .LBB6_811
; %bb.809:
	global_load_dword v2, v[0:1], off
	s_mov_b32 s23, 0
	s_waitcnt vmcnt(0)
	v_cvt_f64_u32_e32 v[2:3], v2
	s_branch .LBB6_812
.LBB6_810:
	s_mov_b32 s23, -1
                                        ; implicit-def: $vgpr2_vgpr3
	s_branch .LBB6_815
.LBB6_811:
	s_mov_b32 s23, -1
                                        ; implicit-def: $vgpr2_vgpr3
.LBB6_812:
	s_andn2_b32 vcc_lo, exec_lo, s23
	s_cbranch_vccnz .LBB6_814
; %bb.813:
	global_load_ushort v2, v[0:1], off
	s_waitcnt vmcnt(0)
	v_cvt_f64_u32_e32 v[2:3], v2
.LBB6_814:
	s_mov_b32 s23, 0
.LBB6_815:
	s_andn2_b32 vcc_lo, exec_lo, s23
	s_cbranch_vccnz .LBB6_825
; %bb.816:
	global_load_ubyte v4, v[0:1], off
	s_mov_b32 s23, 0
	s_mov_b32 s24, exec_lo
	s_waitcnt vmcnt(0)
	v_cmpx_lt_i16_e32 0x7f, v4
	s_xor_b32 s24, exec_lo, s24
	s_cbranch_execz .LBB6_820
; %bb.817:
	s_mov_b32 s23, -1
	s_mov_b32 s25, exec_lo
	v_cmpx_eq_u16_e32 0x80, v4
; %bb.818:
	s_xor_b32 s23, exec_lo, -1
; %bb.819:
	s_or_b32 exec_lo, exec_lo, s25
	s_and_b32 s23, s23, exec_lo
.LBB6_820:
	s_or_saveexec_b32 s24, s24
	v_bfrev_b32_e32 v2, 4
	v_mov_b32_e32 v3, 0x7ff80000
	s_xor_b32 exec_lo, exec_lo, s24
; %bb.821:
	v_cmp_ne_u16_e32 vcc_lo, 0, v4
	v_mov_b32_e32 v2, 0
	v_mov_b32_e32 v3, 0
	s_andn2_b32 s23, s23, exec_lo
	s_and_b32 s25, vcc_lo, exec_lo
	s_or_b32 s23, s23, s25
; %bb.822:
	s_or_b32 exec_lo, exec_lo, s24
	s_and_saveexec_b32 s24, s23
	s_cbranch_execz .LBB6_824
; %bb.823:
	v_and_b32_e32 v2, 0xffff, v4
	v_lshlrev_b32_e32 v4, 24, v4
	v_and_b32_e32 v3, 7, v2
	v_bfe_u32 v7, v2, 3, 4
	v_ffbh_u32_e32 v5, v3
	v_cmp_eq_u32_e32 vcc_lo, 0, v7
	v_min_u32_e32 v5, 32, v5
	v_subrev_nc_u32_e32 v6, 28, v5
	v_sub_nc_u32_e32 v5, 29, v5
	v_lshlrev_b32_e32 v2, v6, v2
	v_cndmask_b32_e32 v5, v7, v5, vcc_lo
	v_and_b32_e32 v2, 7, v2
	v_cndmask_b32_e32 v2, v3, v2, vcc_lo
	v_and_b32_e32 v3, 0x80000000, v4
	v_lshl_add_u32 v4, v5, 23, 0x3b800000
	v_lshlrev_b32_e32 v2, 20, v2
	v_or3_b32 v2, v3, v4, v2
	v_cvt_f64_f32_e32 v[2:3], v2
.LBB6_824:
	s_or_b32 exec_lo, exec_lo, s24
.LBB6_825:
	s_mov_b32 s23, -1
.LBB6_826:
	s_mov_b32 s24, 0
.LBB6_827:
	s_and_b32 vcc_lo, exec_lo, s24
	s_cbranch_vccz .LBB6_858
; %bb.828:
	s_cmp_gt_i32 s20, 22
	s_cbranch_scc0 .LBB6_840
; %bb.829:
	s_cmp_lt_i32 s20, 24
	s_cbranch_scc1 .LBB6_841
; %bb.830:
	s_cmp_gt_i32 s20, 24
	s_cbranch_scc0 .LBB6_842
; %bb.831:
	global_load_ubyte v4, v[0:1], off
	s_mov_b32 s23, exec_lo
	s_waitcnt vmcnt(0)
	v_cmpx_lt_i16_e32 0x7f, v4
	s_xor_b32 s23, exec_lo, s23
	s_cbranch_execz .LBB6_835
; %bb.832:
	s_mov_b32 s22, -1
	s_mov_b32 s24, exec_lo
	v_cmpx_eq_u16_e32 0x80, v4
; %bb.833:
	s_xor_b32 s22, exec_lo, -1
; %bb.834:
	s_or_b32 exec_lo, exec_lo, s24
	s_and_b32 s22, s22, exec_lo
.LBB6_835:
	s_or_saveexec_b32 s23, s23
	v_bfrev_b32_e32 v2, 4
	v_mov_b32_e32 v3, 0x7ff80000
	s_xor_b32 exec_lo, exec_lo, s23
; %bb.836:
	v_cmp_ne_u16_e32 vcc_lo, 0, v4
	v_mov_b32_e32 v2, 0
	v_mov_b32_e32 v3, 0
	s_andn2_b32 s22, s22, exec_lo
	s_and_b32 s24, vcc_lo, exec_lo
	s_or_b32 s22, s22, s24
; %bb.837:
	s_or_b32 exec_lo, exec_lo, s23
	s_and_saveexec_b32 s23, s22
	s_cbranch_execz .LBB6_839
; %bb.838:
	v_and_b32_e32 v2, 0xffff, v4
	v_lshlrev_b32_e32 v4, 24, v4
	v_and_b32_e32 v3, 3, v2
	v_bfe_u32 v7, v2, 2, 5
	v_ffbh_u32_e32 v5, v3
	v_cmp_eq_u32_e32 vcc_lo, 0, v7
	v_min_u32_e32 v5, 32, v5
	v_subrev_nc_u32_e32 v6, 29, v5
	v_sub_nc_u32_e32 v5, 30, v5
	v_lshlrev_b32_e32 v2, v6, v2
	v_cndmask_b32_e32 v5, v7, v5, vcc_lo
	v_and_b32_e32 v2, 3, v2
	v_cndmask_b32_e32 v2, v3, v2, vcc_lo
	v_and_b32_e32 v3, 0x80000000, v4
	v_lshl_add_u32 v4, v5, 23, 0x37800000
	v_lshlrev_b32_e32 v2, 21, v2
	v_or3_b32 v2, v3, v4, v2
	v_cvt_f64_f32_e32 v[2:3], v2
.LBB6_839:
	s_or_b32 exec_lo, exec_lo, s23
	s_mov_b32 s22, 0
	s_branch .LBB6_843
.LBB6_840:
	s_mov_b32 s22, -1
                                        ; implicit-def: $vgpr2_vgpr3
	s_branch .LBB6_849
.LBB6_841:
	s_mov_b32 s22, -1
                                        ; implicit-def: $vgpr2_vgpr3
	s_branch .LBB6_846
.LBB6_842:
	s_mov_b32 s22, -1
                                        ; implicit-def: $vgpr2_vgpr3
.LBB6_843:
	s_and_b32 vcc_lo, exec_lo, s22
	s_cbranch_vccz .LBB6_845
; %bb.844:
	global_load_ubyte v2, v[0:1], off
	s_waitcnt vmcnt(0)
	v_lshlrev_b32_e32 v2, 24, v2
	v_and_b32_e32 v3, 0x7f000000, v2
	v_ffbh_u32_e32 v4, v3
	v_add_nc_u32_e32 v6, 0x1000000, v3
	v_cmp_ne_u32_e32 vcc_lo, 0, v3
	v_min_u32_e32 v4, 32, v4
	v_sub_nc_u32_e64 v4, v4, 4 clamp
	v_lshlrev_b32_e32 v5, v4, v3
	v_lshlrev_b32_e32 v4, 23, v4
	v_lshrrev_b32_e32 v5, 4, v5
	v_sub_nc_u32_e32 v4, v5, v4
	v_ashrrev_i32_e32 v5, 8, v6
	v_add_nc_u32_e32 v4, 0x3c000000, v4
	v_and_or_b32 v4, 0x7f800000, v5, v4
	v_cndmask_b32_e32 v3, 0, v4, vcc_lo
	v_and_or_b32 v2, 0x80000000, v2, v3
	v_cvt_f64_f32_e32 v[2:3], v2
.LBB6_845:
	s_mov_b32 s22, 0
.LBB6_846:
	s_andn2_b32 vcc_lo, exec_lo, s22
	s_cbranch_vccnz .LBB6_848
; %bb.847:
	global_load_ubyte v2, v[0:1], off
	s_waitcnt vmcnt(0)
	v_lshlrev_b32_e32 v3, 25, v2
	v_lshlrev_b16 v2, 8, v2
	v_lshrrev_b32_e32 v4, 4, v3
	v_and_or_b32 v5, 0x7f00, v2, 0.5
	v_cmp_gt_u32_e32 vcc_lo, 0x8000000, v3
	v_bfe_i32 v2, v2, 0, 16
	v_or_b32_e32 v4, 0x70000000, v4
	v_add_f32_e32 v5, -0.5, v5
	v_mul_f32_e32 v4, 0x7800000, v4
	v_cndmask_b32_e32 v3, v4, v5, vcc_lo
	v_and_or_b32 v2, 0x80000000, v2, v3
	v_cvt_f64_f32_e32 v[2:3], v2
.LBB6_848:
	s_mov_b32 s22, 0
	s_mov_b32 s23, -1
.LBB6_849:
	s_andn2_b32 vcc_lo, exec_lo, s22
	s_mov_b32 s22, 0
	s_cbranch_vccnz .LBB6_858
; %bb.850:
	s_cmp_gt_i32 s20, 14
	s_cbranch_scc0 .LBB6_853
; %bb.851:
	s_cmp_eq_u32 s20, 15
	s_cbranch_scc0 .LBB6_854
; %bb.852:
	global_load_ushort v2, v[0:1], off
	s_mov_b32 s21, 0
	s_mov_b32 s23, -1
	s_waitcnt vmcnt(0)
	v_lshlrev_b32_e32 v2, 16, v2
	v_cvt_f64_f32_e32 v[2:3], v2
	s_branch .LBB6_856
.LBB6_853:
	s_mov_b32 s22, -1
	s_branch .LBB6_855
.LBB6_854:
	s_mov_b32 s21, -1
.LBB6_855:
                                        ; implicit-def: $vgpr2_vgpr3
.LBB6_856:
	s_and_b32 vcc_lo, exec_lo, s22
	s_mov_b32 s22, 0
	s_cbranch_vccz .LBB6_858
; %bb.857:
	s_cmp_lg_u32 s20, 11
	s_mov_b32 s22, -1
	s_cselect_b32 s20, -1, 0
	s_andn2_b32 s21, s21, exec_lo
	s_and_b32 s20, s20, exec_lo
	s_or_b32 s21, s21, s20
.LBB6_858:
	s_mov_b32 s20, 0
.LBB6_859:
	s_andn2_b32 s25, s0, exec_lo
	s_and_b32 s21, s21, exec_lo
	s_and_b32 s23, s23, exec_lo
	;; [unrolled: 1-line block ×4, first 2 shown]
	s_or_b32 s21, s25, s21
.LBB6_860:
	s_or_b32 exec_lo, exec_lo, s12
	s_andn2_b32 s0, s0, exec_lo
	s_and_b32 s12, s21, exec_lo
	s_and_b32 s23, s23, exec_lo
	;; [unrolled: 1-line block ×4, first 2 shown]
	s_or_b32 s0, s0, s12
.LBB6_861:
	s_or_b32 exec_lo, exec_lo, s18
	s_andn2_b32 s12, s16, exec_lo
	s_and_b32 s16, s19, exec_lo
	s_and_b32 s0, s0, exec_lo
	s_or_b32 s16, s12, s16
	s_andn2_b32 s12, s15, exec_lo
	s_and_b32 s20, s23, exec_lo
	s_and_b32 s19, s22, exec_lo
	;; [unrolled: 1-line block ×3, first 2 shown]
	s_or_b32 s15, s12, s0
.LBB6_862:
	s_or_b32 exec_lo, exec_lo, s17
	s_andn2_b32 s0, s7, exec_lo
	s_and_b32 s7, s16, exec_lo
	s_andn2_b32 s12, s13, exec_lo
	s_and_b32 s13, s15, exec_lo
	s_or_b32 s7, s0, s7
	s_and_b32 s0, s20, exec_lo
	s_and_b32 s16, s19, exec_lo
	;; [unrolled: 1-line block ×3, first 2 shown]
	s_or_b32 s13, s12, s13
	s_or_b32 exec_lo, exec_lo, s14
	s_mov_b32 s12, 0
	s_and_saveexec_b32 s14, s13
	s_cbranch_execz .LBB6_262
.LBB6_863:
	s_mov_b32 s12, exec_lo
	s_andn2_b32 s15, s15, exec_lo
	s_trap 2
	s_or_b32 exec_lo, exec_lo, s14
	s_and_saveexec_b32 s13, s15
	s_xor_b32 s13, exec_lo, s13
	s_cbranch_execnz .LBB6_263
.LBB6_864:
	s_or_b32 exec_lo, exec_lo, s13
	s_and_saveexec_b32 s13, s16
	s_cbranch_execz .LBB6_910
.LBB6_865:
	s_sext_i32_i16 s14, s5
	s_cmp_lt_i32 s14, 5
	s_cbranch_scc1 .LBB6_870
; %bb.866:
	s_cmp_lt_i32 s14, 8
	s_cbranch_scc1 .LBB6_871
; %bb.867:
	;; [unrolled: 3-line block ×3, first 2 shown]
	s_cmp_gt_i32 s14, 9
	s_cbranch_scc0 .LBB6_873
; %bb.869:
	global_load_dwordx2 v[2:3], v[0:1], off
	s_mov_b32 s14, 0
	s_branch .LBB6_874
.LBB6_870:
                                        ; implicit-def: $vgpr2_vgpr3
	s_branch .LBB6_891
.LBB6_871:
                                        ; implicit-def: $vgpr2_vgpr3
	s_branch .LBB6_880
.LBB6_872:
	s_mov_b32 s14, -1
                                        ; implicit-def: $vgpr2_vgpr3
	s_branch .LBB6_877
.LBB6_873:
	s_mov_b32 s14, -1
                                        ; implicit-def: $vgpr2_vgpr3
.LBB6_874:
	s_andn2_b32 vcc_lo, exec_lo, s14
	s_cbranch_vccnz .LBB6_876
; %bb.875:
	global_load_dword v2, v[0:1], off
	s_waitcnt vmcnt(0)
	v_cvt_f64_f32_e32 v[2:3], v2
.LBB6_876:
	s_mov_b32 s14, 0
.LBB6_877:
	s_andn2_b32 vcc_lo, exec_lo, s14
	s_cbranch_vccnz .LBB6_879
; %bb.878:
	global_load_dword v2, v[0:1], off
	s_waitcnt vmcnt(0)
	v_cvt_f32_f16_e32 v2, v2
	v_cvt_f64_f32_e32 v[2:3], v2
.LBB6_879:
	s_cbranch_execnz .LBB6_890
.LBB6_880:
	s_sext_i32_i16 s14, s5
	s_cmp_lt_i32 s14, 6
	s_cbranch_scc1 .LBB6_883
; %bb.881:
	s_cmp_gt_i32 s14, 6
	s_cbranch_scc0 .LBB6_884
; %bb.882:
	global_load_dwordx2 v[2:3], v[0:1], off
	s_mov_b32 s14, 0
	s_branch .LBB6_885
.LBB6_883:
	s_mov_b32 s14, -1
                                        ; implicit-def: $vgpr2_vgpr3
	s_branch .LBB6_888
.LBB6_884:
	s_mov_b32 s14, -1
                                        ; implicit-def: $vgpr2_vgpr3
.LBB6_885:
	s_andn2_b32 vcc_lo, exec_lo, s14
	s_cbranch_vccnz .LBB6_887
; %bb.886:
	global_load_dword v2, v[0:1], off
	s_waitcnt vmcnt(0)
	v_cvt_f64_f32_e32 v[2:3], v2
.LBB6_887:
	s_mov_b32 s14, 0
.LBB6_888:
	s_andn2_b32 vcc_lo, exec_lo, s14
	s_cbranch_vccnz .LBB6_890
; %bb.889:
	global_load_ushort v2, v[0:1], off
	s_waitcnt vmcnt(0)
	v_cvt_f32_f16_e32 v2, v2
	v_cvt_f64_f32_e32 v[2:3], v2
.LBB6_890:
	s_cbranch_execnz .LBB6_909
.LBB6_891:
	s_sext_i32_i16 s14, s5
	s_cmp_lt_i32 s14, 2
	s_cbranch_scc1 .LBB6_895
; %bb.892:
	s_cmp_lt_i32 s14, 3
	s_cbranch_scc1 .LBB6_896
; %bb.893:
	s_cmp_gt_i32 s14, 3
	s_cbranch_scc0 .LBB6_897
; %bb.894:
	global_load_dwordx2 v[2:3], v[0:1], off
	s_mov_b32 s14, 0
	s_waitcnt vmcnt(0)
	v_cvt_f64_i32_e32 v[3:4], v3
	v_cvt_f64_u32_e32 v[5:6], v2
	v_ldexp_f64 v[3:4], v[3:4], 32
	v_add_f64 v[2:3], v[3:4], v[5:6]
	s_branch .LBB6_898
.LBB6_895:
                                        ; implicit-def: $vgpr2_vgpr3
	s_branch .LBB6_904
.LBB6_896:
	s_mov_b32 s14, -1
                                        ; implicit-def: $vgpr2_vgpr3
	s_branch .LBB6_901
.LBB6_897:
	s_mov_b32 s14, -1
                                        ; implicit-def: $vgpr2_vgpr3
.LBB6_898:
	s_andn2_b32 vcc_lo, exec_lo, s14
	s_cbranch_vccnz .LBB6_900
; %bb.899:
	global_load_dword v2, v[0:1], off
	s_waitcnt vmcnt(0)
	v_cvt_f64_i32_e32 v[2:3], v2
.LBB6_900:
	s_mov_b32 s14, 0
.LBB6_901:
	s_andn2_b32 vcc_lo, exec_lo, s14
	s_cbranch_vccnz .LBB6_903
; %bb.902:
	global_load_sshort v2, v[0:1], off
	s_waitcnt vmcnt(0)
	v_cvt_f64_i32_e32 v[2:3], v2
.LBB6_903:
	s_cbranch_execnz .LBB6_909
.LBB6_904:
	s_sext_i32_i16 s14, s5
	s_cmp_gt_i32 s14, 0
	s_mov_b32 s14, 0
	s_cbranch_scc0 .LBB6_906
; %bb.905:
	global_load_sbyte v2, v[0:1], off
	s_waitcnt vmcnt(0)
	v_cvt_f64_i32_e32 v[2:3], v2
	s_branch .LBB6_907
.LBB6_906:
	s_mov_b32 s14, -1
                                        ; implicit-def: $vgpr2_vgpr3
.LBB6_907:
	s_andn2_b32 vcc_lo, exec_lo, s14
	s_cbranch_vccnz .LBB6_909
; %bb.908:
	global_load_ubyte v0, v[0:1], off
	s_waitcnt vmcnt(0)
	v_cvt_f64_u32_e32 v[2:3], v0
.LBB6_909:
	s_or_b32 s0, s0, exec_lo
.LBB6_910:
	s_or_b32 exec_lo, exec_lo, s13
	s_mov_b32 s16, 0
	s_mov_b32 s15, 0
                                        ; implicit-def: $sgpr13
                                        ; implicit-def: $vgpr4_vgpr5
                                        ; implicit-def: $vgpr0_vgpr1
	s_and_saveexec_b32 s14, s0
	s_cbranch_execz .LBB6_918
; %bb.911:
	s_waitcnt vmcnt(0)
	v_and_b32_e32 v1, 0x7fffffff, v3
	v_mov_b32_e32 v0, v2
	s_mov_b32 s16, 0xbd3237f4
	s_mov_b32 s18, 0xb5e68a13
	;; [unrolled: 1-line block ×4, first 2 shown]
	v_div_scale_f64 v[4:5], null, v[0:1], v[0:1], 1.0
	v_div_scale_f64 v[11:12], vcc_lo, 1.0, v[0:1], 1.0
	s_and_b32 s13, s1, 0xff
	s_cmp_lt_i32 s13, 11
	v_rcp_f64_e32 v[6:7], v[4:5]
	v_fma_f64 v[8:9], -v[4:5], v[6:7], 1.0
	v_fma_f64 v[6:7], v[6:7], v[8:9], v[6:7]
	v_fma_f64 v[8:9], -v[4:5], v[6:7], 1.0
	v_fma_f64 v[6:7], v[6:7], v[8:9], v[6:7]
	v_mul_f64 v[8:9], v[11:12], v[6:7]
	v_fma_f64 v[4:5], -v[4:5], v[8:9], v[11:12]
	v_div_fmas_f64 v[4:5], v[4:5], v[6:7], v[8:9]
	v_cmp_gt_f64_e64 vcc_lo, |v[2:3]|, 1.0
	v_div_fixup_f64 v[4:5], v[4:5], |v[2:3]|, 1.0
	v_cndmask_b32_e32 v1, v1, v5, vcc_lo
	v_cndmask_b32_e32 v0, v2, v4, vcc_lo
	v_mul_lo_u32 v2, v10, s2
	v_mul_f64 v[4:5], v[0:1], v[0:1]
	v_fma_f64 v[6:7], v[4:5], s[18:19], s[16:17]
	s_mov_b32 s16, 0x69efb384
	s_mov_b32 s17, 0x3f4b2bb0
	;; [unrolled: 1-line block ×4, first 2 shown]
	v_fma_f64 v[6:7], v[4:5], v[6:7], s[16:17]
	s_mov_b32 s16, 0xaf56de9b
	s_mov_b32 s17, 0xbf67952d
	v_fma_f64 v[6:7], v[4:5], v[6:7], s[16:17]
	s_mov_b32 s16, 0xa595c56f
	s_mov_b32 s17, 0x3f7d6d43
	;; [unrolled: 3-line block ×18, first 2 shown]
	v_mul_f64 v[4:5], v[4:5], v[6:7]
	v_fma_f64 v[0:1], v[0:1], v[4:5], v[0:1]
	v_ashrrev_i32_e32 v5, 31, v2
	v_add_co_u32 v4, s0, s8, v2
	v_add_co_ci_u32_e64 v5, null, s9, v5, s0
	v_fma_f64 v[6:7], s[18:19], s[16:17], -v[0:1]
	v_cndmask_b32_e32 v1, v1, v7, vcc_lo
	v_cndmask_b32_e32 v0, v0, v6, vcc_lo
	v_bfi_b32 v1, 0x7fffffff, v1, v3
	s_cbranch_scc1 .LBB6_921
; %bb.912:
	s_and_b32 s15, 0xffff, s13
	s_mov_b32 s16, -1
	s_cmp_gt_i32 s15, 25
	s_mov_b32 s0, s7
	s_cbranch_scc0 .LBB6_949
; %bb.913:
	s_cmp_gt_i32 s15, 28
	s_mov_b32 s0, s7
	s_cbranch_scc0 .LBB6_933
; %bb.914:
	;; [unrolled: 4-line block ×4, first 2 shown]
	s_cmp_eq_u32 s15, 46
	s_mov_b32 s0, -1
	s_cbranch_scc0 .LBB6_922
; %bb.917:
	v_cvt_f32_f64_e32 v2, v[0:1]
	s_mov_b32 s0, 0
	s_mov_b32 s16, 0
	v_bfe_u32 v3, v2, 16, 1
	v_cmp_o_f32_e32 vcc_lo, v2, v2
	v_add3_u32 v2, v2, v3, 0x7fff
	v_mov_b32_e32 v3, 0x7fc0
	v_cndmask_b32_sdwa v2, v3, v2, vcc_lo dst_sel:DWORD dst_unused:UNUSED_PAD src0_sel:DWORD src1_sel:WORD_1
	global_store_dword v[4:5], v2, off
	s_branch .LBB6_923
.LBB6_918:
	s_or_b32 exec_lo, exec_lo, s14
	s_and_saveexec_b32 s0, s7
	s_cbranch_execnz .LBB6_991
.LBB6_919:
	s_or_b32 exec_lo, exec_lo, s0
	s_and_saveexec_b32 s0, s16
	s_xor_b32 s0, exec_lo, s0
	s_cbranch_execz .LBB6_992
.LBB6_920:
	v_cmp_neq_f64_e32 vcc_lo, 0, v[0:1]
	s_waitcnt vmcnt(0)
	v_cndmask_b32_e64 v2, 0, 1, vcc_lo
	global_store_byte v[4:5], v2, off
	s_or_b32 exec_lo, exec_lo, s0
	s_and_saveexec_b32 s0, s15
	s_xor_b32 s0, exec_lo, s0
	s_cbranch_execz .LBB6_1030
	s_branch .LBB6_993
.LBB6_921:
	s_mov_b32 s17, 0
	s_mov_b32 s16, -1
	s_mov_b32 s0, s7
	s_branch .LBB6_990
.LBB6_922:
	s_mov_b32 s16, 0
.LBB6_923:
	s_and_b32 vcc_lo, exec_lo, s16
	s_cbranch_vccz .LBB6_928
; %bb.924:
	s_cmp_eq_u32 s15, 44
	s_mov_b32 s0, -1
	s_cbranch_scc0 .LBB6_928
; %bb.925:
	v_cvt_f32_f64_e32 v2, v[0:1]
	v_mov_b32_e32 v3, 0xff
	s_mov_b32 s16, exec_lo
	v_bfe_u32 v6, v2, 23, 8
	v_cmpx_ne_u32_e32 0xff, v6
	s_cbranch_execz .LBB6_927
; %bb.926:
	v_and_b32_e32 v3, 0x400000, v2
	v_and_or_b32 v6, 0x3fffff, v2, v6
	v_lshrrev_b32_e32 v2, 23, v2
	v_cmp_ne_u32_e32 vcc_lo, 0, v3
	v_cmp_ne_u32_e64 s0, 0, v6
	s_and_b32 s0, vcc_lo, s0
	v_cndmask_b32_e64 v3, 0, 1, s0
	v_add_nc_u32_e32 v3, v2, v3
.LBB6_927:
	s_or_b32 exec_lo, exec_lo, s16
	s_mov_b32 s0, 0
	global_store_byte v[4:5], v3, off
.LBB6_928:
	s_mov_b32 s16, 0
.LBB6_929:
	s_and_b32 vcc_lo, exec_lo, s16
	s_cbranch_vccz .LBB6_932
; %bb.930:
	s_cmp_eq_u32 s15, 29
	s_mov_b32 s0, -1
	s_cbranch_scc0 .LBB6_932
; %bb.931:
	v_trunc_f64_e32 v[2:3], v[0:1]
	s_mov_b32 s0, 0
	s_mov_b32 s16, 0
	v_ldexp_f64 v[6:7], v[2:3], 0xffffffe0
	v_floor_f64_e32 v[6:7], v[6:7]
	v_fma_f64 v[2:3], 0xc1f00000, v[6:7], v[2:3]
	v_cvt_u32_f64_e32 v7, v[6:7]
	v_cvt_u32_f64_e32 v6, v[2:3]
	global_store_dwordx2 v[4:5], v[6:7], off
	s_branch .LBB6_933
.LBB6_932:
	s_mov_b32 s16, 0
.LBB6_933:
	s_and_b32 vcc_lo, exec_lo, s16
	s_cbranch_vccz .LBB6_948
; %bb.934:
	s_cmp_lt_i32 s15, 27
	s_mov_b32 s16, -1
	s_cbranch_scc1 .LBB6_940
; %bb.935:
	v_cvt_u32_f64_e32 v2, v[0:1]
	s_cmp_gt_i32 s15, 27
	s_cbranch_scc0 .LBB6_937
; %bb.936:
	s_mov_b32 s16, 0
	global_store_dword v[4:5], v2, off
.LBB6_937:
	s_andn2_b32 vcc_lo, exec_lo, s16
	s_cbranch_vccnz .LBB6_939
; %bb.938:
	global_store_short v[4:5], v2, off
.LBB6_939:
	s_mov_b32 s16, 0
.LBB6_940:
	s_andn2_b32 vcc_lo, exec_lo, s16
	s_cbranch_vccnz .LBB6_948
; %bb.941:
	v_cvt_f32_f64_e32 v2, v[0:1]
	v_mov_b32_e32 v6, 0x80
	s_mov_b32 s16, exec_lo
	v_and_b32_e32 v3, 0x7fffffff, v2
	v_cmpx_gt_u32_e32 0x43800000, v3
	s_cbranch_execz .LBB6_947
; %bb.942:
	v_cmp_lt_u32_e32 vcc_lo, 0x3bffffff, v3
	s_mov_b32 s17, 0
                                        ; implicit-def: $vgpr3
	s_and_saveexec_b32 s18, vcc_lo
	s_xor_b32 s18, exec_lo, s18
	s_cbranch_execz .LBB6_1045
; %bb.943:
	v_bfe_u32 v3, v2, 20, 1
	s_mov_b32 s17, exec_lo
	v_add3_u32 v3, v2, v3, 0x487ffff
	v_lshrrev_b32_e32 v3, 20, v3
	s_andn2_saveexec_b32 s18, s18
	s_cbranch_execnz .LBB6_1046
.LBB6_944:
	s_or_b32 exec_lo, exec_lo, s18
	v_mov_b32_e32 v6, 0
	s_and_saveexec_b32 s18, s17
.LBB6_945:
	v_lshrrev_b32_e32 v2, 24, v2
	v_and_or_b32 v6, 0x80, v2, v3
.LBB6_946:
	s_or_b32 exec_lo, exec_lo, s18
.LBB6_947:
	s_or_b32 exec_lo, exec_lo, s16
	global_store_byte v[4:5], v6, off
.LBB6_948:
	s_mov_b32 s16, 0
.LBB6_949:
	s_and_b32 vcc_lo, exec_lo, s16
	s_mov_b32 s16, 0
	s_cbranch_vccz .LBB6_989
; %bb.950:
	s_cmp_gt_i32 s15, 22
	s_mov_b32 s17, -1
	s_cbranch_scc0 .LBB6_982
; %bb.951:
	s_cmp_lt_i32 s15, 24
	s_cbranch_scc1 .LBB6_971
; %bb.952:
	s_cmp_gt_i32 s15, 24
	s_cbranch_scc0 .LBB6_960
; %bb.953:
	v_cvt_f32_f64_e32 v2, v[0:1]
	v_mov_b32_e32 v6, 0x80
	s_mov_b32 s17, exec_lo
	v_and_b32_e32 v3, 0x7fffffff, v2
	v_cmpx_gt_u32_e32 0x47800000, v3
	s_cbranch_execz .LBB6_959
; %bb.954:
	v_cmp_lt_u32_e32 vcc_lo, 0x37ffffff, v3
	s_mov_b32 s18, 0
                                        ; implicit-def: $vgpr3
	s_and_saveexec_b32 s19, vcc_lo
	s_xor_b32 s19, exec_lo, s19
	s_cbranch_execz .LBB6_1171
; %bb.955:
	v_bfe_u32 v3, v2, 21, 1
	s_mov_b32 s18, exec_lo
	v_add3_u32 v3, v2, v3, 0x88fffff
	v_lshrrev_b32_e32 v3, 21, v3
	s_andn2_saveexec_b32 s19, s19
	s_cbranch_execnz .LBB6_1172
.LBB6_956:
	s_or_b32 exec_lo, exec_lo, s19
	v_mov_b32_e32 v6, 0
	s_and_saveexec_b32 s19, s18
.LBB6_957:
	v_lshrrev_b32_e32 v2, 24, v2
	v_and_or_b32 v6, 0x80, v2, v3
.LBB6_958:
	s_or_b32 exec_lo, exec_lo, s19
.LBB6_959:
	s_or_b32 exec_lo, exec_lo, s17
	s_mov_b32 s17, 0
	global_store_byte v[4:5], v6, off
.LBB6_960:
	s_and_b32 vcc_lo, exec_lo, s17
	s_cbranch_vccz .LBB6_970
; %bb.961:
	v_cvt_f32_f64_e32 v2, v[0:1]
	s_mov_b32 s17, exec_lo
                                        ; implicit-def: $vgpr3
	v_and_b32_e32 v6, 0x7fffffff, v2
	v_cmpx_gt_u32_e32 0x43f00000, v6
	s_xor_b32 s17, exec_lo, s17
	s_cbranch_execz .LBB6_967
; %bb.962:
	s_mov_b32 s18, exec_lo
                                        ; implicit-def: $vgpr3
	v_cmpx_lt_u32_e32 0x3c7fffff, v6
	s_xor_b32 s18, exec_lo, s18
; %bb.963:
	v_bfe_u32 v3, v2, 20, 1
	v_add3_u32 v3, v2, v3, 0x407ffff
	v_and_b32_e32 v6, 0xff00000, v3
	v_lshrrev_b32_e32 v3, 20, v3
	v_cmp_ne_u32_e32 vcc_lo, 0x7f00000, v6
	v_cndmask_b32_e32 v3, 0x7e, v3, vcc_lo
; %bb.964:
	s_andn2_saveexec_b32 s18, s18
; %bb.965:
	v_add_f32_e64 v3, 0x46800000, |v2|
; %bb.966:
	s_or_b32 exec_lo, exec_lo, s18
                                        ; implicit-def: $vgpr6
.LBB6_967:
	s_andn2_saveexec_b32 s17, s17
; %bb.968:
	v_mov_b32_e32 v3, 0x7f
	v_cmp_lt_u32_e32 vcc_lo, 0x7f800000, v6
	v_cndmask_b32_e32 v3, 0x7e, v3, vcc_lo
; %bb.969:
	s_or_b32 exec_lo, exec_lo, s17
	v_lshrrev_b32_e32 v2, 24, v2
	v_and_or_b32 v2, 0x80, v2, v3
	global_store_byte v[4:5], v2, off
.LBB6_970:
	s_mov_b32 s17, 0
.LBB6_971:
	s_andn2_b32 vcc_lo, exec_lo, s17
	s_cbranch_vccnz .LBB6_981
; %bb.972:
	v_cvt_f32_f64_e32 v2, v[0:1]
	s_mov_b32 s17, exec_lo
                                        ; implicit-def: $vgpr3
	v_and_b32_e32 v6, 0x7fffffff, v2
	v_cmpx_gt_u32_e32 0x47800000, v6
	s_xor_b32 s17, exec_lo, s17
	s_cbranch_execz .LBB6_978
; %bb.973:
	s_mov_b32 s18, exec_lo
                                        ; implicit-def: $vgpr3
	v_cmpx_lt_u32_e32 0x387fffff, v6
	s_xor_b32 s18, exec_lo, s18
; %bb.974:
	v_bfe_u32 v3, v2, 21, 1
	v_add3_u32 v3, v2, v3, 0x80fffff
	v_lshrrev_b32_e32 v3, 21, v3
; %bb.975:
	s_andn2_saveexec_b32 s18, s18
; %bb.976:
	v_add_f32_e64 v3, 0x43000000, |v2|
; %bb.977:
	s_or_b32 exec_lo, exec_lo, s18
                                        ; implicit-def: $vgpr6
.LBB6_978:
	s_andn2_saveexec_b32 s17, s17
; %bb.979:
	v_mov_b32_e32 v3, 0x7f
	v_cmp_lt_u32_e32 vcc_lo, 0x7f800000, v6
	v_cndmask_b32_e32 v3, 0x7c, v3, vcc_lo
; %bb.980:
	s_or_b32 exec_lo, exec_lo, s17
	v_lshrrev_b32_e32 v2, 24, v2
	v_and_or_b32 v2, 0x80, v2, v3
	global_store_byte v[4:5], v2, off
.LBB6_981:
	s_mov_b32 s17, 0
.LBB6_982:
	s_andn2_b32 vcc_lo, exec_lo, s17
	s_mov_b32 s17, 0
	s_cbranch_vccnz .LBB6_990
; %bb.983:
	s_cmp_gt_i32 s15, 14
	s_mov_b32 s17, -1
	s_cbranch_scc0 .LBB6_987
; %bb.984:
	s_cmp_eq_u32 s15, 15
	s_mov_b32 s0, -1
	s_cbranch_scc0 .LBB6_986
; %bb.985:
	v_cvt_f32_f64_e32 v2, v[0:1]
	s_mov_b32 s0, 0
	v_bfe_u32 v3, v2, 16, 1
	v_cmp_o_f32_e32 vcc_lo, v2, v2
	v_add3_u32 v2, v2, v3, 0x7fff
	v_mov_b32_e32 v3, 0x7fc0
	v_cndmask_b32_sdwa v2, v3, v2, vcc_lo dst_sel:DWORD dst_unused:UNUSED_PAD src0_sel:DWORD src1_sel:WORD_1
	global_store_short v[4:5], v2, off
.LBB6_986:
	s_mov_b32 s17, 0
.LBB6_987:
	s_and_b32 vcc_lo, exec_lo, s17
	s_mov_b32 s17, 0
	s_cbranch_vccz .LBB6_990
; %bb.988:
	s_cmp_lg_u32 s15, 11
	s_mov_b32 s17, -1
	s_cselect_b32 s15, -1, 0
	s_andn2_b32 s0, s0, exec_lo
	s_and_b32 s15, s15, exec_lo
	s_or_b32 s0, s0, s15
	s_branch .LBB6_990
.LBB6_989:
	s_mov_b32 s17, 0
.LBB6_990:
	s_andn2_b32 s7, s7, exec_lo
	s_and_b32 s0, s0, exec_lo
	s_and_b32 s15, s16, exec_lo
	;; [unrolled: 1-line block ×3, first 2 shown]
	s_or_b32 s7, s7, s0
	s_or_b32 exec_lo, exec_lo, s14
	s_and_saveexec_b32 s0, s7
	s_cbranch_execz .LBB6_919
.LBB6_991:
	s_or_b32 s12, s12, exec_lo
	s_andn2_b32 s16, s16, exec_lo
	s_trap 2
	s_or_b32 exec_lo, exec_lo, s0
	s_and_saveexec_b32 s0, s16
	s_xor_b32 s0, exec_lo, s0
	s_cbranch_execnz .LBB6_920
.LBB6_992:
	s_or_b32 exec_lo, exec_lo, s0
	s_and_saveexec_b32 s0, s15
	s_xor_b32 s0, exec_lo, s0
	s_cbranch_execz .LBB6_1030
.LBB6_993:
	s_sext_i32_i16 s14, s13
	s_mov_b32 s7, -1
	s_cmp_lt_i32 s14, 5
	s_cbranch_scc1 .LBB6_1014
; %bb.994:
	s_cmp_lt_i32 s14, 8
	s_cbranch_scc1 .LBB6_1004
; %bb.995:
	;; [unrolled: 3-line block ×3, first 2 shown]
	s_cmp_gt_i32 s14, 9
	s_cbranch_scc0 .LBB6_998
; %bb.997:
	s_waitcnt vmcnt(0)
	v_mov_b32_e32 v2, 0
	s_mov_b32 s7, 0
	v_mov_b32_e32 v3, v2
	global_store_dwordx4 v[4:5], v[0:3], off
.LBB6_998:
	s_andn2_b32 vcc_lo, exec_lo, s7
	s_cbranch_vccnz .LBB6_1000
; %bb.999:
	s_waitcnt vmcnt(0)
	v_cvt_f32_f64_e32 v2, v[0:1]
	v_mov_b32_e32 v3, 0
	global_store_dwordx2 v[4:5], v[2:3], off
.LBB6_1000:
	s_mov_b32 s7, 0
.LBB6_1001:
	s_andn2_b32 vcc_lo, exec_lo, s7
	s_cbranch_vccnz .LBB6_1003
; %bb.1002:
	s_waitcnt vmcnt(0)
	v_and_or_b32 v2, 0x1ff, v1, v0
	v_lshrrev_b32_e32 v3, 8, v1
	v_bfe_u32 v6, v1, 20, 11
	v_cmp_ne_u32_e32 vcc_lo, 0, v2
	v_sub_nc_u32_e32 v7, 0x3f1, v6
	v_add_nc_u32_e32 v6, 0xfffffc10, v6
	v_cndmask_b32_e64 v2, 0, 1, vcc_lo
	v_and_or_b32 v2, 0xffe, v3, v2
	v_med3_i32 v3, v7, 0, 13
	v_or_b32_e32 v7, 0x1000, v2
	v_lshrrev_b32_e32 v8, v3, v7
	v_lshlrev_b32_e32 v3, v3, v8
	v_cmp_ne_u32_e32 vcc_lo, v3, v7
	v_lshl_or_b32 v7, v6, 12, v2
	v_cndmask_b32_e64 v3, 0, 1, vcc_lo
	v_cmp_gt_i32_e32 vcc_lo, 1, v6
	v_or_b32_e32 v3, v8, v3
	v_cndmask_b32_e32 v3, v7, v3, vcc_lo
	v_and_b32_e32 v7, 7, v3
	v_lshrrev_b32_e32 v3, 2, v3
	v_cmp_lt_i32_e32 vcc_lo, 5, v7
	v_cndmask_b32_e64 v8, 0, 1, vcc_lo
	v_cmp_eq_u32_e32 vcc_lo, 3, v7
	v_cndmask_b32_e64 v7, 0, 1, vcc_lo
	v_cmp_ne_u32_e32 vcc_lo, 0, v2
	v_or_b32_e32 v7, v7, v8
	v_mov_b32_e32 v8, 0x7e00
	v_add_nc_u32_e32 v3, v3, v7
	v_cndmask_b32_e32 v2, 0x7c00, v8, vcc_lo
	v_cmp_gt_i32_e32 vcc_lo, 31, v6
	v_cndmask_b32_e32 v3, 0x7c00, v3, vcc_lo
	v_cmp_eq_u32_e32 vcc_lo, 0x40f, v6
	v_cndmask_b32_e32 v2, v3, v2, vcc_lo
	v_lshrrev_b32_e32 v3, 16, v1
	v_and_or_b32 v2, 0x8000, v3, v2
	v_and_b32_e32 v2, 0xffff, v2
	global_store_dword v[4:5], v2, off
.LBB6_1003:
	s_mov_b32 s7, 0
.LBB6_1004:
	s_andn2_b32 vcc_lo, exec_lo, s7
	s_cbranch_vccnz .LBB6_1013
; %bb.1005:
	s_sext_i32_i16 s14, s13
	s_mov_b32 s7, -1
	s_cmp_lt_i32 s14, 6
	s_cbranch_scc1 .LBB6_1011
; %bb.1006:
	s_cmp_gt_i32 s14, 6
	s_cbranch_scc0 .LBB6_1008
; %bb.1007:
	s_mov_b32 s7, 0
	global_store_dwordx2 v[4:5], v[0:1], off
.LBB6_1008:
	s_andn2_b32 vcc_lo, exec_lo, s7
	s_cbranch_vccnz .LBB6_1010
; %bb.1009:
	s_waitcnt vmcnt(0)
	v_cvt_f32_f64_e32 v2, v[0:1]
	global_store_dword v[4:5], v2, off
.LBB6_1010:
	s_mov_b32 s7, 0
.LBB6_1011:
	s_andn2_b32 vcc_lo, exec_lo, s7
	s_cbranch_vccnz .LBB6_1013
; %bb.1012:
	s_waitcnt vmcnt(0)
	v_and_or_b32 v2, 0x1ff, v1, v0
	v_lshrrev_b32_e32 v3, 8, v1
	v_bfe_u32 v6, v1, 20, 11
	v_cmp_ne_u32_e32 vcc_lo, 0, v2
	v_sub_nc_u32_e32 v7, 0x3f1, v6
	v_add_nc_u32_e32 v6, 0xfffffc10, v6
	v_cndmask_b32_e64 v2, 0, 1, vcc_lo
	v_and_or_b32 v2, 0xffe, v3, v2
	v_med3_i32 v3, v7, 0, 13
	v_or_b32_e32 v7, 0x1000, v2
	v_lshrrev_b32_e32 v8, v3, v7
	v_lshlrev_b32_e32 v3, v3, v8
	v_cmp_ne_u32_e32 vcc_lo, v3, v7
	v_lshl_or_b32 v7, v6, 12, v2
	v_cndmask_b32_e64 v3, 0, 1, vcc_lo
	v_cmp_gt_i32_e32 vcc_lo, 1, v6
	v_or_b32_e32 v3, v8, v3
	v_cndmask_b32_e32 v3, v7, v3, vcc_lo
	v_and_b32_e32 v7, 7, v3
	v_lshrrev_b32_e32 v3, 2, v3
	v_cmp_lt_i32_e32 vcc_lo, 5, v7
	v_cndmask_b32_e64 v8, 0, 1, vcc_lo
	v_cmp_eq_u32_e32 vcc_lo, 3, v7
	v_cndmask_b32_e64 v7, 0, 1, vcc_lo
	v_cmp_ne_u32_e32 vcc_lo, 0, v2
	v_or_b32_e32 v7, v7, v8
	v_mov_b32_e32 v8, 0x7e00
	v_add_nc_u32_e32 v3, v3, v7
	v_cndmask_b32_e32 v2, 0x7c00, v8, vcc_lo
	v_cmp_gt_i32_e32 vcc_lo, 31, v6
	v_cndmask_b32_e32 v3, 0x7c00, v3, vcc_lo
	v_cmp_eq_u32_e32 vcc_lo, 0x40f, v6
	v_cndmask_b32_e32 v2, v3, v2, vcc_lo
	v_lshrrev_b32_e32 v3, 16, v1
	v_and_or_b32 v2, 0x8000, v3, v2
	global_store_short v[4:5], v2, off
.LBB6_1013:
	s_mov_b32 s7, 0
.LBB6_1014:
	s_andn2_b32 vcc_lo, exec_lo, s7
	s_cbranch_vccnz .LBB6_1030
; %bb.1015:
	s_sext_i32_i16 s14, s13
	s_mov_b32 s7, -1
	s_cmp_lt_i32 s14, 2
	s_cbranch_scc1 .LBB6_1025
; %bb.1016:
	s_cmp_lt_i32 s14, 3
	s_cbranch_scc1 .LBB6_1022
; %bb.1017:
	s_cmp_gt_i32 s14, 3
	s_cbranch_scc0 .LBB6_1019
; %bb.1018:
	s_waitcnt vmcnt(0)
	v_trunc_f64_e32 v[2:3], v[0:1]
	s_mov_b32 s7, 0
	v_ldexp_f64 v[6:7], v[2:3], 0xffffffe0
	v_floor_f64_e32 v[6:7], v[6:7]
	v_fma_f64 v[2:3], 0xc1f00000, v[6:7], v[2:3]
	v_cvt_i32_f64_e32 v7, v[6:7]
	v_cvt_u32_f64_e32 v6, v[2:3]
	global_store_dwordx2 v[4:5], v[6:7], off
.LBB6_1019:
	s_andn2_b32 vcc_lo, exec_lo, s7
	s_cbranch_vccnz .LBB6_1021
; %bb.1020:
	s_waitcnt vmcnt(0)
	v_cvt_i32_f64_e32 v2, v[0:1]
	global_store_dword v[4:5], v2, off
.LBB6_1021:
	s_mov_b32 s7, 0
.LBB6_1022:
	s_andn2_b32 vcc_lo, exec_lo, s7
	s_cbranch_vccnz .LBB6_1024
; %bb.1023:
	s_waitcnt vmcnt(0)
	v_cvt_i32_f64_e32 v2, v[0:1]
	global_store_short v[4:5], v2, off
.LBB6_1024:
	s_mov_b32 s7, 0
.LBB6_1025:
	s_andn2_b32 vcc_lo, exec_lo, s7
	s_cbranch_vccnz .LBB6_1030
; %bb.1026:
	s_sext_i32_i16 s7, s13
	s_cmp_gt_i32 s7, 0
	s_mov_b32 s7, -1
	s_cbranch_scc0 .LBB6_1028
; %bb.1027:
	s_waitcnt vmcnt(0)
	v_cvt_i32_f64_e32 v2, v[0:1]
	s_mov_b32 s7, 0
	global_store_byte v[4:5], v2, off
.LBB6_1028:
	s_andn2_b32 vcc_lo, exec_lo, s7
	s_cbranch_vccnz .LBB6_1030
; %bb.1029:
	v_trunc_f64_e32 v[0:1], v[0:1]
	s_waitcnt vmcnt(0)
	v_ldexp_f64 v[2:3], v[0:1], 0xffffffe0
	v_floor_f64_e32 v[2:3], v[2:3]
	v_fma_f64 v[0:1], 0xc1f00000, v[2:3], v[0:1]
	v_cvt_u32_f64_e32 v0, v[0:1]
	global_store_byte v[4:5], v0, off
.LBB6_1030:
	s_or_b32 exec_lo, exec_lo, s0
	s_and_b32 s7, s12, exec_lo
                                        ; implicit-def: $vgpr10
.LBB6_1031:
	s_or_saveexec_b32 s6, s6
	s_mov_b32 s0, 0
                                        ; implicit-def: $sgpr12
                                        ; implicit-def: $vgpr4_vgpr5
                                        ; implicit-def: $vgpr0_vgpr1
	s_xor_b32 exec_lo, exec_lo, s6
	s_cbranch_execz .LBB6_1983
; %bb.1032:
	v_mul_lo_u32 v4, s3, v10
	s_and_b32 s0, 0xffff, s5
	s_cmp_lt_i32 s0, 11
	v_ashrrev_i32_e32 v0, 31, v4
	s_waitcnt vmcnt(0)
	v_add_co_u32 v2, vcc_lo, s10, v4
	v_add_co_ci_u32_e64 v3, null, s11, v0, vcc_lo
	s_cbranch_scc1 .LBB6_1039
; %bb.1033:
	s_cmp_gt_i32 s0, 25
	s_mov_b32 s5, 0
	s_cbranch_scc0 .LBB6_1041
; %bb.1034:
	s_cmp_gt_i32 s0, 28
	s_cbranch_scc0 .LBB6_1042
; %bb.1035:
	s_cmp_gt_i32 s0, 43
	;; [unrolled: 3-line block ×3, first 2 shown]
	s_cbranch_scc0 .LBB6_1044
; %bb.1037:
	s_cmp_eq_u32 s0, 46
	s_mov_b32 s13, 0
	s_cbranch_scc0 .LBB6_1047
; %bb.1038:
	global_load_dword v0, v[2:3], off
	s_mov_b32 s12, -1
	s_waitcnt vmcnt(0)
	v_lshlrev_b32_e32 v0, 16, v0
	v_cvt_f64_f32_e32 v[0:1], v0
	s_branch .LBB6_1049
.LBB6_1039:
	s_mov_b32 s12, 0
	s_mov_b32 s4, s7
                                        ; implicit-def: $vgpr0_vgpr1
	s_cbranch_execnz .LBB6_1112
.LBB6_1040:
	s_andn2_b32 vcc_lo, exec_lo, s12
                                        ; implicit-def: $vgpr2_vgpr3
	s_cbranch_vccz .LBB6_1157
	s_branch .LBB6_1981
.LBB6_1041:
	s_mov_b32 s12, 0
                                        ; implicit-def: $vgpr0_vgpr1
	s_cbranch_execnz .LBB6_1079
	s_branch .LBB6_1108
.LBB6_1042:
	s_mov_b32 s13, -1
	s_mov_b32 s12, 0
                                        ; implicit-def: $vgpr0_vgpr1
	s_branch .LBB6_1058
.LBB6_1043:
	s_mov_b32 s12, 0
                                        ; implicit-def: $vgpr0_vgpr1
	s_cbranch_execnz .LBB6_1054
	s_branch .LBB6_1057
.LBB6_1044:
	s_mov_b32 s13, -1
	s_branch .LBB6_1048
.LBB6_1045:
	s_andn2_saveexec_b32 s18, s18
	s_cbranch_execz .LBB6_944
.LBB6_1046:
	v_add_f32_e64 v3, 0x46000000, |v2|
	s_andn2_b32 s17, s17, exec_lo
	v_and_b32_e32 v3, 0xff, v3
	v_cmp_ne_u32_e32 vcc_lo, 0, v3
	s_and_b32 s19, vcc_lo, exec_lo
	s_or_b32 s17, s17, s19
	s_or_b32 exec_lo, exec_lo, s18
	v_mov_b32_e32 v6, 0
	s_and_saveexec_b32 s18, s17
	s_cbranch_execnz .LBB6_945
	s_branch .LBB6_946
.LBB6_1047:
	s_mov_b32 s4, -1
.LBB6_1048:
	s_mov_b32 s12, 0
                                        ; implicit-def: $vgpr0_vgpr1
.LBB6_1049:
	s_and_b32 vcc_lo, exec_lo, s13
	s_cbranch_vccz .LBB6_1052
; %bb.1050:
	s_cmp_eq_u32 s0, 44
	s_cbranch_scc0 .LBB6_1053
; %bb.1051:
	global_load_ubyte v5, v[2:3], off
	s_mov_b32 s4, 0
	s_mov_b32 s12, -1
	s_waitcnt vmcnt(0)
	v_lshlrev_b32_e32 v0, 23, v5
	v_cmp_ne_u32_e32 vcc_lo, 0xff, v5
	v_cvt_f64_f32_e32 v[0:1], v0
	v_cndmask_b32_e32 v0, 0x20000000, v0, vcc_lo
	v_cndmask_b32_e32 v1, 0x7ff80000, v1, vcc_lo
	v_cmp_ne_u32_e32 vcc_lo, 0, v5
	v_cndmask_b32_e32 v1, 0x38000000, v1, vcc_lo
	v_cndmask_b32_e32 v0, 0, v0, vcc_lo
.LBB6_1052:
	s_branch .LBB6_1057
.LBB6_1053:
	s_mov_b32 s4, -1
                                        ; implicit-def: $vgpr0_vgpr1
	s_branch .LBB6_1057
.LBB6_1054:
	s_cmp_eq_u32 s0, 29
	s_cbranch_scc0 .LBB6_1056
; %bb.1055:
	global_load_dwordx2 v[0:1], v[2:3], off
	s_mov_b32 s4, 0
	s_mov_b32 s12, -1
	s_mov_b32 s13, 0
	s_waitcnt vmcnt(0)
	v_cvt_f64_u32_e32 v[5:6], v1
	v_cvt_f64_u32_e32 v[0:1], v0
	v_ldexp_f64 v[5:6], v[5:6], 32
	v_add_f64 v[0:1], v[5:6], v[0:1]
	s_branch .LBB6_1058
.LBB6_1056:
	s_mov_b32 s4, -1
                                        ; implicit-def: $vgpr0_vgpr1
.LBB6_1057:
	s_mov_b32 s13, 0
.LBB6_1058:
	s_and_b32 vcc_lo, exec_lo, s13
	s_cbranch_vccz .LBB6_1078
; %bb.1059:
	s_cmp_lt_i32 s0, 27
	s_cbranch_scc1 .LBB6_1062
; %bb.1060:
	s_cmp_gt_i32 s0, 27
	s_cbranch_scc0 .LBB6_1063
; %bb.1061:
	global_load_dword v0, v[2:3], off
	s_mov_b32 s12, 0
	s_waitcnt vmcnt(0)
	v_cvt_f64_u32_e32 v[0:1], v0
	s_branch .LBB6_1064
.LBB6_1062:
	s_mov_b32 s12, -1
                                        ; implicit-def: $vgpr0_vgpr1
	s_branch .LBB6_1067
.LBB6_1063:
	s_mov_b32 s12, -1
                                        ; implicit-def: $vgpr0_vgpr1
.LBB6_1064:
	s_andn2_b32 vcc_lo, exec_lo, s12
	s_cbranch_vccnz .LBB6_1066
; %bb.1065:
	global_load_ushort v0, v[2:3], off
	s_waitcnt vmcnt(0)
	v_cvt_f64_u32_e32 v[0:1], v0
.LBB6_1066:
	s_mov_b32 s12, 0
.LBB6_1067:
	s_andn2_b32 vcc_lo, exec_lo, s12
	s_cbranch_vccnz .LBB6_1077
; %bb.1068:
	global_load_ubyte v5, v[2:3], off
	s_mov_b32 s12, 0
	s_mov_b32 s13, exec_lo
	s_waitcnt vmcnt(0)
	v_cmpx_lt_i16_e32 0x7f, v5
	s_xor_b32 s13, exec_lo, s13
	s_cbranch_execz .LBB6_1072
; %bb.1069:
	s_mov_b32 s12, -1
	s_mov_b32 s14, exec_lo
	v_cmpx_eq_u16_e32 0x80, v5
; %bb.1070:
	s_xor_b32 s12, exec_lo, -1
; %bb.1071:
	s_or_b32 exec_lo, exec_lo, s14
	s_and_b32 s12, s12, exec_lo
.LBB6_1072:
	s_or_saveexec_b32 s13, s13
	v_bfrev_b32_e32 v0, 4
	v_mov_b32_e32 v1, 0x7ff80000
	s_xor_b32 exec_lo, exec_lo, s13
; %bb.1073:
	v_cmp_ne_u16_e32 vcc_lo, 0, v5
	v_mov_b32_e32 v0, 0
	v_mov_b32_e32 v1, 0
	s_andn2_b32 s12, s12, exec_lo
	s_and_b32 s14, vcc_lo, exec_lo
	s_or_b32 s12, s12, s14
; %bb.1074:
	s_or_b32 exec_lo, exec_lo, s13
	s_and_saveexec_b32 s13, s12
	s_cbranch_execz .LBB6_1076
; %bb.1075:
	v_and_b32_e32 v0, 0xffff, v5
	v_lshlrev_b32_e32 v5, 24, v5
	v_and_b32_e32 v1, 7, v0
	v_bfe_u32 v8, v0, 3, 4
	v_ffbh_u32_e32 v6, v1
	v_cmp_eq_u32_e32 vcc_lo, 0, v8
	v_min_u32_e32 v6, 32, v6
	v_subrev_nc_u32_e32 v7, 28, v6
	v_sub_nc_u32_e32 v6, 29, v6
	v_lshlrev_b32_e32 v0, v7, v0
	v_cndmask_b32_e32 v6, v8, v6, vcc_lo
	v_and_b32_e32 v0, 7, v0
	v_cndmask_b32_e32 v0, v1, v0, vcc_lo
	v_and_b32_e32 v1, 0x80000000, v5
	v_lshl_add_u32 v5, v6, 23, 0x3b800000
	v_lshlrev_b32_e32 v0, 20, v0
	v_or3_b32 v0, v1, v5, v0
	v_cvt_f64_f32_e32 v[0:1], v0
.LBB6_1076:
	s_or_b32 exec_lo, exec_lo, s13
.LBB6_1077:
	s_mov_b32 s12, -1
.LBB6_1078:
	s_branch .LBB6_1108
.LBB6_1079:
	s_cmp_gt_i32 s0, 22
	s_cbranch_scc0 .LBB6_1091
; %bb.1080:
	s_cmp_lt_i32 s0, 24
	s_cbranch_scc1 .LBB6_1092
; %bb.1081:
	s_cmp_gt_i32 s0, 24
	s_cbranch_scc0 .LBB6_1093
; %bb.1082:
	global_load_ubyte v5, v[2:3], off
	s_mov_b32 s12, exec_lo
	s_waitcnt vmcnt(0)
	v_cmpx_lt_i16_e32 0x7f, v5
	s_xor_b32 s12, exec_lo, s12
	s_cbranch_execz .LBB6_1086
; %bb.1083:
	s_mov_b32 s5, -1
	s_mov_b32 s13, exec_lo
	v_cmpx_eq_u16_e32 0x80, v5
; %bb.1084:
	s_xor_b32 s5, exec_lo, -1
; %bb.1085:
	s_or_b32 exec_lo, exec_lo, s13
	s_and_b32 s5, s5, exec_lo
.LBB6_1086:
	s_or_saveexec_b32 s12, s12
	v_bfrev_b32_e32 v0, 4
	v_mov_b32_e32 v1, 0x7ff80000
	s_xor_b32 exec_lo, exec_lo, s12
; %bb.1087:
	v_cmp_ne_u16_e32 vcc_lo, 0, v5
	v_mov_b32_e32 v0, 0
	v_mov_b32_e32 v1, 0
	s_andn2_b32 s5, s5, exec_lo
	s_and_b32 s13, vcc_lo, exec_lo
	s_or_b32 s5, s5, s13
; %bb.1088:
	s_or_b32 exec_lo, exec_lo, s12
	s_and_saveexec_b32 s12, s5
	s_cbranch_execz .LBB6_1090
; %bb.1089:
	v_and_b32_e32 v0, 0xffff, v5
	v_lshlrev_b32_e32 v5, 24, v5
	v_and_b32_e32 v1, 3, v0
	v_bfe_u32 v8, v0, 2, 5
	v_ffbh_u32_e32 v6, v1
	v_cmp_eq_u32_e32 vcc_lo, 0, v8
	v_min_u32_e32 v6, 32, v6
	v_subrev_nc_u32_e32 v7, 29, v6
	v_sub_nc_u32_e32 v6, 30, v6
	v_lshlrev_b32_e32 v0, v7, v0
	v_cndmask_b32_e32 v6, v8, v6, vcc_lo
	v_and_b32_e32 v0, 3, v0
	v_cndmask_b32_e32 v0, v1, v0, vcc_lo
	v_and_b32_e32 v1, 0x80000000, v5
	v_lshl_add_u32 v5, v6, 23, 0x37800000
	v_lshlrev_b32_e32 v0, 21, v0
	v_or3_b32 v0, v1, v5, v0
	v_cvt_f64_f32_e32 v[0:1], v0
.LBB6_1090:
	s_or_b32 exec_lo, exec_lo, s12
	s_mov_b32 s5, 0
	s_branch .LBB6_1094
.LBB6_1091:
                                        ; implicit-def: $vgpr0_vgpr1
	s_mov_b32 s5, 0
	s_branch .LBB6_1100
.LBB6_1092:
	s_mov_b32 s5, -1
                                        ; implicit-def: $vgpr0_vgpr1
	s_branch .LBB6_1097
.LBB6_1093:
	s_mov_b32 s5, -1
                                        ; implicit-def: $vgpr0_vgpr1
.LBB6_1094:
	s_and_b32 vcc_lo, exec_lo, s5
	s_cbranch_vccz .LBB6_1096
; %bb.1095:
	global_load_ubyte v0, v[2:3], off
	s_waitcnt vmcnt(0)
	v_lshlrev_b32_e32 v0, 24, v0
	v_and_b32_e32 v1, 0x7f000000, v0
	v_ffbh_u32_e32 v5, v1
	v_add_nc_u32_e32 v7, 0x1000000, v1
	v_cmp_ne_u32_e32 vcc_lo, 0, v1
	v_min_u32_e32 v5, 32, v5
	v_sub_nc_u32_e64 v5, v5, 4 clamp
	v_lshlrev_b32_e32 v6, v5, v1
	v_lshlrev_b32_e32 v5, 23, v5
	v_lshrrev_b32_e32 v6, 4, v6
	v_sub_nc_u32_e32 v5, v6, v5
	v_ashrrev_i32_e32 v6, 8, v7
	v_add_nc_u32_e32 v5, 0x3c000000, v5
	v_and_or_b32 v5, 0x7f800000, v6, v5
	v_cndmask_b32_e32 v1, 0, v5, vcc_lo
	v_and_or_b32 v0, 0x80000000, v0, v1
	v_cvt_f64_f32_e32 v[0:1], v0
.LBB6_1096:
	s_mov_b32 s5, 0
.LBB6_1097:
	s_andn2_b32 vcc_lo, exec_lo, s5
	s_cbranch_vccnz .LBB6_1099
; %bb.1098:
	global_load_ubyte v0, v[2:3], off
	s_waitcnt vmcnt(0)
	v_lshlrev_b32_e32 v1, 25, v0
	v_lshlrev_b16 v0, 8, v0
	v_lshrrev_b32_e32 v5, 4, v1
	v_and_or_b32 v6, 0x7f00, v0, 0.5
	v_cmp_gt_u32_e32 vcc_lo, 0x8000000, v1
	v_bfe_i32 v0, v0, 0, 16
	v_or_b32_e32 v5, 0x70000000, v5
	v_add_f32_e32 v6, -0.5, v6
	v_mul_f32_e32 v5, 0x7800000, v5
	v_cndmask_b32_e32 v1, v5, v6, vcc_lo
	v_and_or_b32 v0, 0x80000000, v0, v1
	v_cvt_f64_f32_e32 v[0:1], v0
.LBB6_1099:
	s_mov_b32 s12, -1
	s_mov_b32 s5, 0
	s_cbranch_execnz .LBB6_1108
.LBB6_1100:
	s_cmp_gt_i32 s0, 14
	s_cbranch_scc0 .LBB6_1103
; %bb.1101:
	s_cmp_eq_u32 s0, 15
	s_cbranch_scc0 .LBB6_1104
; %bb.1102:
	global_load_ushort v0, v[2:3], off
	s_mov_b32 s4, 0
	s_mov_b32 s12, -1
	s_waitcnt vmcnt(0)
	v_lshlrev_b32_e32 v0, 16, v0
	v_cvt_f64_f32_e32 v[0:1], v0
	s_branch .LBB6_1106
.LBB6_1103:
	s_mov_b32 s5, -1
	s_branch .LBB6_1105
.LBB6_1104:
	s_mov_b32 s4, -1
.LBB6_1105:
                                        ; implicit-def: $vgpr0_vgpr1
.LBB6_1106:
	s_and_b32 vcc_lo, exec_lo, s5
	s_mov_b32 s5, 0
	s_cbranch_vccz .LBB6_1108
; %bb.1107:
	s_cmp_lg_u32 s0, 11
	s_mov_b32 s5, -1
	s_cselect_b32 s4, -1, 0
.LBB6_1108:
	s_and_b32 vcc_lo, exec_lo, s4
	s_mov_b32 s4, s7
	s_cbranch_vccnz .LBB6_1169
; %bb.1109:
	s_andn2_b32 vcc_lo, exec_lo, s5
	s_cbranch_vccnz .LBB6_1111
.LBB6_1110:
	global_load_ubyte v0, v[2:3], off
	s_mov_b32 s12, -1
	s_waitcnt vmcnt(0)
	v_cmp_ne_u16_e32 vcc_lo, 0, v0
	v_mov_b32_e32 v0, 0
	v_cndmask_b32_e64 v1, 0, 0x3ff00000, vcc_lo
.LBB6_1111:
	s_branch .LBB6_1040
.LBB6_1112:
	s_cmp_lt_i32 s0, 5
	s_cbranch_scc1 .LBB6_1117
; %bb.1113:
	s_cmp_lt_i32 s0, 8
	s_cbranch_scc1 .LBB6_1118
; %bb.1114:
	;; [unrolled: 3-line block ×3, first 2 shown]
	s_cmp_gt_i32 s0, 9
	s_cbranch_scc0 .LBB6_1120
; %bb.1116:
	global_load_dwordx2 v[0:1], v[2:3], off
	s_mov_b32 s5, 0
	s_branch .LBB6_1121
.LBB6_1117:
                                        ; implicit-def: $vgpr0_vgpr1
	s_branch .LBB6_1138
.LBB6_1118:
                                        ; implicit-def: $vgpr0_vgpr1
	s_branch .LBB6_1127
.LBB6_1119:
	s_mov_b32 s5, -1
                                        ; implicit-def: $vgpr0_vgpr1
	s_branch .LBB6_1124
.LBB6_1120:
	s_mov_b32 s5, -1
                                        ; implicit-def: $vgpr0_vgpr1
.LBB6_1121:
	s_andn2_b32 vcc_lo, exec_lo, s5
	s_cbranch_vccnz .LBB6_1123
; %bb.1122:
	global_load_dword v0, v[2:3], off
	s_waitcnt vmcnt(0)
	v_cvt_f64_f32_e32 v[0:1], v0
.LBB6_1123:
	s_mov_b32 s5, 0
.LBB6_1124:
	s_andn2_b32 vcc_lo, exec_lo, s5
	s_cbranch_vccnz .LBB6_1126
; %bb.1125:
	global_load_dword v0, v[2:3], off
	s_waitcnt vmcnt(0)
	v_cvt_f32_f16_e32 v0, v0
	v_cvt_f64_f32_e32 v[0:1], v0
.LBB6_1126:
	s_cbranch_execnz .LBB6_1137
.LBB6_1127:
	s_cmp_lt_i32 s0, 6
	s_cbranch_scc1 .LBB6_1130
; %bb.1128:
	s_cmp_gt_i32 s0, 6
	s_cbranch_scc0 .LBB6_1131
; %bb.1129:
	global_load_dwordx2 v[0:1], v[2:3], off
	s_mov_b32 s5, 0
	s_branch .LBB6_1132
.LBB6_1130:
	s_mov_b32 s5, -1
                                        ; implicit-def: $vgpr0_vgpr1
	s_branch .LBB6_1135
.LBB6_1131:
	s_mov_b32 s5, -1
                                        ; implicit-def: $vgpr0_vgpr1
.LBB6_1132:
	s_andn2_b32 vcc_lo, exec_lo, s5
	s_cbranch_vccnz .LBB6_1134
; %bb.1133:
	global_load_dword v0, v[2:3], off
	s_waitcnt vmcnt(0)
	v_cvt_f64_f32_e32 v[0:1], v0
.LBB6_1134:
	s_mov_b32 s5, 0
.LBB6_1135:
	s_andn2_b32 vcc_lo, exec_lo, s5
	s_cbranch_vccnz .LBB6_1137
; %bb.1136:
	global_load_ushort v0, v[2:3], off
	s_waitcnt vmcnt(0)
	v_cvt_f32_f16_e32 v0, v0
	v_cvt_f64_f32_e32 v[0:1], v0
.LBB6_1137:
	s_cbranch_execnz .LBB6_1156
.LBB6_1138:
	s_cmp_lt_i32 s0, 2
	s_cbranch_scc1 .LBB6_1142
; %bb.1139:
	s_cmp_lt_i32 s0, 3
	s_cbranch_scc1 .LBB6_1143
; %bb.1140:
	s_cmp_gt_i32 s0, 3
	s_cbranch_scc0 .LBB6_1144
; %bb.1141:
	global_load_dwordx2 v[0:1], v[2:3], off
	s_mov_b32 s5, 0
	s_waitcnt vmcnt(0)
	v_cvt_f64_i32_e32 v[5:6], v1
	v_cvt_f64_u32_e32 v[0:1], v0
	v_ldexp_f64 v[5:6], v[5:6], 32
	v_add_f64 v[0:1], v[5:6], v[0:1]
	s_branch .LBB6_1145
.LBB6_1142:
                                        ; implicit-def: $vgpr0_vgpr1
	s_branch .LBB6_1151
.LBB6_1143:
	s_mov_b32 s5, -1
                                        ; implicit-def: $vgpr0_vgpr1
	s_branch .LBB6_1148
.LBB6_1144:
	s_mov_b32 s5, -1
                                        ; implicit-def: $vgpr0_vgpr1
.LBB6_1145:
	s_andn2_b32 vcc_lo, exec_lo, s5
	s_cbranch_vccnz .LBB6_1147
; %bb.1146:
	global_load_dword v0, v[2:3], off
	s_waitcnt vmcnt(0)
	v_cvt_f64_i32_e32 v[0:1], v0
.LBB6_1147:
	s_mov_b32 s5, 0
.LBB6_1148:
	s_andn2_b32 vcc_lo, exec_lo, s5
	s_cbranch_vccnz .LBB6_1150
; %bb.1149:
	global_load_sshort v0, v[2:3], off
	s_waitcnt vmcnt(0)
	v_cvt_f64_i32_e32 v[0:1], v0
.LBB6_1150:
	s_cbranch_execnz .LBB6_1156
.LBB6_1151:
	s_cmp_gt_i32 s0, 0
	s_mov_b32 s5, 0
	s_cbranch_scc0 .LBB6_1153
; %bb.1152:
	global_load_sbyte v0, v[2:3], off
	s_waitcnt vmcnt(0)
	v_cvt_f64_i32_e32 v[0:1], v0
	s_branch .LBB6_1154
.LBB6_1153:
	s_mov_b32 s5, -1
                                        ; implicit-def: $vgpr0_vgpr1
.LBB6_1154:
	s_andn2_b32 vcc_lo, exec_lo, s5
	s_cbranch_vccnz .LBB6_1156
; %bb.1155:
	global_load_ubyte v0, v[2:3], off
	s_waitcnt vmcnt(0)
	v_cvt_f64_u32_e32 v[0:1], v0
.LBB6_1156:
                                        ; implicit-def: $vgpr2_vgpr3
.LBB6_1157:
	s_lshl_b32 s3, s3, 7
	s_cmp_lt_i32 s0, 11
	v_add_nc_u32_e32 v4, s3, v4
	v_ashrrev_i32_e32 v3, 31, v4
	v_add_co_u32 v2, vcc_lo, s10, v4
	v_add_co_ci_u32_e64 v3, null, s11, v3, vcc_lo
	s_cbranch_scc1 .LBB6_1164
; %bb.1158:
	s_cmp_gt_i32 s0, 25
	s_mov_b32 s12, 0
	s_cbranch_scc0 .LBB6_1166
; %bb.1159:
	s_cmp_gt_i32 s0, 28
	s_cbranch_scc0 .LBB6_1167
; %bb.1160:
	s_cmp_gt_i32 s0, 43
	;; [unrolled: 3-line block ×3, first 2 shown]
	s_cbranch_scc0 .LBB6_1170
; %bb.1162:
	s_cmp_eq_u32 s0, 46
	s_mov_b32 s14, 0
	s_cbranch_scc0 .LBB6_1173
; %bb.1163:
	global_load_dword v5, v[2:3], off
	s_mov_b32 s5, 0
	s_mov_b32 s13, -1
	s_waitcnt vmcnt(0)
	v_lshlrev_b32_e32 v5, 16, v5
	v_cvt_f64_f32_e32 v[8:9], v5
	s_branch .LBB6_1175
.LBB6_1164:
	s_mov_b32 s13, 0
                                        ; implicit-def: $vgpr8_vgpr9
	s_cbranch_execnz .LBB6_1240
.LBB6_1165:
	s_andn2_b32 vcc_lo, exec_lo, s13
	s_cbranch_vccnz .LBB6_1981
	s_branch .LBB6_1287
.LBB6_1166:
	s_mov_b32 s13, 0
	s_mov_b32 s5, 0
                                        ; implicit-def: $vgpr8_vgpr9
	s_cbranch_execnz .LBB6_1206
	s_branch .LBB6_1236
.LBB6_1167:
	s_mov_b32 s14, -1
	s_mov_b32 s13, 0
	s_mov_b32 s5, 0
                                        ; implicit-def: $vgpr8_vgpr9
	s_branch .LBB6_1185
.LBB6_1168:
	s_mov_b32 s14, -1
	s_mov_b32 s13, 0
	s_mov_b32 s5, 0
                                        ; implicit-def: $vgpr8_vgpr9
	s_branch .LBB6_1180
.LBB6_1169:
	s_or_b32 s4, s7, exec_lo
	s_trap 2
	s_cbranch_execz .LBB6_1110
	s_branch .LBB6_1111
.LBB6_1170:
	s_mov_b32 s14, -1
	s_mov_b32 s13, 0
	s_mov_b32 s5, 0
	s_branch .LBB6_1174
.LBB6_1171:
	s_andn2_saveexec_b32 s19, s19
	s_cbranch_execz .LBB6_956
.LBB6_1172:
	v_add_f32_e64 v3, 0x42800000, |v2|
	s_andn2_b32 s18, s18, exec_lo
	v_and_b32_e32 v3, 0xff, v3
	v_cmp_ne_u32_e32 vcc_lo, 0, v3
	s_and_b32 s20, vcc_lo, exec_lo
	s_or_b32 s18, s18, s20
	s_or_b32 exec_lo, exec_lo, s19
	v_mov_b32_e32 v6, 0
	s_and_saveexec_b32 s19, s18
	s_cbranch_execnz .LBB6_957
	s_branch .LBB6_958
.LBB6_1173:
	s_mov_b32 s5, -1
	s_mov_b32 s13, 0
.LBB6_1174:
                                        ; implicit-def: $vgpr8_vgpr9
.LBB6_1175:
	s_and_b32 vcc_lo, exec_lo, s14
	s_cbranch_vccz .LBB6_1179
; %bb.1176:
	s_cmp_eq_u32 s0, 44
	s_cbranch_scc0 .LBB6_1178
; %bb.1177:
	global_load_ubyte v7, v[2:3], off
	s_mov_b32 s5, 0
	s_mov_b32 s13, -1
	s_waitcnt vmcnt(0)
	v_lshlrev_b32_e32 v5, 23, v7
	v_cmp_ne_u32_e32 vcc_lo, 0xff, v7
	v_cvt_f64_f32_e32 v[5:6], v5
	v_cndmask_b32_e32 v5, 0x20000000, v5, vcc_lo
	v_cndmask_b32_e32 v6, 0x7ff80000, v6, vcc_lo
	v_cmp_ne_u32_e32 vcc_lo, 0, v7
	v_cndmask_b32_e32 v9, 0x38000000, v6, vcc_lo
	v_cndmask_b32_e32 v8, 0, v5, vcc_lo
	s_branch .LBB6_1179
.LBB6_1178:
	s_mov_b32 s5, -1
                                        ; implicit-def: $vgpr8_vgpr9
.LBB6_1179:
	s_mov_b32 s14, 0
.LBB6_1180:
	s_and_b32 vcc_lo, exec_lo, s14
	s_cbranch_vccz .LBB6_1184
; %bb.1181:
	s_cmp_eq_u32 s0, 29
	s_cbranch_scc0 .LBB6_1183
; %bb.1182:
	global_load_dwordx2 v[5:6], v[2:3], off
	s_mov_b32 s5, 0
	s_mov_b32 s13, -1
	s_mov_b32 s14, 0
	s_waitcnt vmcnt(0)
	v_cvt_f64_u32_e32 v[6:7], v6
	v_cvt_f64_u32_e32 v[8:9], v5
	v_ldexp_f64 v[6:7], v[6:7], 32
	v_add_f64 v[8:9], v[6:7], v[8:9]
	s_branch .LBB6_1185
.LBB6_1183:
	s_mov_b32 s5, -1
                                        ; implicit-def: $vgpr8_vgpr9
.LBB6_1184:
	s_mov_b32 s14, 0
.LBB6_1185:
	s_and_b32 vcc_lo, exec_lo, s14
	s_cbranch_vccz .LBB6_1205
; %bb.1186:
	s_cmp_lt_i32 s0, 27
	s_cbranch_scc1 .LBB6_1189
; %bb.1187:
	s_cmp_gt_i32 s0, 27
	s_cbranch_scc0 .LBB6_1190
; %bb.1188:
	global_load_dword v5, v[2:3], off
	s_mov_b32 s13, 0
	s_waitcnt vmcnt(0)
	v_cvt_f64_u32_e32 v[8:9], v5
	s_branch .LBB6_1191
.LBB6_1189:
	s_mov_b32 s13, -1
                                        ; implicit-def: $vgpr8_vgpr9
	s_branch .LBB6_1194
.LBB6_1190:
	s_mov_b32 s13, -1
                                        ; implicit-def: $vgpr8_vgpr9
.LBB6_1191:
	s_andn2_b32 vcc_lo, exec_lo, s13
	s_cbranch_vccnz .LBB6_1193
; %bb.1192:
	global_load_ushort v5, v[2:3], off
	s_waitcnt vmcnt(0)
	v_cvt_f64_u32_e32 v[8:9], v5
.LBB6_1193:
	s_mov_b32 s13, 0
.LBB6_1194:
	s_andn2_b32 vcc_lo, exec_lo, s13
	s_cbranch_vccnz .LBB6_1204
; %bb.1195:
	global_load_ubyte v5, v[2:3], off
	s_mov_b32 s13, 0
	s_mov_b32 s14, exec_lo
	s_waitcnt vmcnt(0)
	v_cmpx_lt_i16_e32 0x7f, v5
	s_xor_b32 s14, exec_lo, s14
	s_cbranch_execz .LBB6_1199
; %bb.1196:
	s_mov_b32 s13, -1
	s_mov_b32 s15, exec_lo
	v_cmpx_eq_u16_e32 0x80, v5
; %bb.1197:
	s_xor_b32 s13, exec_lo, -1
; %bb.1198:
	s_or_b32 exec_lo, exec_lo, s15
	s_and_b32 s13, s13, exec_lo
.LBB6_1199:
	s_or_saveexec_b32 s14, s14
	v_bfrev_b32_e32 v8, 4
	v_mov_b32_e32 v9, 0x7ff80000
	s_xor_b32 exec_lo, exec_lo, s14
; %bb.1200:
	v_cmp_ne_u16_e32 vcc_lo, 0, v5
	v_mov_b32_e32 v8, 0
	v_mov_b32_e32 v9, 0
	s_andn2_b32 s13, s13, exec_lo
	s_and_b32 s15, vcc_lo, exec_lo
	s_or_b32 s13, s13, s15
; %bb.1201:
	s_or_b32 exec_lo, exec_lo, s14
	s_and_saveexec_b32 s14, s13
	s_cbranch_execz .LBB6_1203
; %bb.1202:
	v_and_b32_e32 v6, 0xffff, v5
	v_lshlrev_b32_e32 v5, 24, v5
	v_and_b32_e32 v7, 7, v6
	v_bfe_u32 v11, v6, 3, 4
	v_and_b32_e32 v5, 0x80000000, v5
	v_ffbh_u32_e32 v8, v7
	v_cmp_eq_u32_e32 vcc_lo, 0, v11
	v_min_u32_e32 v8, 32, v8
	v_subrev_nc_u32_e32 v9, 28, v8
	v_sub_nc_u32_e32 v8, 29, v8
	v_lshlrev_b32_e32 v6, v9, v6
	v_cndmask_b32_e32 v8, v11, v8, vcc_lo
	v_and_b32_e32 v6, 7, v6
	v_cndmask_b32_e32 v6, v7, v6, vcc_lo
	v_lshl_add_u32 v7, v8, 23, 0x3b800000
	v_lshlrev_b32_e32 v6, 20, v6
	v_or3_b32 v5, v5, v7, v6
	v_cvt_f64_f32_e32 v[8:9], v5
.LBB6_1203:
	s_or_b32 exec_lo, exec_lo, s14
.LBB6_1204:
	s_mov_b32 s13, -1
.LBB6_1205:
	s_branch .LBB6_1236
.LBB6_1206:
	s_cmp_gt_i32 s0, 22
	s_cbranch_scc0 .LBB6_1218
; %bb.1207:
	s_cmp_lt_i32 s0, 24
	s_cbranch_scc1 .LBB6_1219
; %bb.1208:
	s_cmp_gt_i32 s0, 24
	s_cbranch_scc0 .LBB6_1220
; %bb.1209:
	global_load_ubyte v5, v[2:3], off
	s_mov_b32 s13, exec_lo
	s_waitcnt vmcnt(0)
	v_cmpx_lt_i16_e32 0x7f, v5
	s_xor_b32 s13, exec_lo, s13
	s_cbranch_execz .LBB6_1213
; %bb.1210:
	s_mov_b32 s12, -1
	s_mov_b32 s14, exec_lo
	v_cmpx_eq_u16_e32 0x80, v5
; %bb.1211:
	s_xor_b32 s12, exec_lo, -1
; %bb.1212:
	s_or_b32 exec_lo, exec_lo, s14
	s_and_b32 s12, s12, exec_lo
.LBB6_1213:
	s_or_saveexec_b32 s13, s13
	v_bfrev_b32_e32 v8, 4
	v_mov_b32_e32 v9, 0x7ff80000
	s_xor_b32 exec_lo, exec_lo, s13
; %bb.1214:
	v_cmp_ne_u16_e32 vcc_lo, 0, v5
	v_mov_b32_e32 v8, 0
	v_mov_b32_e32 v9, 0
	s_andn2_b32 s12, s12, exec_lo
	s_and_b32 s14, vcc_lo, exec_lo
	s_or_b32 s12, s12, s14
; %bb.1215:
	s_or_b32 exec_lo, exec_lo, s13
	s_and_saveexec_b32 s13, s12
	s_cbranch_execz .LBB6_1217
; %bb.1216:
	v_and_b32_e32 v6, 0xffff, v5
	v_lshlrev_b32_e32 v5, 24, v5
	v_and_b32_e32 v7, 3, v6
	v_bfe_u32 v11, v6, 2, 5
	v_and_b32_e32 v5, 0x80000000, v5
	v_ffbh_u32_e32 v8, v7
	v_cmp_eq_u32_e32 vcc_lo, 0, v11
	v_min_u32_e32 v8, 32, v8
	v_subrev_nc_u32_e32 v9, 29, v8
	v_sub_nc_u32_e32 v8, 30, v8
	v_lshlrev_b32_e32 v6, v9, v6
	v_cndmask_b32_e32 v8, v11, v8, vcc_lo
	v_and_b32_e32 v6, 3, v6
	v_cndmask_b32_e32 v6, v7, v6, vcc_lo
	v_lshl_add_u32 v7, v8, 23, 0x37800000
	v_lshlrev_b32_e32 v6, 21, v6
	v_or3_b32 v5, v5, v7, v6
	v_cvt_f64_f32_e32 v[8:9], v5
.LBB6_1217:
	s_or_b32 exec_lo, exec_lo, s13
	s_mov_b32 s12, 0
	s_branch .LBB6_1221
.LBB6_1218:
	s_mov_b32 s12, -1
                                        ; implicit-def: $vgpr8_vgpr9
	s_branch .LBB6_1227
.LBB6_1219:
	s_mov_b32 s12, -1
                                        ; implicit-def: $vgpr8_vgpr9
	s_branch .LBB6_1224
.LBB6_1220:
	s_mov_b32 s12, -1
                                        ; implicit-def: $vgpr8_vgpr9
.LBB6_1221:
	s_and_b32 vcc_lo, exec_lo, s12
	s_cbranch_vccz .LBB6_1223
; %bb.1222:
	global_load_ubyte v5, v[2:3], off
	s_waitcnt vmcnt(0)
	v_lshlrev_b32_e32 v5, 24, v5
	v_and_b32_e32 v6, 0x7f000000, v5
	v_ffbh_u32_e32 v7, v6
	v_add_nc_u32_e32 v9, 0x1000000, v6
	v_cmp_ne_u32_e32 vcc_lo, 0, v6
	v_min_u32_e32 v7, 32, v7
	v_sub_nc_u32_e64 v7, v7, 4 clamp
	v_lshlrev_b32_e32 v8, v7, v6
	v_lshlrev_b32_e32 v7, 23, v7
	v_lshrrev_b32_e32 v8, 4, v8
	v_sub_nc_u32_e32 v7, v8, v7
	v_ashrrev_i32_e32 v8, 8, v9
	v_add_nc_u32_e32 v7, 0x3c000000, v7
	v_and_or_b32 v7, 0x7f800000, v8, v7
	v_cndmask_b32_e32 v6, 0, v7, vcc_lo
	v_and_or_b32 v5, 0x80000000, v5, v6
	v_cvt_f64_f32_e32 v[8:9], v5
.LBB6_1223:
	s_mov_b32 s12, 0
.LBB6_1224:
	s_andn2_b32 vcc_lo, exec_lo, s12
	s_cbranch_vccnz .LBB6_1226
; %bb.1225:
	global_load_ubyte v5, v[2:3], off
	s_waitcnt vmcnt(0)
	v_lshlrev_b32_e32 v6, 25, v5
	v_lshlrev_b16 v5, 8, v5
	v_lshrrev_b32_e32 v7, 4, v6
	v_and_or_b32 v8, 0x7f00, v5, 0.5
	v_cmp_gt_u32_e32 vcc_lo, 0x8000000, v6
	v_bfe_i32 v5, v5, 0, 16
	v_or_b32_e32 v7, 0x70000000, v7
	v_add_f32_e32 v8, -0.5, v8
	v_mul_f32_e32 v7, 0x7800000, v7
	v_cndmask_b32_e32 v6, v7, v8, vcc_lo
	v_and_or_b32 v5, 0x80000000, v5, v6
	v_cvt_f64_f32_e32 v[8:9], v5
.LBB6_1226:
	s_mov_b32 s12, 0
	s_mov_b32 s13, -1
.LBB6_1227:
	s_andn2_b32 vcc_lo, exec_lo, s12
	s_mov_b32 s12, 0
	s_cbranch_vccnz .LBB6_1236
; %bb.1228:
	s_cmp_gt_i32 s0, 14
	s_cbranch_scc0 .LBB6_1231
; %bb.1229:
	s_cmp_eq_u32 s0, 15
	s_cbranch_scc0 .LBB6_1232
; %bb.1230:
	global_load_ushort v5, v[2:3], off
	s_mov_b32 s5, 0
	s_mov_b32 s13, -1
	s_waitcnt vmcnt(0)
	v_lshlrev_b32_e32 v5, 16, v5
	v_cvt_f64_f32_e32 v[8:9], v5
	s_branch .LBB6_1234
.LBB6_1231:
	s_mov_b32 s12, -1
	s_branch .LBB6_1233
.LBB6_1232:
	s_mov_b32 s5, -1
.LBB6_1233:
                                        ; implicit-def: $vgpr8_vgpr9
.LBB6_1234:
	s_and_b32 vcc_lo, exec_lo, s12
	s_mov_b32 s12, 0
	s_cbranch_vccz .LBB6_1236
; %bb.1235:
	s_cmp_lg_u32 s0, 11
	s_mov_b32 s12, -1
	s_cselect_b32 s5, -1, 0
.LBB6_1236:
	s_and_b32 vcc_lo, exec_lo, s5
	s_cbranch_vccnz .LBB6_1299
; %bb.1237:
	s_andn2_b32 vcc_lo, exec_lo, s12
	s_cbranch_vccnz .LBB6_1239
.LBB6_1238:
	global_load_ubyte v5, v[2:3], off
	v_mov_b32_e32 v8, 0
	s_mov_b32 s13, -1
	s_waitcnt vmcnt(0)
	v_cmp_ne_u16_e32 vcc_lo, 0, v5
	v_cndmask_b32_e64 v9, 0, 0x3ff00000, vcc_lo
.LBB6_1239:
	s_branch .LBB6_1165
.LBB6_1240:
	s_cmp_lt_i32 s0, 5
	s_cbranch_scc1 .LBB6_1245
; %bb.1241:
	s_cmp_lt_i32 s0, 8
	s_cbranch_scc1 .LBB6_1246
; %bb.1242:
	;; [unrolled: 3-line block ×3, first 2 shown]
	s_cmp_gt_i32 s0, 9
	s_cbranch_scc0 .LBB6_1248
; %bb.1244:
	global_load_dwordx2 v[8:9], v[2:3], off
	s_mov_b32 s5, 0
	s_branch .LBB6_1249
.LBB6_1245:
                                        ; implicit-def: $vgpr8_vgpr9
	s_branch .LBB6_1267
.LBB6_1246:
	s_mov_b32 s5, -1
                                        ; implicit-def: $vgpr8_vgpr9
	s_branch .LBB6_1255
.LBB6_1247:
	s_mov_b32 s5, -1
                                        ; implicit-def: $vgpr8_vgpr9
	s_branch .LBB6_1252
.LBB6_1248:
	s_mov_b32 s5, -1
                                        ; implicit-def: $vgpr8_vgpr9
.LBB6_1249:
	s_andn2_b32 vcc_lo, exec_lo, s5
	s_cbranch_vccnz .LBB6_1251
; %bb.1250:
	global_load_dword v5, v[2:3], off
	s_waitcnt vmcnt(0)
	v_cvt_f64_f32_e32 v[8:9], v5
.LBB6_1251:
	s_mov_b32 s5, 0
.LBB6_1252:
	s_andn2_b32 vcc_lo, exec_lo, s5
	s_cbranch_vccnz .LBB6_1254
; %bb.1253:
	global_load_dword v5, v[2:3], off
	s_waitcnt vmcnt(0)
	v_cvt_f32_f16_e32 v5, v5
	v_cvt_f64_f32_e32 v[8:9], v5
.LBB6_1254:
	s_mov_b32 s5, 0
.LBB6_1255:
	s_andn2_b32 vcc_lo, exec_lo, s5
	s_cbranch_vccnz .LBB6_1266
; %bb.1256:
	s_cmp_lt_i32 s0, 6
	s_cbranch_scc1 .LBB6_1259
; %bb.1257:
	s_cmp_gt_i32 s0, 6
	s_cbranch_scc0 .LBB6_1260
; %bb.1258:
	global_load_dwordx2 v[8:9], v[2:3], off
	s_mov_b32 s5, 0
	s_branch .LBB6_1261
.LBB6_1259:
	s_mov_b32 s5, -1
                                        ; implicit-def: $vgpr8_vgpr9
	s_branch .LBB6_1264
.LBB6_1260:
	s_mov_b32 s5, -1
                                        ; implicit-def: $vgpr8_vgpr9
.LBB6_1261:
	s_andn2_b32 vcc_lo, exec_lo, s5
	s_cbranch_vccnz .LBB6_1263
; %bb.1262:
	global_load_dword v5, v[2:3], off
	s_waitcnt vmcnt(0)
	v_cvt_f64_f32_e32 v[8:9], v5
.LBB6_1263:
	s_mov_b32 s5, 0
.LBB6_1264:
	s_andn2_b32 vcc_lo, exec_lo, s5
	s_cbranch_vccnz .LBB6_1266
; %bb.1265:
	global_load_ushort v5, v[2:3], off
	s_waitcnt vmcnt(0)
	v_cvt_f32_f16_e32 v5, v5
	v_cvt_f64_f32_e32 v[8:9], v5
.LBB6_1266:
	s_cbranch_execnz .LBB6_1286
.LBB6_1267:
	s_cmp_lt_i32 s0, 2
	s_cbranch_scc1 .LBB6_1271
; %bb.1268:
	s_cmp_lt_i32 s0, 3
	s_cbranch_scc1 .LBB6_1272
; %bb.1269:
	s_cmp_gt_i32 s0, 3
	s_cbranch_scc0 .LBB6_1273
; %bb.1270:
	global_load_dwordx2 v[5:6], v[2:3], off
	s_mov_b32 s5, 0
	s_waitcnt vmcnt(0)
	v_cvt_f64_i32_e32 v[6:7], v6
	v_cvt_f64_u32_e32 v[8:9], v5
	v_ldexp_f64 v[6:7], v[6:7], 32
	v_add_f64 v[8:9], v[6:7], v[8:9]
	s_branch .LBB6_1274
.LBB6_1271:
	s_mov_b32 s5, -1
                                        ; implicit-def: $vgpr8_vgpr9
	s_branch .LBB6_1280
.LBB6_1272:
	s_mov_b32 s5, -1
                                        ; implicit-def: $vgpr8_vgpr9
	s_branch .LBB6_1277
.LBB6_1273:
	s_mov_b32 s5, -1
                                        ; implicit-def: $vgpr8_vgpr9
.LBB6_1274:
	s_andn2_b32 vcc_lo, exec_lo, s5
	s_cbranch_vccnz .LBB6_1276
; %bb.1275:
	global_load_dword v5, v[2:3], off
	s_waitcnt vmcnt(0)
	v_cvt_f64_i32_e32 v[8:9], v5
.LBB6_1276:
	s_mov_b32 s5, 0
.LBB6_1277:
	s_andn2_b32 vcc_lo, exec_lo, s5
	s_cbranch_vccnz .LBB6_1279
; %bb.1278:
	global_load_sshort v5, v[2:3], off
	s_waitcnt vmcnt(0)
	v_cvt_f64_i32_e32 v[8:9], v5
.LBB6_1279:
	s_mov_b32 s5, 0
.LBB6_1280:
	s_andn2_b32 vcc_lo, exec_lo, s5
	s_cbranch_vccnz .LBB6_1286
; %bb.1281:
	s_cmp_gt_i32 s0, 0
	s_mov_b32 s5, 0
	s_cbranch_scc0 .LBB6_1283
; %bb.1282:
	global_load_sbyte v5, v[2:3], off
	s_waitcnt vmcnt(0)
	v_cvt_f64_i32_e32 v[8:9], v5
	s_branch .LBB6_1284
.LBB6_1283:
	s_mov_b32 s5, -1
                                        ; implicit-def: $vgpr8_vgpr9
.LBB6_1284:
	s_andn2_b32 vcc_lo, exec_lo, s5
	s_cbranch_vccnz .LBB6_1286
; %bb.1285:
	global_load_ubyte v2, v[2:3], off
	s_waitcnt vmcnt(0)
	v_cvt_f64_u32_e32 v[8:9], v2
.LBB6_1286:
.LBB6_1287:
	v_add_nc_u32_e32 v4, s3, v4
	s_cmp_lt_i32 s0, 11
	v_ashrrev_i32_e32 v3, 31, v4
	v_add_co_u32 v2, vcc_lo, s10, v4
	v_add_co_ci_u32_e64 v3, null, s11, v3, vcc_lo
	s_cbranch_scc1 .LBB6_1294
; %bb.1288:
	s_cmp_gt_i32 s0, 25
	s_mov_b32 s12, 0
	s_cbranch_scc0 .LBB6_1296
; %bb.1289:
	s_cmp_gt_i32 s0, 28
	s_cbranch_scc0 .LBB6_1297
; %bb.1290:
	s_cmp_gt_i32 s0, 43
	;; [unrolled: 3-line block ×3, first 2 shown]
	s_cbranch_scc0 .LBB6_1300
; %bb.1292:
	s_cmp_eq_u32 s0, 46
	s_mov_b32 s14, 0
	s_cbranch_scc0 .LBB6_1301
; %bb.1293:
	global_load_dword v5, v[2:3], off
	s_mov_b32 s5, 0
	s_mov_b32 s13, -1
	s_waitcnt vmcnt(0)
	v_lshlrev_b32_e32 v5, 16, v5
	v_cvt_f64_f32_e32 v[6:7], v5
	s_branch .LBB6_1303
.LBB6_1294:
	s_mov_b32 s13, 0
                                        ; implicit-def: $vgpr6_vgpr7
	s_cbranch_execnz .LBB6_1369
.LBB6_1295:
	s_andn2_b32 vcc_lo, exec_lo, s13
	s_cbranch_vccnz .LBB6_1981
	s_branch .LBB6_1417
.LBB6_1296:
	s_mov_b32 s14, -1
	s_mov_b32 s13, 0
	s_mov_b32 s5, 0
                                        ; implicit-def: $vgpr6_vgpr7
	s_branch .LBB6_1334
.LBB6_1297:
	s_mov_b32 s14, -1
	s_mov_b32 s13, 0
	s_mov_b32 s5, 0
                                        ; implicit-def: $vgpr6_vgpr7
	s_branch .LBB6_1313
.LBB6_1298:
	s_mov_b32 s14, -1
	s_mov_b32 s13, 0
	s_mov_b32 s5, 0
                                        ; implicit-def: $vgpr6_vgpr7
	s_branch .LBB6_1308
.LBB6_1299:
	s_or_b32 s4, s4, exec_lo
	s_trap 2
	s_cbranch_execz .LBB6_1238
	s_branch .LBB6_1239
.LBB6_1300:
	s_mov_b32 s14, -1
	s_mov_b32 s13, 0
	s_mov_b32 s5, 0
	s_branch .LBB6_1302
.LBB6_1301:
	s_mov_b32 s5, -1
	s_mov_b32 s13, 0
.LBB6_1302:
                                        ; implicit-def: $vgpr6_vgpr7
.LBB6_1303:
	s_and_b32 vcc_lo, exec_lo, s14
	s_cbranch_vccz .LBB6_1307
; %bb.1304:
	s_cmp_eq_u32 s0, 44
	s_cbranch_scc0 .LBB6_1306
; %bb.1305:
	global_load_ubyte v7, v[2:3], off
	s_mov_b32 s5, 0
	s_mov_b32 s13, -1
	s_waitcnt vmcnt(0)
	v_lshlrev_b32_e32 v5, 23, v7
	v_cmp_ne_u32_e32 vcc_lo, 0xff, v7
	v_cvt_f64_f32_e32 v[5:6], v5
	v_cndmask_b32_e32 v5, 0x20000000, v5, vcc_lo
	v_cndmask_b32_e32 v6, 0x7ff80000, v6, vcc_lo
	v_cmp_ne_u32_e32 vcc_lo, 0, v7
	v_cndmask_b32_e32 v7, 0x38000000, v6, vcc_lo
	v_cndmask_b32_e32 v6, 0, v5, vcc_lo
	s_branch .LBB6_1307
.LBB6_1306:
	s_mov_b32 s5, -1
                                        ; implicit-def: $vgpr6_vgpr7
.LBB6_1307:
	s_mov_b32 s14, 0
.LBB6_1308:
	s_and_b32 vcc_lo, exec_lo, s14
	s_cbranch_vccz .LBB6_1312
; %bb.1309:
	s_cmp_eq_u32 s0, 29
	s_cbranch_scc0 .LBB6_1311
; %bb.1310:
	global_load_dwordx2 v[5:6], v[2:3], off
	s_mov_b32 s5, 0
	s_mov_b32 s13, -1
	s_mov_b32 s14, 0
	s_waitcnt vmcnt(0)
	v_cvt_f64_u32_e32 v[6:7], v6
	v_cvt_f64_u32_e32 v[11:12], v5
	v_ldexp_f64 v[6:7], v[6:7], 32
	v_add_f64 v[6:7], v[6:7], v[11:12]
	s_branch .LBB6_1313
.LBB6_1311:
	s_mov_b32 s5, -1
                                        ; implicit-def: $vgpr6_vgpr7
.LBB6_1312:
	s_mov_b32 s14, 0
.LBB6_1313:
	s_and_b32 vcc_lo, exec_lo, s14
	s_cbranch_vccz .LBB6_1333
; %bb.1314:
	s_cmp_lt_i32 s0, 27
	s_cbranch_scc1 .LBB6_1317
; %bb.1315:
	s_cmp_gt_i32 s0, 27
	s_cbranch_scc0 .LBB6_1318
; %bb.1316:
	global_load_dword v5, v[2:3], off
	s_mov_b32 s13, 0
	s_waitcnt vmcnt(0)
	v_cvt_f64_u32_e32 v[6:7], v5
	s_branch .LBB6_1319
.LBB6_1317:
	s_mov_b32 s13, -1
                                        ; implicit-def: $vgpr6_vgpr7
	s_branch .LBB6_1322
.LBB6_1318:
	s_mov_b32 s13, -1
                                        ; implicit-def: $vgpr6_vgpr7
.LBB6_1319:
	s_andn2_b32 vcc_lo, exec_lo, s13
	s_cbranch_vccnz .LBB6_1321
; %bb.1320:
	global_load_ushort v5, v[2:3], off
	s_waitcnt vmcnt(0)
	v_cvt_f64_u32_e32 v[6:7], v5
.LBB6_1321:
	s_mov_b32 s13, 0
.LBB6_1322:
	s_andn2_b32 vcc_lo, exec_lo, s13
	s_cbranch_vccnz .LBB6_1332
; %bb.1323:
	global_load_ubyte v5, v[2:3], off
	s_mov_b32 s13, 0
	s_mov_b32 s14, exec_lo
	s_waitcnt vmcnt(0)
	v_cmpx_lt_i16_e32 0x7f, v5
	s_xor_b32 s14, exec_lo, s14
	s_cbranch_execz .LBB6_1327
; %bb.1324:
	s_mov_b32 s13, -1
	s_mov_b32 s15, exec_lo
	v_cmpx_eq_u16_e32 0x80, v5
; %bb.1325:
	s_xor_b32 s13, exec_lo, -1
; %bb.1326:
	s_or_b32 exec_lo, exec_lo, s15
	s_and_b32 s13, s13, exec_lo
.LBB6_1327:
	s_or_saveexec_b32 s14, s14
	v_bfrev_b32_e32 v6, 4
	v_mov_b32_e32 v7, 0x7ff80000
	s_xor_b32 exec_lo, exec_lo, s14
; %bb.1328:
	v_cmp_ne_u16_e32 vcc_lo, 0, v5
	v_mov_b32_e32 v6, 0
	v_mov_b32_e32 v7, 0
	s_andn2_b32 s13, s13, exec_lo
	s_and_b32 s15, vcc_lo, exec_lo
	s_or_b32 s13, s13, s15
; %bb.1329:
	s_or_b32 exec_lo, exec_lo, s14
	s_and_saveexec_b32 s14, s13
	s_cbranch_execz .LBB6_1331
; %bb.1330:
	v_and_b32_e32 v6, 0xffff, v5
	v_lshlrev_b32_e32 v5, 24, v5
	v_and_b32_e32 v7, 7, v6
	v_bfe_u32 v13, v6, 3, 4
	v_and_b32_e32 v5, 0x80000000, v5
	v_ffbh_u32_e32 v11, v7
	v_cmp_eq_u32_e32 vcc_lo, 0, v13
	v_min_u32_e32 v11, 32, v11
	v_subrev_nc_u32_e32 v12, 28, v11
	v_sub_nc_u32_e32 v11, 29, v11
	v_lshlrev_b32_e32 v6, v12, v6
	v_cndmask_b32_e32 v11, v13, v11, vcc_lo
	v_and_b32_e32 v6, 7, v6
	v_cndmask_b32_e32 v6, v7, v6, vcc_lo
	v_lshl_add_u32 v7, v11, 23, 0x3b800000
	v_lshlrev_b32_e32 v6, 20, v6
	v_or3_b32 v5, v5, v7, v6
	v_cvt_f64_f32_e32 v[6:7], v5
.LBB6_1331:
	s_or_b32 exec_lo, exec_lo, s14
.LBB6_1332:
	s_mov_b32 s13, -1
.LBB6_1333:
	s_mov_b32 s14, 0
.LBB6_1334:
	s_and_b32 vcc_lo, exec_lo, s14
	s_cbranch_vccz .LBB6_1365
; %bb.1335:
	s_cmp_gt_i32 s0, 22
	s_cbranch_scc0 .LBB6_1347
; %bb.1336:
	s_cmp_lt_i32 s0, 24
	s_cbranch_scc1 .LBB6_1348
; %bb.1337:
	s_cmp_gt_i32 s0, 24
	s_cbranch_scc0 .LBB6_1349
; %bb.1338:
	global_load_ubyte v5, v[2:3], off
	s_mov_b32 s13, exec_lo
	s_waitcnt vmcnt(0)
	v_cmpx_lt_i16_e32 0x7f, v5
	s_xor_b32 s13, exec_lo, s13
	s_cbranch_execz .LBB6_1342
; %bb.1339:
	s_mov_b32 s12, -1
	s_mov_b32 s14, exec_lo
	v_cmpx_eq_u16_e32 0x80, v5
; %bb.1340:
	s_xor_b32 s12, exec_lo, -1
; %bb.1341:
	s_or_b32 exec_lo, exec_lo, s14
	s_and_b32 s12, s12, exec_lo
.LBB6_1342:
	s_or_saveexec_b32 s13, s13
	v_bfrev_b32_e32 v6, 4
	v_mov_b32_e32 v7, 0x7ff80000
	s_xor_b32 exec_lo, exec_lo, s13
; %bb.1343:
	v_cmp_ne_u16_e32 vcc_lo, 0, v5
	v_mov_b32_e32 v6, 0
	v_mov_b32_e32 v7, 0
	s_andn2_b32 s12, s12, exec_lo
	s_and_b32 s14, vcc_lo, exec_lo
	s_or_b32 s12, s12, s14
; %bb.1344:
	s_or_b32 exec_lo, exec_lo, s13
	s_and_saveexec_b32 s13, s12
	s_cbranch_execz .LBB6_1346
; %bb.1345:
	v_and_b32_e32 v6, 0xffff, v5
	v_lshlrev_b32_e32 v5, 24, v5
	v_and_b32_e32 v7, 3, v6
	v_bfe_u32 v13, v6, 2, 5
	v_and_b32_e32 v5, 0x80000000, v5
	v_ffbh_u32_e32 v11, v7
	v_cmp_eq_u32_e32 vcc_lo, 0, v13
	v_min_u32_e32 v11, 32, v11
	v_subrev_nc_u32_e32 v12, 29, v11
	v_sub_nc_u32_e32 v11, 30, v11
	v_lshlrev_b32_e32 v6, v12, v6
	v_cndmask_b32_e32 v11, v13, v11, vcc_lo
	v_and_b32_e32 v6, 3, v6
	v_cndmask_b32_e32 v6, v7, v6, vcc_lo
	v_lshl_add_u32 v7, v11, 23, 0x37800000
	v_lshlrev_b32_e32 v6, 21, v6
	v_or3_b32 v5, v5, v7, v6
	v_cvt_f64_f32_e32 v[6:7], v5
.LBB6_1346:
	s_or_b32 exec_lo, exec_lo, s13
	s_mov_b32 s12, 0
	s_branch .LBB6_1350
.LBB6_1347:
	s_mov_b32 s12, -1
                                        ; implicit-def: $vgpr6_vgpr7
	s_branch .LBB6_1356
.LBB6_1348:
	s_mov_b32 s12, -1
                                        ; implicit-def: $vgpr6_vgpr7
	s_branch .LBB6_1353
.LBB6_1349:
	s_mov_b32 s12, -1
                                        ; implicit-def: $vgpr6_vgpr7
.LBB6_1350:
	s_and_b32 vcc_lo, exec_lo, s12
	s_cbranch_vccz .LBB6_1352
; %bb.1351:
	global_load_ubyte v5, v[2:3], off
	s_waitcnt vmcnt(0)
	v_lshlrev_b32_e32 v5, 24, v5
	v_and_b32_e32 v6, 0x7f000000, v5
	v_ffbh_u32_e32 v7, v6
	v_add_nc_u32_e32 v12, 0x1000000, v6
	v_cmp_ne_u32_e32 vcc_lo, 0, v6
	v_min_u32_e32 v7, 32, v7
	v_sub_nc_u32_e64 v7, v7, 4 clamp
	v_lshlrev_b32_e32 v11, v7, v6
	v_lshlrev_b32_e32 v7, 23, v7
	v_lshrrev_b32_e32 v11, 4, v11
	v_sub_nc_u32_e32 v7, v11, v7
	v_ashrrev_i32_e32 v11, 8, v12
	v_add_nc_u32_e32 v7, 0x3c000000, v7
	v_and_or_b32 v7, 0x7f800000, v11, v7
	v_cndmask_b32_e32 v6, 0, v7, vcc_lo
	v_and_or_b32 v5, 0x80000000, v5, v6
	v_cvt_f64_f32_e32 v[6:7], v5
.LBB6_1352:
	s_mov_b32 s12, 0
.LBB6_1353:
	s_andn2_b32 vcc_lo, exec_lo, s12
	s_cbranch_vccnz .LBB6_1355
; %bb.1354:
	global_load_ubyte v5, v[2:3], off
	s_waitcnt vmcnt(0)
	v_lshlrev_b32_e32 v6, 25, v5
	v_lshlrev_b16 v5, 8, v5
	v_lshrrev_b32_e32 v7, 4, v6
	v_and_or_b32 v11, 0x7f00, v5, 0.5
	v_cmp_gt_u32_e32 vcc_lo, 0x8000000, v6
	v_bfe_i32 v5, v5, 0, 16
	v_or_b32_e32 v7, 0x70000000, v7
	v_add_f32_e32 v11, -0.5, v11
	v_mul_f32_e32 v7, 0x7800000, v7
	v_cndmask_b32_e32 v6, v7, v11, vcc_lo
	v_and_or_b32 v5, 0x80000000, v5, v6
	v_cvt_f64_f32_e32 v[6:7], v5
.LBB6_1355:
	s_mov_b32 s12, 0
	s_mov_b32 s13, -1
.LBB6_1356:
	s_andn2_b32 vcc_lo, exec_lo, s12
	s_mov_b32 s12, 0
	s_cbranch_vccnz .LBB6_1365
; %bb.1357:
	s_cmp_gt_i32 s0, 14
	s_cbranch_scc0 .LBB6_1360
; %bb.1358:
	s_cmp_eq_u32 s0, 15
	s_cbranch_scc0 .LBB6_1361
; %bb.1359:
	global_load_ushort v5, v[2:3], off
	s_mov_b32 s5, 0
	s_mov_b32 s13, -1
	s_waitcnt vmcnt(0)
	v_lshlrev_b32_e32 v5, 16, v5
	v_cvt_f64_f32_e32 v[6:7], v5
	s_branch .LBB6_1363
.LBB6_1360:
	s_mov_b32 s12, -1
	s_branch .LBB6_1362
.LBB6_1361:
	s_mov_b32 s5, -1
.LBB6_1362:
                                        ; implicit-def: $vgpr6_vgpr7
.LBB6_1363:
	s_and_b32 vcc_lo, exec_lo, s12
	s_mov_b32 s12, 0
	s_cbranch_vccz .LBB6_1365
; %bb.1364:
	s_cmp_lg_u32 s0, 11
	s_mov_b32 s12, -1
	s_cselect_b32 s5, -1, 0
.LBB6_1365:
	s_and_b32 vcc_lo, exec_lo, s5
	s_cbranch_vccnz .LBB6_1428
; %bb.1366:
	s_andn2_b32 vcc_lo, exec_lo, s12
	s_cbranch_vccnz .LBB6_1368
.LBB6_1367:
	global_load_ubyte v5, v[2:3], off
	v_mov_b32_e32 v6, 0
	s_mov_b32 s13, -1
	s_waitcnt vmcnt(0)
	v_cmp_ne_u16_e32 vcc_lo, 0, v5
	v_cndmask_b32_e64 v7, 0, 0x3ff00000, vcc_lo
.LBB6_1368:
	s_branch .LBB6_1295
.LBB6_1369:
	s_cmp_lt_i32 s0, 5
	s_cbranch_scc1 .LBB6_1374
; %bb.1370:
	s_cmp_lt_i32 s0, 8
	s_cbranch_scc1 .LBB6_1375
; %bb.1371:
	;; [unrolled: 3-line block ×3, first 2 shown]
	s_cmp_gt_i32 s0, 9
	s_cbranch_scc0 .LBB6_1377
; %bb.1373:
	global_load_dwordx2 v[6:7], v[2:3], off
	s_mov_b32 s5, 0
	s_branch .LBB6_1378
.LBB6_1374:
	s_mov_b32 s5, -1
                                        ; implicit-def: $vgpr6_vgpr7
	s_branch .LBB6_1396
.LBB6_1375:
	s_mov_b32 s5, -1
                                        ; implicit-def: $vgpr6_vgpr7
	s_branch .LBB6_1384
.LBB6_1376:
	s_mov_b32 s5, -1
                                        ; implicit-def: $vgpr6_vgpr7
	s_branch .LBB6_1381
.LBB6_1377:
	s_mov_b32 s5, -1
                                        ; implicit-def: $vgpr6_vgpr7
.LBB6_1378:
	s_andn2_b32 vcc_lo, exec_lo, s5
	s_cbranch_vccnz .LBB6_1380
; %bb.1379:
	global_load_dword v5, v[2:3], off
	s_waitcnt vmcnt(0)
	v_cvt_f64_f32_e32 v[6:7], v5
.LBB6_1380:
	s_mov_b32 s5, 0
.LBB6_1381:
	s_andn2_b32 vcc_lo, exec_lo, s5
	s_cbranch_vccnz .LBB6_1383
; %bb.1382:
	global_load_dword v5, v[2:3], off
	s_waitcnt vmcnt(0)
	v_cvt_f32_f16_e32 v5, v5
	v_cvt_f64_f32_e32 v[6:7], v5
.LBB6_1383:
	s_mov_b32 s5, 0
.LBB6_1384:
	s_andn2_b32 vcc_lo, exec_lo, s5
	s_cbranch_vccnz .LBB6_1395
; %bb.1385:
	s_cmp_lt_i32 s0, 6
	s_cbranch_scc1 .LBB6_1388
; %bb.1386:
	s_cmp_gt_i32 s0, 6
	s_cbranch_scc0 .LBB6_1389
; %bb.1387:
	global_load_dwordx2 v[6:7], v[2:3], off
	s_mov_b32 s5, 0
	s_branch .LBB6_1390
.LBB6_1388:
	s_mov_b32 s5, -1
                                        ; implicit-def: $vgpr6_vgpr7
	s_branch .LBB6_1393
.LBB6_1389:
	s_mov_b32 s5, -1
                                        ; implicit-def: $vgpr6_vgpr7
.LBB6_1390:
	s_andn2_b32 vcc_lo, exec_lo, s5
	s_cbranch_vccnz .LBB6_1392
; %bb.1391:
	global_load_dword v5, v[2:3], off
	s_waitcnt vmcnt(0)
	v_cvt_f64_f32_e32 v[6:7], v5
.LBB6_1392:
	s_mov_b32 s5, 0
.LBB6_1393:
	s_andn2_b32 vcc_lo, exec_lo, s5
	s_cbranch_vccnz .LBB6_1395
; %bb.1394:
	global_load_ushort v5, v[2:3], off
	s_waitcnt vmcnt(0)
	v_cvt_f32_f16_e32 v5, v5
	v_cvt_f64_f32_e32 v[6:7], v5
.LBB6_1395:
	s_mov_b32 s5, 0
.LBB6_1396:
	s_andn2_b32 vcc_lo, exec_lo, s5
	s_cbranch_vccnz .LBB6_1416
; %bb.1397:
	s_cmp_lt_i32 s0, 2
	s_cbranch_scc1 .LBB6_1401
; %bb.1398:
	s_cmp_lt_i32 s0, 3
	s_cbranch_scc1 .LBB6_1402
; %bb.1399:
	s_cmp_gt_i32 s0, 3
	s_cbranch_scc0 .LBB6_1403
; %bb.1400:
	global_load_dwordx2 v[5:6], v[2:3], off
	s_mov_b32 s5, 0
	s_waitcnt vmcnt(0)
	v_cvt_f64_i32_e32 v[6:7], v6
	v_cvt_f64_u32_e32 v[11:12], v5
	v_ldexp_f64 v[6:7], v[6:7], 32
	v_add_f64 v[6:7], v[6:7], v[11:12]
	s_branch .LBB6_1404
.LBB6_1401:
	s_mov_b32 s5, -1
                                        ; implicit-def: $vgpr6_vgpr7
	s_branch .LBB6_1410
.LBB6_1402:
	s_mov_b32 s5, -1
                                        ; implicit-def: $vgpr6_vgpr7
	s_branch .LBB6_1407
.LBB6_1403:
	s_mov_b32 s5, -1
                                        ; implicit-def: $vgpr6_vgpr7
.LBB6_1404:
	s_andn2_b32 vcc_lo, exec_lo, s5
	s_cbranch_vccnz .LBB6_1406
; %bb.1405:
	global_load_dword v5, v[2:3], off
	s_waitcnt vmcnt(0)
	v_cvt_f64_i32_e32 v[6:7], v5
.LBB6_1406:
	s_mov_b32 s5, 0
.LBB6_1407:
	s_andn2_b32 vcc_lo, exec_lo, s5
	s_cbranch_vccnz .LBB6_1409
; %bb.1408:
	global_load_sshort v5, v[2:3], off
	s_waitcnt vmcnt(0)
	v_cvt_f64_i32_e32 v[6:7], v5
.LBB6_1409:
	s_mov_b32 s5, 0
.LBB6_1410:
	s_andn2_b32 vcc_lo, exec_lo, s5
	s_cbranch_vccnz .LBB6_1416
; %bb.1411:
	s_cmp_gt_i32 s0, 0
	s_mov_b32 s5, 0
	s_cbranch_scc0 .LBB6_1413
; %bb.1412:
	global_load_sbyte v5, v[2:3], off
	s_waitcnt vmcnt(0)
	v_cvt_f64_i32_e32 v[6:7], v5
	s_branch .LBB6_1414
.LBB6_1413:
	s_mov_b32 s5, -1
                                        ; implicit-def: $vgpr6_vgpr7
.LBB6_1414:
	s_andn2_b32 vcc_lo, exec_lo, s5
	s_cbranch_vccnz .LBB6_1416
; %bb.1415:
	global_load_ubyte v2, v[2:3], off
	s_waitcnt vmcnt(0)
	v_cvt_f64_u32_e32 v[6:7], v2
.LBB6_1416:
.LBB6_1417:
	v_add_nc_u32_e32 v2, s3, v4
	s_cmp_lt_i32 s0, 11
	v_ashrrev_i32_e32 v3, 31, v2
	v_add_co_u32 v2, vcc_lo, s10, v2
	v_add_co_ci_u32_e64 v3, null, s11, v3, vcc_lo
	s_cbranch_scc1 .LBB6_1424
; %bb.1418:
	s_cmp_gt_i32 s0, 25
	s_mov_b32 s5, 0
	s_cbranch_scc0 .LBB6_1425
; %bb.1419:
	s_cmp_gt_i32 s0, 28
	s_cbranch_scc0 .LBB6_1426
; %bb.1420:
	s_cmp_gt_i32 s0, 43
	;; [unrolled: 3-line block ×3, first 2 shown]
	s_cbranch_scc0 .LBB6_1429
; %bb.1422:
	s_cmp_eq_u32 s0, 46
	s_mov_b32 s11, 0
	s_cbranch_scc0 .LBB6_1430
; %bb.1423:
	global_load_dword v4, v[2:3], off
	s_mov_b32 s3, 0
	s_mov_b32 s10, -1
	s_waitcnt vmcnt(0)
	v_lshlrev_b32_e32 v4, 16, v4
	v_cvt_f64_f32_e32 v[4:5], v4
	s_branch .LBB6_1432
.LBB6_1424:
	s_mov_b32 s3, -1
	s_mov_b32 s10, 0
                                        ; implicit-def: $vgpr4_vgpr5
	s_branch .LBB6_1498
.LBB6_1425:
	s_mov_b32 s11, -1
	s_mov_b32 s10, 0
	s_mov_b32 s3, 0
                                        ; implicit-def: $vgpr4_vgpr5
	s_branch .LBB6_1463
.LBB6_1426:
	s_mov_b32 s11, -1
	s_mov_b32 s10, 0
	s_mov_b32 s3, 0
                                        ; implicit-def: $vgpr4_vgpr5
	s_branch .LBB6_1442
.LBB6_1427:
	s_mov_b32 s11, -1
	s_mov_b32 s10, 0
	s_mov_b32 s3, 0
                                        ; implicit-def: $vgpr4_vgpr5
	s_branch .LBB6_1437
.LBB6_1428:
	s_or_b32 s4, s4, exec_lo
	s_trap 2
	s_cbranch_execz .LBB6_1367
	s_branch .LBB6_1368
.LBB6_1429:
	s_mov_b32 s11, -1
	s_mov_b32 s10, 0
	s_mov_b32 s3, 0
	s_branch .LBB6_1431
.LBB6_1430:
	s_mov_b32 s3, -1
	s_mov_b32 s10, 0
.LBB6_1431:
                                        ; implicit-def: $vgpr4_vgpr5
.LBB6_1432:
	s_and_b32 vcc_lo, exec_lo, s11
	s_cbranch_vccz .LBB6_1436
; %bb.1433:
	s_cmp_eq_u32 s0, 44
	s_cbranch_scc0 .LBB6_1435
; %bb.1434:
	global_load_ubyte v11, v[2:3], off
	s_mov_b32 s3, 0
	s_mov_b32 s10, -1
	s_waitcnt vmcnt(0)
	v_lshlrev_b32_e32 v4, 23, v11
	v_cmp_ne_u32_e32 vcc_lo, 0xff, v11
	v_cvt_f64_f32_e32 v[4:5], v4
	v_cndmask_b32_e32 v4, 0x20000000, v4, vcc_lo
	v_cndmask_b32_e32 v5, 0x7ff80000, v5, vcc_lo
	v_cmp_ne_u32_e32 vcc_lo, 0, v11
	v_cndmask_b32_e32 v5, 0x38000000, v5, vcc_lo
	v_cndmask_b32_e32 v4, 0, v4, vcc_lo
	s_branch .LBB6_1436
.LBB6_1435:
	s_mov_b32 s3, -1
                                        ; implicit-def: $vgpr4_vgpr5
.LBB6_1436:
	s_mov_b32 s11, 0
.LBB6_1437:
	s_and_b32 vcc_lo, exec_lo, s11
	s_cbranch_vccz .LBB6_1441
; %bb.1438:
	s_cmp_eq_u32 s0, 29
	s_cbranch_scc0 .LBB6_1440
; %bb.1439:
	global_load_dwordx2 v[4:5], v[2:3], off
	s_mov_b32 s3, 0
	s_mov_b32 s10, -1
	s_mov_b32 s11, 0
	s_waitcnt vmcnt(0)
	v_cvt_f64_u32_e32 v[11:12], v5
	v_cvt_f64_u32_e32 v[4:5], v4
	v_ldexp_f64 v[11:12], v[11:12], 32
	v_add_f64 v[4:5], v[11:12], v[4:5]
	s_branch .LBB6_1442
.LBB6_1440:
	s_mov_b32 s3, -1
                                        ; implicit-def: $vgpr4_vgpr5
.LBB6_1441:
	s_mov_b32 s11, 0
.LBB6_1442:
	s_and_b32 vcc_lo, exec_lo, s11
	s_cbranch_vccz .LBB6_1462
; %bb.1443:
	s_cmp_lt_i32 s0, 27
	s_cbranch_scc1 .LBB6_1446
; %bb.1444:
	s_cmp_gt_i32 s0, 27
	s_cbranch_scc0 .LBB6_1447
; %bb.1445:
	global_load_dword v4, v[2:3], off
	s_mov_b32 s10, 0
	s_waitcnt vmcnt(0)
	v_cvt_f64_u32_e32 v[4:5], v4
	s_branch .LBB6_1448
.LBB6_1446:
	s_mov_b32 s10, -1
                                        ; implicit-def: $vgpr4_vgpr5
	s_branch .LBB6_1451
.LBB6_1447:
	s_mov_b32 s10, -1
                                        ; implicit-def: $vgpr4_vgpr5
.LBB6_1448:
	s_andn2_b32 vcc_lo, exec_lo, s10
	s_cbranch_vccnz .LBB6_1450
; %bb.1449:
	global_load_ushort v4, v[2:3], off
	s_waitcnt vmcnt(0)
	v_cvt_f64_u32_e32 v[4:5], v4
.LBB6_1450:
	s_mov_b32 s10, 0
.LBB6_1451:
	s_andn2_b32 vcc_lo, exec_lo, s10
	s_cbranch_vccnz .LBB6_1461
; %bb.1452:
	global_load_ubyte v11, v[2:3], off
	s_mov_b32 s10, 0
	s_mov_b32 s11, exec_lo
	s_waitcnt vmcnt(0)
	v_cmpx_lt_i16_e32 0x7f, v11
	s_xor_b32 s11, exec_lo, s11
	s_cbranch_execz .LBB6_1456
; %bb.1453:
	s_mov_b32 s10, -1
	s_mov_b32 s12, exec_lo
	v_cmpx_eq_u16_e32 0x80, v11
; %bb.1454:
	s_xor_b32 s10, exec_lo, -1
; %bb.1455:
	s_or_b32 exec_lo, exec_lo, s12
	s_and_b32 s10, s10, exec_lo
.LBB6_1456:
	s_or_saveexec_b32 s11, s11
	v_bfrev_b32_e32 v4, 4
	v_mov_b32_e32 v5, 0x7ff80000
	s_xor_b32 exec_lo, exec_lo, s11
; %bb.1457:
	v_cmp_ne_u16_e32 vcc_lo, 0, v11
	v_mov_b32_e32 v4, 0
	v_mov_b32_e32 v5, 0
	s_andn2_b32 s10, s10, exec_lo
	s_and_b32 s12, vcc_lo, exec_lo
	s_or_b32 s10, s10, s12
; %bb.1458:
	s_or_b32 exec_lo, exec_lo, s11
	s_and_saveexec_b32 s11, s10
	s_cbranch_execz .LBB6_1460
; %bb.1459:
	v_and_b32_e32 v4, 0xffff, v11
	v_lshlrev_b32_e32 v11, 24, v11
	v_and_b32_e32 v5, 7, v4
	v_bfe_u32 v14, v4, 3, 4
	v_ffbh_u32_e32 v12, v5
	v_cmp_eq_u32_e32 vcc_lo, 0, v14
	v_min_u32_e32 v12, 32, v12
	v_subrev_nc_u32_e32 v13, 28, v12
	v_sub_nc_u32_e32 v12, 29, v12
	v_lshlrev_b32_e32 v4, v13, v4
	v_cndmask_b32_e32 v12, v14, v12, vcc_lo
	v_and_b32_e32 v4, 7, v4
	v_cndmask_b32_e32 v4, v5, v4, vcc_lo
	v_and_b32_e32 v5, 0x80000000, v11
	v_lshl_add_u32 v11, v12, 23, 0x3b800000
	v_lshlrev_b32_e32 v4, 20, v4
	v_or3_b32 v4, v5, v11, v4
	v_cvt_f64_f32_e32 v[4:5], v4
.LBB6_1460:
	s_or_b32 exec_lo, exec_lo, s11
.LBB6_1461:
	s_mov_b32 s10, -1
.LBB6_1462:
	s_mov_b32 s11, 0
.LBB6_1463:
	s_and_b32 vcc_lo, exec_lo, s11
	s_cbranch_vccz .LBB6_1494
; %bb.1464:
	s_cmp_gt_i32 s0, 22
	s_cbranch_scc0 .LBB6_1476
; %bb.1465:
	s_cmp_lt_i32 s0, 24
	s_cbranch_scc1 .LBB6_1477
; %bb.1466:
	s_cmp_gt_i32 s0, 24
	s_cbranch_scc0 .LBB6_1478
; %bb.1467:
	global_load_ubyte v11, v[2:3], off
	s_mov_b32 s10, exec_lo
	s_waitcnt vmcnt(0)
	v_cmpx_lt_i16_e32 0x7f, v11
	s_xor_b32 s10, exec_lo, s10
	s_cbranch_execz .LBB6_1471
; %bb.1468:
	s_mov_b32 s5, -1
	s_mov_b32 s11, exec_lo
	v_cmpx_eq_u16_e32 0x80, v11
; %bb.1469:
	s_xor_b32 s5, exec_lo, -1
; %bb.1470:
	s_or_b32 exec_lo, exec_lo, s11
	s_and_b32 s5, s5, exec_lo
.LBB6_1471:
	s_or_saveexec_b32 s10, s10
	v_bfrev_b32_e32 v4, 4
	v_mov_b32_e32 v5, 0x7ff80000
	s_xor_b32 exec_lo, exec_lo, s10
; %bb.1472:
	v_cmp_ne_u16_e32 vcc_lo, 0, v11
	v_mov_b32_e32 v4, 0
	v_mov_b32_e32 v5, 0
	s_andn2_b32 s5, s5, exec_lo
	s_and_b32 s11, vcc_lo, exec_lo
	s_or_b32 s5, s5, s11
; %bb.1473:
	s_or_b32 exec_lo, exec_lo, s10
	s_and_saveexec_b32 s10, s5
	s_cbranch_execz .LBB6_1475
; %bb.1474:
	v_and_b32_e32 v4, 0xffff, v11
	v_lshlrev_b32_e32 v11, 24, v11
	v_and_b32_e32 v5, 3, v4
	v_bfe_u32 v14, v4, 2, 5
	v_ffbh_u32_e32 v12, v5
	v_cmp_eq_u32_e32 vcc_lo, 0, v14
	v_min_u32_e32 v12, 32, v12
	v_subrev_nc_u32_e32 v13, 29, v12
	v_sub_nc_u32_e32 v12, 30, v12
	v_lshlrev_b32_e32 v4, v13, v4
	v_cndmask_b32_e32 v12, v14, v12, vcc_lo
	v_and_b32_e32 v4, 3, v4
	v_cndmask_b32_e32 v4, v5, v4, vcc_lo
	v_and_b32_e32 v5, 0x80000000, v11
	v_lshl_add_u32 v11, v12, 23, 0x37800000
	v_lshlrev_b32_e32 v4, 21, v4
	v_or3_b32 v4, v5, v11, v4
	v_cvt_f64_f32_e32 v[4:5], v4
.LBB6_1475:
	s_or_b32 exec_lo, exec_lo, s10
	s_mov_b32 s5, 0
	s_branch .LBB6_1479
.LBB6_1476:
	s_mov_b32 s5, -1
                                        ; implicit-def: $vgpr4_vgpr5
	s_branch .LBB6_1485
.LBB6_1477:
	s_mov_b32 s5, -1
                                        ; implicit-def: $vgpr4_vgpr5
	s_branch .LBB6_1482
.LBB6_1478:
	s_mov_b32 s5, -1
                                        ; implicit-def: $vgpr4_vgpr5
.LBB6_1479:
	s_and_b32 vcc_lo, exec_lo, s5
	s_cbranch_vccz .LBB6_1481
; %bb.1480:
	global_load_ubyte v4, v[2:3], off
	s_waitcnt vmcnt(0)
	v_lshlrev_b32_e32 v4, 24, v4
	v_and_b32_e32 v5, 0x7f000000, v4
	v_ffbh_u32_e32 v11, v5
	v_add_nc_u32_e32 v13, 0x1000000, v5
	v_cmp_ne_u32_e32 vcc_lo, 0, v5
	v_min_u32_e32 v11, 32, v11
	v_sub_nc_u32_e64 v11, v11, 4 clamp
	v_lshlrev_b32_e32 v12, v11, v5
	v_lshlrev_b32_e32 v11, 23, v11
	v_lshrrev_b32_e32 v12, 4, v12
	v_sub_nc_u32_e32 v11, v12, v11
	v_ashrrev_i32_e32 v12, 8, v13
	v_add_nc_u32_e32 v11, 0x3c000000, v11
	v_and_or_b32 v11, 0x7f800000, v12, v11
	v_cndmask_b32_e32 v5, 0, v11, vcc_lo
	v_and_or_b32 v4, 0x80000000, v4, v5
	v_cvt_f64_f32_e32 v[4:5], v4
.LBB6_1481:
	s_mov_b32 s5, 0
.LBB6_1482:
	s_andn2_b32 vcc_lo, exec_lo, s5
	s_cbranch_vccnz .LBB6_1484
; %bb.1483:
	global_load_ubyte v4, v[2:3], off
	s_waitcnt vmcnt(0)
	v_lshlrev_b32_e32 v5, 25, v4
	v_lshlrev_b16 v4, 8, v4
	v_lshrrev_b32_e32 v11, 4, v5
	v_and_or_b32 v12, 0x7f00, v4, 0.5
	v_cmp_gt_u32_e32 vcc_lo, 0x8000000, v5
	v_bfe_i32 v4, v4, 0, 16
	v_or_b32_e32 v11, 0x70000000, v11
	v_add_f32_e32 v12, -0.5, v12
	v_mul_f32_e32 v11, 0x7800000, v11
	v_cndmask_b32_e32 v5, v11, v12, vcc_lo
	v_and_or_b32 v4, 0x80000000, v4, v5
	v_cvt_f64_f32_e32 v[4:5], v4
.LBB6_1484:
	s_mov_b32 s5, 0
	s_mov_b32 s10, -1
.LBB6_1485:
	s_andn2_b32 vcc_lo, exec_lo, s5
	s_mov_b32 s5, 0
	s_cbranch_vccnz .LBB6_1494
; %bb.1486:
	s_cmp_gt_i32 s0, 14
	s_cbranch_scc0 .LBB6_1489
; %bb.1487:
	s_cmp_eq_u32 s0, 15
	s_cbranch_scc0 .LBB6_1490
; %bb.1488:
	global_load_ushort v4, v[2:3], off
	s_mov_b32 s3, 0
	s_mov_b32 s10, -1
	s_waitcnt vmcnt(0)
	v_lshlrev_b32_e32 v4, 16, v4
	v_cvt_f64_f32_e32 v[4:5], v4
	s_branch .LBB6_1492
.LBB6_1489:
	s_mov_b32 s5, -1
	s_branch .LBB6_1491
.LBB6_1490:
	s_mov_b32 s3, -1
.LBB6_1491:
                                        ; implicit-def: $vgpr4_vgpr5
.LBB6_1492:
	s_and_b32 vcc_lo, exec_lo, s5
	s_mov_b32 s5, 0
	s_cbranch_vccz .LBB6_1494
; %bb.1493:
	s_cmp_lg_u32 s0, 11
	s_mov_b32 s5, -1
	s_cselect_b32 s3, -1, 0
.LBB6_1494:
	s_and_b32 vcc_lo, exec_lo, s3
	s_cbranch_vccnz .LBB6_2027
; %bb.1495:
	s_andn2_b32 vcc_lo, exec_lo, s5
	s_cbranch_vccnz .LBB6_1497
.LBB6_1496:
	global_load_ubyte v4, v[2:3], off
	s_mov_b32 s10, -1
	s_waitcnt vmcnt(0)
	v_cmp_ne_u16_e32 vcc_lo, 0, v4
	v_mov_b32_e32 v4, 0
	v_cndmask_b32_e64 v5, 0, 0x3ff00000, vcc_lo
.LBB6_1497:
	s_mov_b32 s3, 0
.LBB6_1498:
	s_and_b32 vcc_lo, exec_lo, s3
	s_cbranch_vccz .LBB6_1547
; %bb.1499:
	s_cmp_lt_i32 s0, 5
	s_cbranch_scc1 .LBB6_1504
; %bb.1500:
	s_cmp_lt_i32 s0, 8
	s_cbranch_scc1 .LBB6_1505
	;; [unrolled: 3-line block ×3, first 2 shown]
; %bb.1502:
	s_cmp_gt_i32 s0, 9
	s_cbranch_scc0 .LBB6_1507
; %bb.1503:
	global_load_dwordx2 v[4:5], v[2:3], off
	s_mov_b32 s3, 0
	s_branch .LBB6_1508
.LBB6_1504:
	s_mov_b32 s3, -1
                                        ; implicit-def: $vgpr4_vgpr5
	s_branch .LBB6_1526
.LBB6_1505:
	s_mov_b32 s3, -1
                                        ; implicit-def: $vgpr4_vgpr5
	s_branch .LBB6_1514
.LBB6_1506:
	s_mov_b32 s3, -1
                                        ; implicit-def: $vgpr4_vgpr5
	s_branch .LBB6_1511
.LBB6_1507:
	s_mov_b32 s3, -1
                                        ; implicit-def: $vgpr4_vgpr5
.LBB6_1508:
	s_andn2_b32 vcc_lo, exec_lo, s3
	s_cbranch_vccnz .LBB6_1510
; %bb.1509:
	global_load_dword v4, v[2:3], off
	s_waitcnt vmcnt(0)
	v_cvt_f64_f32_e32 v[4:5], v4
.LBB6_1510:
	s_mov_b32 s3, 0
.LBB6_1511:
	s_andn2_b32 vcc_lo, exec_lo, s3
	s_cbranch_vccnz .LBB6_1513
; %bb.1512:
	global_load_dword v4, v[2:3], off
	s_waitcnt vmcnt(0)
	v_cvt_f32_f16_e32 v4, v4
	v_cvt_f64_f32_e32 v[4:5], v4
.LBB6_1513:
	s_mov_b32 s3, 0
.LBB6_1514:
	s_andn2_b32 vcc_lo, exec_lo, s3
	s_cbranch_vccnz .LBB6_1525
; %bb.1515:
	s_cmp_lt_i32 s0, 6
	s_cbranch_scc1 .LBB6_1518
; %bb.1516:
	s_cmp_gt_i32 s0, 6
	s_cbranch_scc0 .LBB6_1519
; %bb.1517:
	global_load_dwordx2 v[4:5], v[2:3], off
	s_mov_b32 s3, 0
	s_branch .LBB6_1520
.LBB6_1518:
	s_mov_b32 s3, -1
                                        ; implicit-def: $vgpr4_vgpr5
	s_branch .LBB6_1523
.LBB6_1519:
	s_mov_b32 s3, -1
                                        ; implicit-def: $vgpr4_vgpr5
.LBB6_1520:
	s_andn2_b32 vcc_lo, exec_lo, s3
	s_cbranch_vccnz .LBB6_1522
; %bb.1521:
	global_load_dword v4, v[2:3], off
	s_waitcnt vmcnt(0)
	v_cvt_f64_f32_e32 v[4:5], v4
.LBB6_1522:
	s_mov_b32 s3, 0
.LBB6_1523:
	s_andn2_b32 vcc_lo, exec_lo, s3
	s_cbranch_vccnz .LBB6_1525
; %bb.1524:
	global_load_ushort v4, v[2:3], off
	s_waitcnt vmcnt(0)
	v_cvt_f32_f16_e32 v4, v4
	v_cvt_f64_f32_e32 v[4:5], v4
.LBB6_1525:
	s_mov_b32 s3, 0
.LBB6_1526:
	s_andn2_b32 vcc_lo, exec_lo, s3
	s_cbranch_vccnz .LBB6_1546
; %bb.1527:
	s_cmp_lt_i32 s0, 2
	s_cbranch_scc1 .LBB6_1531
; %bb.1528:
	s_cmp_lt_i32 s0, 3
	s_cbranch_scc1 .LBB6_1532
; %bb.1529:
	s_cmp_gt_i32 s0, 3
	s_cbranch_scc0 .LBB6_1533
; %bb.1530:
	global_load_dwordx2 v[4:5], v[2:3], off
	s_mov_b32 s3, 0
	s_waitcnt vmcnt(0)
	v_cvt_f64_i32_e32 v[11:12], v5
	v_cvt_f64_u32_e32 v[4:5], v4
	v_ldexp_f64 v[11:12], v[11:12], 32
	v_add_f64 v[4:5], v[11:12], v[4:5]
	s_branch .LBB6_1534
.LBB6_1531:
	s_mov_b32 s3, -1
                                        ; implicit-def: $vgpr4_vgpr5
	s_branch .LBB6_1540
.LBB6_1532:
	s_mov_b32 s3, -1
                                        ; implicit-def: $vgpr4_vgpr5
	s_branch .LBB6_1537
.LBB6_1533:
	s_mov_b32 s3, -1
                                        ; implicit-def: $vgpr4_vgpr5
.LBB6_1534:
	s_andn2_b32 vcc_lo, exec_lo, s3
	s_cbranch_vccnz .LBB6_1536
; %bb.1535:
	global_load_dword v4, v[2:3], off
	s_waitcnt vmcnt(0)
	v_cvt_f64_i32_e32 v[4:5], v4
.LBB6_1536:
	s_mov_b32 s3, 0
.LBB6_1537:
	s_andn2_b32 vcc_lo, exec_lo, s3
	s_cbranch_vccnz .LBB6_1539
; %bb.1538:
	global_load_sshort v4, v[2:3], off
	s_waitcnt vmcnt(0)
	v_cvt_f64_i32_e32 v[4:5], v4
.LBB6_1539:
	s_mov_b32 s3, 0
.LBB6_1540:
	s_andn2_b32 vcc_lo, exec_lo, s3
	s_cbranch_vccnz .LBB6_1546
; %bb.1541:
	s_cmp_gt_i32 s0, 0
	s_mov_b32 s0, 0
	s_cbranch_scc0 .LBB6_1543
; %bb.1542:
	global_load_sbyte v4, v[2:3], off
	s_waitcnt vmcnt(0)
	v_cvt_f64_i32_e32 v[4:5], v4
	s_branch .LBB6_1544
.LBB6_1543:
	s_mov_b32 s0, -1
                                        ; implicit-def: $vgpr4_vgpr5
.LBB6_1544:
	s_andn2_b32 vcc_lo, exec_lo, s0
	s_cbranch_vccnz .LBB6_1546
; %bb.1545:
	global_load_ubyte v2, v[2:3], off
	s_waitcnt vmcnt(0)
	v_cvt_f64_u32_e32 v[4:5], v2
.LBB6_1546:
	s_mov_b32 s10, -1
.LBB6_1547:
	s_andn2_b32 vcc_lo, exec_lo, s10
	s_cbranch_vccnz .LBB6_1981
; %bb.1548:
	s_waitcnt vmcnt(0)
	v_and_b32_e32 v3, 0x7fffffff, v1
	v_mov_b32_e32 v2, v0
	s_mov_b32 s10, 0xbd3237f4
	s_mov_b32 s12, 0xb5e68a13
	;; [unrolled: 1-line block ×4, first 2 shown]
	v_div_scale_f64 v[11:12], null, v[2:3], v[2:3], 1.0
	v_div_scale_f64 v[17:18], vcc_lo, 1.0, v[2:3], 1.0
	v_rcp_f64_e32 v[13:14], v[11:12]
	v_fma_f64 v[15:16], -v[11:12], v[13:14], 1.0
	v_fma_f64 v[13:14], v[13:14], v[15:16], v[13:14]
	v_fma_f64 v[15:16], -v[11:12], v[13:14], 1.0
	v_fma_f64 v[13:14], v[13:14], v[15:16], v[13:14]
	v_mul_f64 v[15:16], v[17:18], v[13:14]
	v_fma_f64 v[11:12], -v[11:12], v[15:16], v[17:18]
	v_div_fmas_f64 v[11:12], v[11:12], v[13:14], v[15:16]
	v_cmp_gt_f64_e64 vcc_lo, |v[0:1]|, 1.0
	v_div_fixup_f64 v[11:12], v[11:12], |v[0:1]|, 1.0
	v_cndmask_b32_e32 v3, v3, v12, vcc_lo
	v_cndmask_b32_e32 v2, v0, v11, vcc_lo
	v_mul_f64 v[11:12], v[2:3], v[2:3]
	v_fma_f64 v[13:14], v[11:12], s[12:13], s[10:11]
	s_mov_b32 s10, 0x69efb384
	s_mov_b32 s11, 0x3f4b2bb0
	;; [unrolled: 1-line block ×4, first 2 shown]
	v_fma_f64 v[13:14], v[11:12], v[13:14], s[10:11]
	s_mov_b32 s10, 0xaf56de9b
	s_mov_b32 s11, 0xbf67952d
	v_fma_f64 v[13:14], v[11:12], v[13:14], s[10:11]
	s_mov_b32 s10, 0xa595c56f
	s_mov_b32 s11, 0x3f7d6d43
	;; [unrolled: 3-line block ×18, first 2 shown]
	v_mul_f64 v[11:12], v[11:12], v[13:14]
	v_fma_f64 v[2:3], v[2:3], v[11:12], v[2:3]
	v_mul_lo_u32 v12, s2, v10
	v_ashrrev_i32_e32 v0, 31, v12
	v_add_co_u32 v10, s0, s8, v12
	v_add_co_ci_u32_e64 v11, null, s9, v0, s0
	v_fma_f64 v[13:14], s[12:13], s[10:11], -v[2:3]
	s_and_b32 s12, s1, 0xff
	s_cmp_lt_i32 s12, 11
	v_cndmask_b32_e32 v3, v3, v14, vcc_lo
	v_cndmask_b32_e32 v0, v2, v13, vcc_lo
	v_bfi_b32 v1, 0x7fffffff, v3, v1
	s_cbranch_scc1 .LBB6_1626
; %bb.1549:
	s_and_b32 s1, 0xffff, s12
	s_mov_b32 s10, -1
	s_mov_b32 s3, 0
	s_cmp_gt_i32 s1, 25
	s_mov_b32 s5, 0
	s_mov_b32 s0, 0
	s_cbranch_scc0 .LBB6_1582
; %bb.1550:
	s_cmp_gt_i32 s1, 28
	s_cbranch_scc0 .LBB6_1565
; %bb.1551:
	s_cmp_gt_i32 s1, 43
	;; [unrolled: 3-line block ×3, first 2 shown]
	s_cbranch_scc0 .LBB6_1555
; %bb.1553:
	s_mov_b32 s0, -1
	s_mov_b32 s10, 0
	s_cmp_eq_u32 s1, 46
	s_cbranch_scc0 .LBB6_1555
; %bb.1554:
	v_cvt_f32_f64_e32 v2, v[0:1]
	s_mov_b32 s0, 0
	s_mov_b32 s5, -1
	v_bfe_u32 v3, v2, 16, 1
	v_cmp_o_f32_e32 vcc_lo, v2, v2
	v_add3_u32 v2, v2, v3, 0x7fff
	v_mov_b32_e32 v3, 0x7fc0
	v_cndmask_b32_sdwa v2, v3, v2, vcc_lo dst_sel:DWORD dst_unused:UNUSED_PAD src0_sel:DWORD src1_sel:WORD_1
	global_store_dword v[10:11], v2, off
.LBB6_1555:
	s_and_b32 vcc_lo, exec_lo, s10
	s_cbranch_vccz .LBB6_1560
; %bb.1556:
	s_cmp_eq_u32 s1, 44
	s_mov_b32 s0, -1
	s_cbranch_scc0 .LBB6_1560
; %bb.1557:
	v_cvt_f32_f64_e32 v2, v[0:1]
	v_mov_b32_e32 v3, 0xff
	s_mov_b32 s5, exec_lo
	v_bfe_u32 v13, v2, 23, 8
	v_cmpx_ne_u32_e32 0xff, v13
	s_cbranch_execz .LBB6_1559
; %bb.1558:
	v_and_b32_e32 v3, 0x400000, v2
	v_and_or_b32 v13, 0x3fffff, v2, v13
	v_lshrrev_b32_e32 v2, 23, v2
	v_cmp_ne_u32_e32 vcc_lo, 0, v3
	v_cmp_ne_u32_e64 s0, 0, v13
	s_and_b32 s0, vcc_lo, s0
	v_cndmask_b32_e64 v3, 0, 1, s0
	v_add_nc_u32_e32 v3, v2, v3
.LBB6_1559:
	s_or_b32 exec_lo, exec_lo, s5
	s_mov_b32 s0, 0
	s_mov_b32 s5, -1
	global_store_byte v[10:11], v3, off
.LBB6_1560:
	s_mov_b32 s10, 0
.LBB6_1561:
	s_and_b32 vcc_lo, exec_lo, s10
	s_cbranch_vccz .LBB6_1564
; %bb.1562:
	s_cmp_eq_u32 s1, 29
	s_mov_b32 s0, -1
	s_cbranch_scc0 .LBB6_1564
; %bb.1563:
	v_trunc_f64_e32 v[2:3], v[0:1]
	s_mov_b32 s0, 0
	s_mov_b32 s5, -1
	v_ldexp_f64 v[13:14], v[2:3], 0xffffffe0
	v_floor_f64_e32 v[13:14], v[13:14]
	v_fma_f64 v[2:3], 0xc1f00000, v[13:14], v[2:3]
	v_cvt_u32_f64_e32 v14, v[13:14]
	v_cvt_u32_f64_e32 v13, v[2:3]
	global_store_dwordx2 v[10:11], v[13:14], off
.LBB6_1564:
	s_mov_b32 s10, 0
.LBB6_1565:
	s_and_b32 vcc_lo, exec_lo, s10
	s_cbranch_vccz .LBB6_1581
; %bb.1566:
	s_cmp_lt_i32 s1, 27
	s_mov_b32 s5, -1
	s_cbranch_scc1 .LBB6_1572
; %bb.1567:
	v_cvt_u32_f64_e32 v2, v[0:1]
	s_cmp_gt_i32 s1, 27
	s_cbranch_scc0 .LBB6_1569
; %bb.1568:
	s_mov_b32 s5, 0
	global_store_dword v[10:11], v2, off
.LBB6_1569:
	s_andn2_b32 vcc_lo, exec_lo, s5
	s_cbranch_vccnz .LBB6_1571
; %bb.1570:
	global_store_short v[10:11], v2, off
.LBB6_1571:
	s_mov_b32 s5, 0
.LBB6_1572:
	s_andn2_b32 vcc_lo, exec_lo, s5
	s_cbranch_vccnz .LBB6_1580
; %bb.1573:
	v_cvt_f32_f64_e32 v2, v[0:1]
	v_mov_b32_e32 v13, 0x80
	s_mov_b32 s5, exec_lo
	v_and_b32_e32 v3, 0x7fffffff, v2
	v_cmpx_gt_u32_e32 0x43800000, v3
	s_cbranch_execz .LBB6_1579
; %bb.1574:
	v_cmp_lt_u32_e32 vcc_lo, 0x3bffffff, v3
	s_mov_b32 s10, 0
                                        ; implicit-def: $vgpr3
	s_and_saveexec_b32 s11, vcc_lo
	s_xor_b32 s11, exec_lo, s11
	s_cbranch_execz .LBB6_2028
; %bb.1575:
	v_bfe_u32 v3, v2, 20, 1
	s_mov_b32 s10, exec_lo
	v_add3_u32 v3, v2, v3, 0x487ffff
	v_lshrrev_b32_e32 v3, 20, v3
	s_andn2_saveexec_b32 s11, s11
	s_cbranch_execnz .LBB6_2029
.LBB6_1576:
	s_or_b32 exec_lo, exec_lo, s11
	v_mov_b32_e32 v13, 0
	s_and_saveexec_b32 s11, s10
.LBB6_1577:
	v_lshrrev_b32_e32 v2, 24, v2
	v_and_or_b32 v13, 0x80, v2, v3
.LBB6_1578:
	s_or_b32 exec_lo, exec_lo, s11
.LBB6_1579:
	s_or_b32 exec_lo, exec_lo, s5
	global_store_byte v[10:11], v13, off
.LBB6_1580:
	s_mov_b32 s5, -1
.LBB6_1581:
	s_mov_b32 s10, 0
.LBB6_1582:
	s_and_b32 vcc_lo, exec_lo, s10
	s_cbranch_vccz .LBB6_1622
; %bb.1583:
	s_cmp_gt_i32 s1, 22
	s_mov_b32 s3, -1
	s_cbranch_scc0 .LBB6_1615
; %bb.1584:
	s_cmp_lt_i32 s1, 24
	s_cbranch_scc1 .LBB6_1604
; %bb.1585:
	s_cmp_gt_i32 s1, 24
	s_cbranch_scc0 .LBB6_1593
; %bb.1586:
	v_cvt_f32_f64_e32 v2, v[0:1]
	v_mov_b32_e32 v13, 0x80
	s_mov_b32 s3, exec_lo
	v_and_b32_e32 v3, 0x7fffffff, v2
	v_cmpx_gt_u32_e32 0x47800000, v3
	s_cbranch_execz .LBB6_1592
; %bb.1587:
	v_cmp_lt_u32_e32 vcc_lo, 0x37ffffff, v3
	s_mov_b32 s5, 0
                                        ; implicit-def: $vgpr3
	s_and_saveexec_b32 s10, vcc_lo
	s_xor_b32 s10, exec_lo, s10
	s_cbranch_execz .LBB6_2031
; %bb.1588:
	v_bfe_u32 v3, v2, 21, 1
	s_mov_b32 s5, exec_lo
	v_add3_u32 v3, v2, v3, 0x88fffff
	v_lshrrev_b32_e32 v3, 21, v3
	s_andn2_saveexec_b32 s10, s10
	s_cbranch_execnz .LBB6_2032
.LBB6_1589:
	s_or_b32 exec_lo, exec_lo, s10
	v_mov_b32_e32 v13, 0
	s_and_saveexec_b32 s10, s5
.LBB6_1590:
	v_lshrrev_b32_e32 v2, 24, v2
	v_and_or_b32 v13, 0x80, v2, v3
.LBB6_1591:
	s_or_b32 exec_lo, exec_lo, s10
.LBB6_1592:
	s_or_b32 exec_lo, exec_lo, s3
	s_mov_b32 s3, 0
	global_store_byte v[10:11], v13, off
.LBB6_1593:
	s_and_b32 vcc_lo, exec_lo, s3
	s_cbranch_vccz .LBB6_1603
; %bb.1594:
	v_cvt_f32_f64_e32 v2, v[0:1]
	s_mov_b32 s3, exec_lo
                                        ; implicit-def: $vgpr3
	v_and_b32_e32 v13, 0x7fffffff, v2
	v_cmpx_gt_u32_e32 0x43f00000, v13
	s_xor_b32 s3, exec_lo, s3
	s_cbranch_execz .LBB6_1600
; %bb.1595:
	s_mov_b32 s5, exec_lo
                                        ; implicit-def: $vgpr3
	v_cmpx_lt_u32_e32 0x3c7fffff, v13
	s_xor_b32 s5, exec_lo, s5
; %bb.1596:
	v_bfe_u32 v3, v2, 20, 1
	v_add3_u32 v3, v2, v3, 0x407ffff
	v_and_b32_e32 v13, 0xff00000, v3
	v_lshrrev_b32_e32 v3, 20, v3
	v_cmp_ne_u32_e32 vcc_lo, 0x7f00000, v13
	v_cndmask_b32_e32 v3, 0x7e, v3, vcc_lo
; %bb.1597:
	s_andn2_saveexec_b32 s5, s5
; %bb.1598:
	v_add_f32_e64 v3, 0x46800000, |v2|
; %bb.1599:
	s_or_b32 exec_lo, exec_lo, s5
                                        ; implicit-def: $vgpr13
.LBB6_1600:
	s_andn2_saveexec_b32 s3, s3
; %bb.1601:
	v_mov_b32_e32 v3, 0x7f
	v_cmp_lt_u32_e32 vcc_lo, 0x7f800000, v13
	v_cndmask_b32_e32 v3, 0x7e, v3, vcc_lo
; %bb.1602:
	s_or_b32 exec_lo, exec_lo, s3
	v_lshrrev_b32_e32 v2, 24, v2
	v_and_or_b32 v2, 0x80, v2, v3
	global_store_byte v[10:11], v2, off
.LBB6_1603:
	s_mov_b32 s3, 0
.LBB6_1604:
	s_andn2_b32 vcc_lo, exec_lo, s3
	s_cbranch_vccnz .LBB6_1614
; %bb.1605:
	v_cvt_f32_f64_e32 v2, v[0:1]
	s_mov_b32 s3, exec_lo
                                        ; implicit-def: $vgpr3
	v_and_b32_e32 v13, 0x7fffffff, v2
	v_cmpx_gt_u32_e32 0x47800000, v13
	s_xor_b32 s3, exec_lo, s3
	s_cbranch_execz .LBB6_1611
; %bb.1606:
	s_mov_b32 s5, exec_lo
                                        ; implicit-def: $vgpr3
	v_cmpx_lt_u32_e32 0x387fffff, v13
	s_xor_b32 s5, exec_lo, s5
; %bb.1607:
	v_bfe_u32 v3, v2, 21, 1
	v_add3_u32 v3, v2, v3, 0x80fffff
	v_lshrrev_b32_e32 v3, 21, v3
; %bb.1608:
	s_andn2_saveexec_b32 s5, s5
; %bb.1609:
	v_add_f32_e64 v3, 0x43000000, |v2|
; %bb.1610:
	s_or_b32 exec_lo, exec_lo, s5
                                        ; implicit-def: $vgpr13
.LBB6_1611:
	s_andn2_saveexec_b32 s3, s3
; %bb.1612:
	v_mov_b32_e32 v3, 0x7f
	v_cmp_lt_u32_e32 vcc_lo, 0x7f800000, v13
	v_cndmask_b32_e32 v3, 0x7c, v3, vcc_lo
; %bb.1613:
	s_or_b32 exec_lo, exec_lo, s3
	v_lshrrev_b32_e32 v2, 24, v2
	v_and_or_b32 v2, 0x80, v2, v3
	global_store_byte v[10:11], v2, off
.LBB6_1614:
	s_mov_b32 s3, 0
	s_mov_b32 s5, -1
.LBB6_1615:
	s_andn2_b32 vcc_lo, exec_lo, s3
	s_mov_b32 s3, 0
	s_cbranch_vccnz .LBB6_1622
; %bb.1616:
	s_cmp_gt_i32 s1, 14
	s_mov_b32 s3, -1
	s_cbranch_scc0 .LBB6_1620
; %bb.1617:
	s_cmp_eq_u32 s1, 15
	s_mov_b32 s0, -1
	s_cbranch_scc0 .LBB6_1619
; %bb.1618:
	v_cvt_f32_f64_e32 v2, v[0:1]
	s_mov_b32 s0, 0
	s_mov_b32 s5, -1
	v_bfe_u32 v3, v2, 16, 1
	v_cmp_o_f32_e32 vcc_lo, v2, v2
	v_add3_u32 v2, v2, v3, 0x7fff
	v_mov_b32_e32 v3, 0x7fc0
	v_cndmask_b32_sdwa v2, v3, v2, vcc_lo dst_sel:DWORD dst_unused:UNUSED_PAD src0_sel:DWORD src1_sel:WORD_1
	global_store_short v[10:11], v2, off
.LBB6_1619:
	s_mov_b32 s3, 0
.LBB6_1620:
	s_and_b32 vcc_lo, exec_lo, s3
	s_mov_b32 s3, 0
	s_cbranch_vccz .LBB6_1622
; %bb.1621:
	s_cmp_lg_u32 s1, 11
	s_mov_b32 s3, -1
	s_cselect_b32 s0, -1, 0
.LBB6_1622:
	s_and_b32 vcc_lo, exec_lo, s0
	s_cbranch_vccnz .LBB6_2030
; %bb.1623:
	s_andn2_b32 vcc_lo, exec_lo, s3
	s_cbranch_vccnz .LBB6_1625
.LBB6_1624:
	v_cmp_neq_f64_e32 vcc_lo, 0, v[0:1]
	s_mov_b32 s5, -1
	v_cndmask_b32_e64 v2, 0, 1, vcc_lo
	global_store_byte v[10:11], v2, off
.LBB6_1625:
	s_mov_b32 s0, 0
	s_branch .LBB6_1627
.LBB6_1626:
	s_mov_b32 s0, -1
	s_mov_b32 s5, 0
.LBB6_1627:
	s_and_b32 vcc_lo, exec_lo, s0
	s_cbranch_vccz .LBB6_1666
; %bb.1628:
	s_and_b32 s0, 0xffff, s12
	s_mov_b32 s1, -1
	s_cmp_lt_i32 s0, 5
	s_cbranch_scc1 .LBB6_1649
; %bb.1629:
	s_cmp_lt_i32 s0, 8
	s_cbranch_scc1 .LBB6_1639
; %bb.1630:
	;; [unrolled: 3-line block ×3, first 2 shown]
	s_cmp_gt_i32 s0, 9
	s_cbranch_scc0 .LBB6_1633
; %bb.1632:
	v_mov_b32_e32 v2, 0
	s_mov_b32 s1, 0
	v_mov_b32_e32 v3, v2
	global_store_dwordx4 v[10:11], v[0:3], off
.LBB6_1633:
	s_andn2_b32 vcc_lo, exec_lo, s1
	s_cbranch_vccnz .LBB6_1635
; %bb.1634:
	v_cvt_f32_f64_e32 v2, v[0:1]
	v_mov_b32_e32 v3, 0
	global_store_dwordx2 v[10:11], v[2:3], off
.LBB6_1635:
	s_mov_b32 s1, 0
.LBB6_1636:
	s_andn2_b32 vcc_lo, exec_lo, s1
	s_cbranch_vccnz .LBB6_1638
; %bb.1637:
	v_and_or_b32 v2, 0x1ff, v1, v0
	v_lshrrev_b32_e32 v3, 8, v1
	v_bfe_u32 v13, v1, 20, 11
	v_cmp_ne_u32_e32 vcc_lo, 0, v2
	v_sub_nc_u32_e32 v14, 0x3f1, v13
	v_add_nc_u32_e32 v13, 0xfffffc10, v13
	v_cndmask_b32_e64 v2, 0, 1, vcc_lo
	v_and_or_b32 v2, 0xffe, v3, v2
	v_med3_i32 v3, v14, 0, 13
	v_or_b32_e32 v14, 0x1000, v2
	v_lshrrev_b32_e32 v15, v3, v14
	v_lshlrev_b32_e32 v3, v3, v15
	v_cmp_ne_u32_e32 vcc_lo, v3, v14
	v_lshl_or_b32 v14, v13, 12, v2
	v_cndmask_b32_e64 v3, 0, 1, vcc_lo
	v_cmp_gt_i32_e32 vcc_lo, 1, v13
	v_or_b32_e32 v3, v15, v3
	v_cndmask_b32_e32 v3, v14, v3, vcc_lo
	v_and_b32_e32 v14, 7, v3
	v_lshrrev_b32_e32 v3, 2, v3
	v_cmp_lt_i32_e32 vcc_lo, 5, v14
	v_cndmask_b32_e64 v15, 0, 1, vcc_lo
	v_cmp_eq_u32_e32 vcc_lo, 3, v14
	v_cndmask_b32_e64 v14, 0, 1, vcc_lo
	v_cmp_ne_u32_e32 vcc_lo, 0, v2
	v_or_b32_e32 v14, v14, v15
	v_mov_b32_e32 v15, 0x7e00
	v_add_nc_u32_e32 v3, v3, v14
	v_cndmask_b32_e32 v2, 0x7c00, v15, vcc_lo
	v_cmp_gt_i32_e32 vcc_lo, 31, v13
	v_cndmask_b32_e32 v3, 0x7c00, v3, vcc_lo
	v_cmp_eq_u32_e32 vcc_lo, 0x40f, v13
	v_cndmask_b32_e32 v2, v3, v2, vcc_lo
	v_lshrrev_b32_e32 v3, 16, v1
	v_and_or_b32 v2, 0x8000, v3, v2
	v_and_b32_e32 v2, 0xffff, v2
	global_store_dword v[10:11], v2, off
.LBB6_1638:
	s_mov_b32 s1, 0
.LBB6_1639:
	s_andn2_b32 vcc_lo, exec_lo, s1
	s_cbranch_vccnz .LBB6_1648
; %bb.1640:
	s_cmp_lt_i32 s0, 6
	s_mov_b32 s1, -1
	s_cbranch_scc1 .LBB6_1646
; %bb.1641:
	s_cmp_gt_i32 s0, 6
	s_cbranch_scc0 .LBB6_1643
; %bb.1642:
	s_mov_b32 s1, 0
	global_store_dwordx2 v[10:11], v[0:1], off
.LBB6_1643:
	s_andn2_b32 vcc_lo, exec_lo, s1
	s_cbranch_vccnz .LBB6_1645
; %bb.1644:
	v_cvt_f32_f64_e32 v2, v[0:1]
	global_store_dword v[10:11], v2, off
.LBB6_1645:
	s_mov_b32 s1, 0
.LBB6_1646:
	s_andn2_b32 vcc_lo, exec_lo, s1
	s_cbranch_vccnz .LBB6_1648
; %bb.1647:
	v_and_or_b32 v2, 0x1ff, v1, v0
	v_lshrrev_b32_e32 v3, 8, v1
	v_bfe_u32 v13, v1, 20, 11
	v_cmp_ne_u32_e32 vcc_lo, 0, v2
	v_sub_nc_u32_e32 v14, 0x3f1, v13
	v_add_nc_u32_e32 v13, 0xfffffc10, v13
	v_cndmask_b32_e64 v2, 0, 1, vcc_lo
	v_and_or_b32 v2, 0xffe, v3, v2
	v_med3_i32 v3, v14, 0, 13
	v_or_b32_e32 v14, 0x1000, v2
	v_lshrrev_b32_e32 v15, v3, v14
	v_lshlrev_b32_e32 v3, v3, v15
	v_cmp_ne_u32_e32 vcc_lo, v3, v14
	v_lshl_or_b32 v14, v13, 12, v2
	v_cndmask_b32_e64 v3, 0, 1, vcc_lo
	v_cmp_gt_i32_e32 vcc_lo, 1, v13
	v_or_b32_e32 v3, v15, v3
	v_cndmask_b32_e32 v3, v14, v3, vcc_lo
	v_and_b32_e32 v14, 7, v3
	v_lshrrev_b32_e32 v3, 2, v3
	v_cmp_lt_i32_e32 vcc_lo, 5, v14
	v_cndmask_b32_e64 v15, 0, 1, vcc_lo
	v_cmp_eq_u32_e32 vcc_lo, 3, v14
	v_cndmask_b32_e64 v14, 0, 1, vcc_lo
	v_cmp_ne_u32_e32 vcc_lo, 0, v2
	v_or_b32_e32 v14, v14, v15
	v_mov_b32_e32 v15, 0x7e00
	v_add_nc_u32_e32 v3, v3, v14
	v_cndmask_b32_e32 v2, 0x7c00, v15, vcc_lo
	v_cmp_gt_i32_e32 vcc_lo, 31, v13
	v_cndmask_b32_e32 v3, 0x7c00, v3, vcc_lo
	v_cmp_eq_u32_e32 vcc_lo, 0x40f, v13
	v_cndmask_b32_e32 v2, v3, v2, vcc_lo
	v_lshrrev_b32_e32 v3, 16, v1
	v_and_or_b32 v2, 0x8000, v3, v2
	global_store_short v[10:11], v2, off
.LBB6_1648:
	s_mov_b32 s1, 0
.LBB6_1649:
	s_andn2_b32 vcc_lo, exec_lo, s1
	s_cbranch_vccnz .LBB6_1665
; %bb.1650:
	s_cmp_lt_i32 s0, 2
	s_mov_b32 s1, -1
	s_cbranch_scc1 .LBB6_1660
; %bb.1651:
	s_cmp_lt_i32 s0, 3
	s_cbranch_scc1 .LBB6_1657
; %bb.1652:
	s_cmp_gt_i32 s0, 3
	s_cbranch_scc0 .LBB6_1654
; %bb.1653:
	v_trunc_f64_e32 v[2:3], v[0:1]
	s_mov_b32 s1, 0
	v_ldexp_f64 v[13:14], v[2:3], 0xffffffe0
	v_floor_f64_e32 v[13:14], v[13:14]
	v_fma_f64 v[2:3], 0xc1f00000, v[13:14], v[2:3]
	v_cvt_i32_f64_e32 v14, v[13:14]
	v_cvt_u32_f64_e32 v13, v[2:3]
	global_store_dwordx2 v[10:11], v[13:14], off
.LBB6_1654:
	s_andn2_b32 vcc_lo, exec_lo, s1
	s_cbranch_vccnz .LBB6_1656
; %bb.1655:
	v_cvt_i32_f64_e32 v2, v[0:1]
	global_store_dword v[10:11], v2, off
.LBB6_1656:
	s_mov_b32 s1, 0
.LBB6_1657:
	s_andn2_b32 vcc_lo, exec_lo, s1
	s_cbranch_vccnz .LBB6_1659
; %bb.1658:
	v_cvt_i32_f64_e32 v2, v[0:1]
	global_store_short v[10:11], v2, off
.LBB6_1659:
	s_mov_b32 s1, 0
.LBB6_1660:
	s_andn2_b32 vcc_lo, exec_lo, s1
	s_cbranch_vccnz .LBB6_1665
; %bb.1661:
	s_cmp_gt_i32 s0, 0
	s_mov_b32 s0, -1
	s_cbranch_scc0 .LBB6_1663
; %bb.1662:
	v_cvt_i32_f64_e32 v2, v[0:1]
	s_mov_b32 s0, 0
	global_store_byte v[10:11], v2, off
.LBB6_1663:
	s_andn2_b32 vcc_lo, exec_lo, s0
	s_cbranch_vccnz .LBB6_1665
; %bb.1664:
	v_trunc_f64_e32 v[0:1], v[0:1]
	v_ldexp_f64 v[2:3], v[0:1], 0xffffffe0
	v_floor_f64_e32 v[2:3], v[2:3]
	v_fma_f64 v[0:1], 0xc1f00000, v[2:3], v[0:1]
	v_cvt_u32_f64_e32 v0, v[0:1]
	global_store_byte v[10:11], v0, off
.LBB6_1665:
	s_mov_b32 s5, -1
.LBB6_1666:
	s_andn2_b32 vcc_lo, exec_lo, s5
	s_cbranch_vccnz .LBB6_1981
; %bb.1667:
	v_and_b32_e32 v1, 0x7fffffff, v9
	v_mov_b32_e32 v0, v8
	s_mov_b32 s0, 0xbd3237f4
	s_mov_b32 s10, 0xb5e68a13
	;; [unrolled: 1-line block ×4, first 2 shown]
	v_div_scale_f64 v[2:3], null, v[0:1], v[0:1], 1.0
	v_div_scale_f64 v[15:16], vcc_lo, 1.0, v[0:1], 1.0
	v_rcp_f64_e32 v[10:11], v[2:3]
	v_fma_f64 v[13:14], -v[2:3], v[10:11], 1.0
	v_fma_f64 v[10:11], v[10:11], v[13:14], v[10:11]
	v_fma_f64 v[13:14], -v[2:3], v[10:11], 1.0
	v_fma_f64 v[10:11], v[10:11], v[13:14], v[10:11]
	v_mul_f64 v[13:14], v[15:16], v[10:11]
	v_fma_f64 v[2:3], -v[2:3], v[13:14], v[15:16]
	v_div_fmas_f64 v[2:3], v[2:3], v[10:11], v[13:14]
	v_cmp_gt_f64_e64 vcc_lo, |v[8:9]|, 1.0
	v_div_fixup_f64 v[2:3], v[2:3], |v[8:9]|, 1.0
	v_cndmask_b32_e32 v1, v1, v3, vcc_lo
	v_cndmask_b32_e32 v0, v8, v2, vcc_lo
	v_mul_f64 v[2:3], v[0:1], v[0:1]
	v_fma_f64 v[10:11], v[2:3], s[10:11], s[0:1]
	s_mov_b32 s0, 0x69efb384
	s_mov_b32 s1, 0x3f4b2bb0
	;; [unrolled: 1-line block ×4, first 2 shown]
	v_fma_f64 v[10:11], v[2:3], v[10:11], s[0:1]
	s_mov_b32 s0, 0xaf56de9b
	s_mov_b32 s1, 0xbf67952d
	v_fma_f64 v[10:11], v[2:3], v[10:11], s[0:1]
	s_mov_b32 s0, 0xa595c56f
	s_mov_b32 s1, 0x3f7d6d43
	;; [unrolled: 3-line block ×18, first 2 shown]
	v_mul_f64 v[2:3], v[2:3], v[10:11]
	v_fma_f64 v[0:1], v[0:1], v[2:3], v[0:1]
	v_fma_f64 v[2:3], s[10:11], s[0:1], -v[0:1]
	s_lshl_b32 s1, s2, 7
	s_cmp_lt_i32 s12, 11
	v_add_nc_u32_e32 v10, s1, v12
	v_cndmask_b32_e32 v1, v1, v3, vcc_lo
	v_ashrrev_i32_e32 v3, 31, v10
	v_cndmask_b32_e32 v0, v0, v2, vcc_lo
	v_add_co_u32 v8, vcc_lo, s8, v10
	v_bfi_b32 v1, 0x7fffffff, v1, v9
	v_add_co_ci_u32_e64 v9, null, s9, v3, vcc_lo
	s_cbranch_scc1 .LBB6_1745
; %bb.1668:
	s_and_b32 s2, 0xffff, s12
	s_mov_b32 s10, -1
	s_mov_b32 s3, 0
	s_cmp_gt_i32 s2, 25
	s_mov_b32 s5, 0
	s_mov_b32 s0, 0
	s_cbranch_scc0 .LBB6_1701
; %bb.1669:
	s_cmp_gt_i32 s2, 28
	s_cbranch_scc0 .LBB6_1684
; %bb.1670:
	s_cmp_gt_i32 s2, 43
	;; [unrolled: 3-line block ×3, first 2 shown]
	s_cbranch_scc0 .LBB6_1674
; %bb.1672:
	s_mov_b32 s0, -1
	s_mov_b32 s10, 0
	s_cmp_eq_u32 s2, 46
	s_cbranch_scc0 .LBB6_1674
; %bb.1673:
	v_cvt_f32_f64_e32 v2, v[0:1]
	s_mov_b32 s0, 0
	s_mov_b32 s5, -1
	v_bfe_u32 v3, v2, 16, 1
	v_cmp_o_f32_e32 vcc_lo, v2, v2
	v_add3_u32 v2, v2, v3, 0x7fff
	v_mov_b32_e32 v3, 0x7fc0
	v_cndmask_b32_sdwa v2, v3, v2, vcc_lo dst_sel:DWORD dst_unused:UNUSED_PAD src0_sel:DWORD src1_sel:WORD_1
	global_store_dword v[8:9], v2, off
.LBB6_1674:
	s_and_b32 vcc_lo, exec_lo, s10
	s_cbranch_vccz .LBB6_1679
; %bb.1675:
	s_cmp_eq_u32 s2, 44
	s_mov_b32 s0, -1
	s_cbranch_scc0 .LBB6_1679
; %bb.1676:
	v_cvt_f32_f64_e32 v2, v[0:1]
	v_mov_b32_e32 v3, 0xff
	s_mov_b32 s5, exec_lo
	v_bfe_u32 v11, v2, 23, 8
	v_cmpx_ne_u32_e32 0xff, v11
	s_cbranch_execz .LBB6_1678
; %bb.1677:
	v_and_b32_e32 v3, 0x400000, v2
	v_and_or_b32 v11, 0x3fffff, v2, v11
	v_lshrrev_b32_e32 v2, 23, v2
	v_cmp_ne_u32_e32 vcc_lo, 0, v3
	v_cmp_ne_u32_e64 s0, 0, v11
	s_and_b32 s0, vcc_lo, s0
	v_cndmask_b32_e64 v3, 0, 1, s0
	v_add_nc_u32_e32 v3, v2, v3
.LBB6_1678:
	s_or_b32 exec_lo, exec_lo, s5
	s_mov_b32 s0, 0
	s_mov_b32 s5, -1
	global_store_byte v[8:9], v3, off
.LBB6_1679:
	s_mov_b32 s10, 0
.LBB6_1680:
	s_and_b32 vcc_lo, exec_lo, s10
	s_cbranch_vccz .LBB6_1683
; %bb.1681:
	s_cmp_eq_u32 s2, 29
	s_mov_b32 s0, -1
	s_cbranch_scc0 .LBB6_1683
; %bb.1682:
	v_trunc_f64_e32 v[2:3], v[0:1]
	s_mov_b32 s0, 0
	s_mov_b32 s5, -1
	v_ldexp_f64 v[11:12], v[2:3], 0xffffffe0
	v_floor_f64_e32 v[11:12], v[11:12]
	v_fma_f64 v[2:3], 0xc1f00000, v[11:12], v[2:3]
	v_cvt_u32_f64_e32 v12, v[11:12]
	v_cvt_u32_f64_e32 v11, v[2:3]
	global_store_dwordx2 v[8:9], v[11:12], off
.LBB6_1683:
	s_mov_b32 s10, 0
.LBB6_1684:
	s_and_b32 vcc_lo, exec_lo, s10
	s_cbranch_vccz .LBB6_1700
; %bb.1685:
	s_cmp_lt_i32 s2, 27
	s_mov_b32 s5, -1
	s_cbranch_scc1 .LBB6_1691
; %bb.1686:
	v_cvt_u32_f64_e32 v2, v[0:1]
	s_cmp_gt_i32 s2, 27
	s_cbranch_scc0 .LBB6_1688
; %bb.1687:
	s_mov_b32 s5, 0
	global_store_dword v[8:9], v2, off
.LBB6_1688:
	s_andn2_b32 vcc_lo, exec_lo, s5
	s_cbranch_vccnz .LBB6_1690
; %bb.1689:
	global_store_short v[8:9], v2, off
.LBB6_1690:
	s_mov_b32 s5, 0
.LBB6_1691:
	s_andn2_b32 vcc_lo, exec_lo, s5
	s_cbranch_vccnz .LBB6_1699
; %bb.1692:
	v_cvt_f32_f64_e32 v2, v[0:1]
	v_mov_b32_e32 v11, 0x80
	s_mov_b32 s5, exec_lo
	v_and_b32_e32 v3, 0x7fffffff, v2
	v_cmpx_gt_u32_e32 0x43800000, v3
	s_cbranch_execz .LBB6_1698
; %bb.1693:
	v_cmp_lt_u32_e32 vcc_lo, 0x3bffffff, v3
	s_mov_b32 s10, 0
                                        ; implicit-def: $vgpr3
	s_and_saveexec_b32 s11, vcc_lo
	s_xor_b32 s11, exec_lo, s11
	s_cbranch_execz .LBB6_2033
; %bb.1694:
	v_bfe_u32 v3, v2, 20, 1
	s_mov_b32 s10, exec_lo
	v_add3_u32 v3, v2, v3, 0x487ffff
	v_lshrrev_b32_e32 v3, 20, v3
	s_andn2_saveexec_b32 s11, s11
	s_cbranch_execnz .LBB6_2034
.LBB6_1695:
	s_or_b32 exec_lo, exec_lo, s11
	v_mov_b32_e32 v11, 0
	s_and_saveexec_b32 s11, s10
.LBB6_1696:
	v_lshrrev_b32_e32 v2, 24, v2
	v_and_or_b32 v11, 0x80, v2, v3
.LBB6_1697:
	s_or_b32 exec_lo, exec_lo, s11
.LBB6_1698:
	s_or_b32 exec_lo, exec_lo, s5
	global_store_byte v[8:9], v11, off
.LBB6_1699:
	s_mov_b32 s5, -1
.LBB6_1700:
	s_mov_b32 s10, 0
.LBB6_1701:
	s_and_b32 vcc_lo, exec_lo, s10
	s_cbranch_vccz .LBB6_1741
; %bb.1702:
	s_cmp_gt_i32 s2, 22
	s_mov_b32 s3, -1
	s_cbranch_scc0 .LBB6_1734
; %bb.1703:
	s_cmp_lt_i32 s2, 24
	s_cbranch_scc1 .LBB6_1723
; %bb.1704:
	s_cmp_gt_i32 s2, 24
	s_cbranch_scc0 .LBB6_1712
; %bb.1705:
	v_cvt_f32_f64_e32 v2, v[0:1]
	v_mov_b32_e32 v11, 0x80
	s_mov_b32 s3, exec_lo
	v_and_b32_e32 v3, 0x7fffffff, v2
	v_cmpx_gt_u32_e32 0x47800000, v3
	s_cbranch_execz .LBB6_1711
; %bb.1706:
	v_cmp_lt_u32_e32 vcc_lo, 0x37ffffff, v3
	s_mov_b32 s5, 0
                                        ; implicit-def: $vgpr3
	s_and_saveexec_b32 s10, vcc_lo
	s_xor_b32 s10, exec_lo, s10
	s_cbranch_execz .LBB6_2036
; %bb.1707:
	v_bfe_u32 v3, v2, 21, 1
	s_mov_b32 s5, exec_lo
	v_add3_u32 v3, v2, v3, 0x88fffff
	v_lshrrev_b32_e32 v3, 21, v3
	s_andn2_saveexec_b32 s10, s10
	s_cbranch_execnz .LBB6_2037
.LBB6_1708:
	s_or_b32 exec_lo, exec_lo, s10
	v_mov_b32_e32 v11, 0
	s_and_saveexec_b32 s10, s5
.LBB6_1709:
	v_lshrrev_b32_e32 v2, 24, v2
	v_and_or_b32 v11, 0x80, v2, v3
.LBB6_1710:
	s_or_b32 exec_lo, exec_lo, s10
.LBB6_1711:
	s_or_b32 exec_lo, exec_lo, s3
	s_mov_b32 s3, 0
	global_store_byte v[8:9], v11, off
.LBB6_1712:
	s_and_b32 vcc_lo, exec_lo, s3
	s_cbranch_vccz .LBB6_1722
; %bb.1713:
	v_cvt_f32_f64_e32 v2, v[0:1]
	s_mov_b32 s3, exec_lo
                                        ; implicit-def: $vgpr3
	v_and_b32_e32 v11, 0x7fffffff, v2
	v_cmpx_gt_u32_e32 0x43f00000, v11
	s_xor_b32 s3, exec_lo, s3
	s_cbranch_execz .LBB6_1719
; %bb.1714:
	s_mov_b32 s5, exec_lo
                                        ; implicit-def: $vgpr3
	v_cmpx_lt_u32_e32 0x3c7fffff, v11
	s_xor_b32 s5, exec_lo, s5
; %bb.1715:
	v_bfe_u32 v3, v2, 20, 1
	v_add3_u32 v3, v2, v3, 0x407ffff
	v_and_b32_e32 v11, 0xff00000, v3
	v_lshrrev_b32_e32 v3, 20, v3
	v_cmp_ne_u32_e32 vcc_lo, 0x7f00000, v11
	v_cndmask_b32_e32 v3, 0x7e, v3, vcc_lo
; %bb.1716:
	s_andn2_saveexec_b32 s5, s5
; %bb.1717:
	v_add_f32_e64 v3, 0x46800000, |v2|
; %bb.1718:
	s_or_b32 exec_lo, exec_lo, s5
                                        ; implicit-def: $vgpr11
.LBB6_1719:
	s_andn2_saveexec_b32 s3, s3
; %bb.1720:
	v_mov_b32_e32 v3, 0x7f
	v_cmp_lt_u32_e32 vcc_lo, 0x7f800000, v11
	v_cndmask_b32_e32 v3, 0x7e, v3, vcc_lo
; %bb.1721:
	s_or_b32 exec_lo, exec_lo, s3
	v_lshrrev_b32_e32 v2, 24, v2
	v_and_or_b32 v2, 0x80, v2, v3
	global_store_byte v[8:9], v2, off
.LBB6_1722:
	s_mov_b32 s3, 0
.LBB6_1723:
	s_andn2_b32 vcc_lo, exec_lo, s3
	s_cbranch_vccnz .LBB6_1733
; %bb.1724:
	v_cvt_f32_f64_e32 v2, v[0:1]
	s_mov_b32 s3, exec_lo
                                        ; implicit-def: $vgpr3
	v_and_b32_e32 v11, 0x7fffffff, v2
	v_cmpx_gt_u32_e32 0x47800000, v11
	s_xor_b32 s3, exec_lo, s3
	s_cbranch_execz .LBB6_1730
; %bb.1725:
	s_mov_b32 s5, exec_lo
                                        ; implicit-def: $vgpr3
	v_cmpx_lt_u32_e32 0x387fffff, v11
	s_xor_b32 s5, exec_lo, s5
; %bb.1726:
	v_bfe_u32 v3, v2, 21, 1
	v_add3_u32 v3, v2, v3, 0x80fffff
	v_lshrrev_b32_e32 v3, 21, v3
; %bb.1727:
	s_andn2_saveexec_b32 s5, s5
; %bb.1728:
	v_add_f32_e64 v3, 0x43000000, |v2|
; %bb.1729:
	s_or_b32 exec_lo, exec_lo, s5
                                        ; implicit-def: $vgpr11
.LBB6_1730:
	s_andn2_saveexec_b32 s3, s3
; %bb.1731:
	v_mov_b32_e32 v3, 0x7f
	v_cmp_lt_u32_e32 vcc_lo, 0x7f800000, v11
	v_cndmask_b32_e32 v3, 0x7c, v3, vcc_lo
; %bb.1732:
	s_or_b32 exec_lo, exec_lo, s3
	v_lshrrev_b32_e32 v2, 24, v2
	v_and_or_b32 v2, 0x80, v2, v3
	global_store_byte v[8:9], v2, off
.LBB6_1733:
	s_mov_b32 s3, 0
	s_mov_b32 s5, -1
.LBB6_1734:
	s_andn2_b32 vcc_lo, exec_lo, s3
	s_mov_b32 s3, 0
	s_cbranch_vccnz .LBB6_1741
; %bb.1735:
	s_cmp_gt_i32 s2, 14
	s_mov_b32 s3, -1
	s_cbranch_scc0 .LBB6_1739
; %bb.1736:
	s_cmp_eq_u32 s2, 15
	s_mov_b32 s0, -1
	s_cbranch_scc0 .LBB6_1738
; %bb.1737:
	v_cvt_f32_f64_e32 v2, v[0:1]
	s_mov_b32 s0, 0
	s_mov_b32 s5, -1
	v_bfe_u32 v3, v2, 16, 1
	v_cmp_o_f32_e32 vcc_lo, v2, v2
	v_add3_u32 v2, v2, v3, 0x7fff
	v_mov_b32_e32 v3, 0x7fc0
	v_cndmask_b32_sdwa v2, v3, v2, vcc_lo dst_sel:DWORD dst_unused:UNUSED_PAD src0_sel:DWORD src1_sel:WORD_1
	global_store_short v[8:9], v2, off
.LBB6_1738:
	s_mov_b32 s3, 0
.LBB6_1739:
	s_and_b32 vcc_lo, exec_lo, s3
	s_mov_b32 s3, 0
	s_cbranch_vccz .LBB6_1741
; %bb.1740:
	s_cmp_lg_u32 s2, 11
	s_mov_b32 s3, -1
	s_cselect_b32 s0, -1, 0
.LBB6_1741:
	s_and_b32 vcc_lo, exec_lo, s0
	s_cbranch_vccnz .LBB6_2035
; %bb.1742:
	s_andn2_b32 vcc_lo, exec_lo, s3
	s_cbranch_vccnz .LBB6_1744
.LBB6_1743:
	v_cmp_neq_f64_e32 vcc_lo, 0, v[0:1]
	s_mov_b32 s5, -1
	v_cndmask_b32_e64 v2, 0, 1, vcc_lo
	global_store_byte v[8:9], v2, off
.LBB6_1744:
	s_mov_b32 s0, 0
	s_branch .LBB6_1746
.LBB6_1745:
	s_mov_b32 s0, -1
	s_mov_b32 s5, 0
.LBB6_1746:
	s_and_b32 vcc_lo, exec_lo, s0
	s_cbranch_vccz .LBB6_1785
; %bb.1747:
	s_and_b32 s0, 0xffff, s12
	s_mov_b32 s2, -1
	s_cmp_lt_i32 s0, 5
	s_cbranch_scc1 .LBB6_1768
; %bb.1748:
	s_cmp_lt_i32 s0, 8
	s_cbranch_scc1 .LBB6_1758
; %bb.1749:
	;; [unrolled: 3-line block ×3, first 2 shown]
	s_cmp_gt_i32 s0, 9
	s_cbranch_scc0 .LBB6_1752
; %bb.1751:
	v_mov_b32_e32 v2, 0
	s_mov_b32 s2, 0
	v_mov_b32_e32 v3, v2
	global_store_dwordx4 v[8:9], v[0:3], off
.LBB6_1752:
	s_andn2_b32 vcc_lo, exec_lo, s2
	s_cbranch_vccnz .LBB6_1754
; %bb.1753:
	v_cvt_f32_f64_e32 v2, v[0:1]
	v_mov_b32_e32 v3, 0
	global_store_dwordx2 v[8:9], v[2:3], off
.LBB6_1754:
	s_mov_b32 s2, 0
.LBB6_1755:
	s_andn2_b32 vcc_lo, exec_lo, s2
	s_cbranch_vccnz .LBB6_1757
; %bb.1756:
	v_and_or_b32 v2, 0x1ff, v1, v0
	v_lshrrev_b32_e32 v3, 8, v1
	v_bfe_u32 v11, v1, 20, 11
	v_cmp_ne_u32_e32 vcc_lo, 0, v2
	v_sub_nc_u32_e32 v12, 0x3f1, v11
	v_add_nc_u32_e32 v11, 0xfffffc10, v11
	v_cndmask_b32_e64 v2, 0, 1, vcc_lo
	v_and_or_b32 v2, 0xffe, v3, v2
	v_med3_i32 v3, v12, 0, 13
	v_or_b32_e32 v12, 0x1000, v2
	v_lshrrev_b32_e32 v13, v3, v12
	v_lshlrev_b32_e32 v3, v3, v13
	v_cmp_ne_u32_e32 vcc_lo, v3, v12
	v_lshl_or_b32 v12, v11, 12, v2
	v_cndmask_b32_e64 v3, 0, 1, vcc_lo
	v_cmp_gt_i32_e32 vcc_lo, 1, v11
	v_or_b32_e32 v3, v13, v3
	v_cndmask_b32_e32 v3, v12, v3, vcc_lo
	v_and_b32_e32 v12, 7, v3
	v_lshrrev_b32_e32 v3, 2, v3
	v_cmp_lt_i32_e32 vcc_lo, 5, v12
	v_cndmask_b32_e64 v13, 0, 1, vcc_lo
	v_cmp_eq_u32_e32 vcc_lo, 3, v12
	v_cndmask_b32_e64 v12, 0, 1, vcc_lo
	v_cmp_ne_u32_e32 vcc_lo, 0, v2
	v_or_b32_e32 v12, v12, v13
	v_mov_b32_e32 v13, 0x7e00
	v_add_nc_u32_e32 v3, v3, v12
	v_cndmask_b32_e32 v2, 0x7c00, v13, vcc_lo
	v_cmp_gt_i32_e32 vcc_lo, 31, v11
	v_cndmask_b32_e32 v3, 0x7c00, v3, vcc_lo
	v_cmp_eq_u32_e32 vcc_lo, 0x40f, v11
	v_cndmask_b32_e32 v2, v3, v2, vcc_lo
	v_lshrrev_b32_e32 v3, 16, v1
	v_and_or_b32 v2, 0x8000, v3, v2
	v_and_b32_e32 v2, 0xffff, v2
	global_store_dword v[8:9], v2, off
.LBB6_1757:
	s_mov_b32 s2, 0
.LBB6_1758:
	s_andn2_b32 vcc_lo, exec_lo, s2
	s_cbranch_vccnz .LBB6_1767
; %bb.1759:
	s_cmp_lt_i32 s0, 6
	s_mov_b32 s2, -1
	s_cbranch_scc1 .LBB6_1765
; %bb.1760:
	s_cmp_gt_i32 s0, 6
	s_cbranch_scc0 .LBB6_1762
; %bb.1761:
	s_mov_b32 s2, 0
	global_store_dwordx2 v[8:9], v[0:1], off
.LBB6_1762:
	s_andn2_b32 vcc_lo, exec_lo, s2
	s_cbranch_vccnz .LBB6_1764
; %bb.1763:
	v_cvt_f32_f64_e32 v2, v[0:1]
	global_store_dword v[8:9], v2, off
.LBB6_1764:
	s_mov_b32 s2, 0
.LBB6_1765:
	s_andn2_b32 vcc_lo, exec_lo, s2
	s_cbranch_vccnz .LBB6_1767
; %bb.1766:
	v_and_or_b32 v2, 0x1ff, v1, v0
	v_lshrrev_b32_e32 v3, 8, v1
	v_bfe_u32 v11, v1, 20, 11
	v_cmp_ne_u32_e32 vcc_lo, 0, v2
	v_sub_nc_u32_e32 v12, 0x3f1, v11
	v_add_nc_u32_e32 v11, 0xfffffc10, v11
	v_cndmask_b32_e64 v2, 0, 1, vcc_lo
	v_and_or_b32 v2, 0xffe, v3, v2
	v_med3_i32 v3, v12, 0, 13
	v_or_b32_e32 v12, 0x1000, v2
	v_lshrrev_b32_e32 v13, v3, v12
	v_lshlrev_b32_e32 v3, v3, v13
	v_cmp_ne_u32_e32 vcc_lo, v3, v12
	v_lshl_or_b32 v12, v11, 12, v2
	v_cndmask_b32_e64 v3, 0, 1, vcc_lo
	v_cmp_gt_i32_e32 vcc_lo, 1, v11
	v_or_b32_e32 v3, v13, v3
	v_cndmask_b32_e32 v3, v12, v3, vcc_lo
	v_and_b32_e32 v12, 7, v3
	v_lshrrev_b32_e32 v3, 2, v3
	v_cmp_lt_i32_e32 vcc_lo, 5, v12
	v_cndmask_b32_e64 v13, 0, 1, vcc_lo
	v_cmp_eq_u32_e32 vcc_lo, 3, v12
	v_cndmask_b32_e64 v12, 0, 1, vcc_lo
	v_cmp_ne_u32_e32 vcc_lo, 0, v2
	v_or_b32_e32 v12, v12, v13
	v_mov_b32_e32 v13, 0x7e00
	v_add_nc_u32_e32 v3, v3, v12
	v_cndmask_b32_e32 v2, 0x7c00, v13, vcc_lo
	v_cmp_gt_i32_e32 vcc_lo, 31, v11
	v_cndmask_b32_e32 v3, 0x7c00, v3, vcc_lo
	v_cmp_eq_u32_e32 vcc_lo, 0x40f, v11
	v_cndmask_b32_e32 v2, v3, v2, vcc_lo
	v_lshrrev_b32_e32 v3, 16, v1
	v_and_or_b32 v2, 0x8000, v3, v2
	global_store_short v[8:9], v2, off
.LBB6_1767:
	s_mov_b32 s2, 0
.LBB6_1768:
	s_andn2_b32 vcc_lo, exec_lo, s2
	s_cbranch_vccnz .LBB6_1784
; %bb.1769:
	s_cmp_lt_i32 s0, 2
	s_mov_b32 s2, -1
	s_cbranch_scc1 .LBB6_1779
; %bb.1770:
	s_cmp_lt_i32 s0, 3
	s_cbranch_scc1 .LBB6_1776
; %bb.1771:
	s_cmp_gt_i32 s0, 3
	s_cbranch_scc0 .LBB6_1773
; %bb.1772:
	v_trunc_f64_e32 v[2:3], v[0:1]
	s_mov_b32 s2, 0
	v_ldexp_f64 v[11:12], v[2:3], 0xffffffe0
	v_floor_f64_e32 v[11:12], v[11:12]
	v_fma_f64 v[2:3], 0xc1f00000, v[11:12], v[2:3]
	v_cvt_i32_f64_e32 v12, v[11:12]
	v_cvt_u32_f64_e32 v11, v[2:3]
	global_store_dwordx2 v[8:9], v[11:12], off
.LBB6_1773:
	s_andn2_b32 vcc_lo, exec_lo, s2
	s_cbranch_vccnz .LBB6_1775
; %bb.1774:
	v_cvt_i32_f64_e32 v2, v[0:1]
	global_store_dword v[8:9], v2, off
.LBB6_1775:
	s_mov_b32 s2, 0
.LBB6_1776:
	s_andn2_b32 vcc_lo, exec_lo, s2
	s_cbranch_vccnz .LBB6_1778
; %bb.1777:
	v_cvt_i32_f64_e32 v2, v[0:1]
	global_store_short v[8:9], v2, off
.LBB6_1778:
	s_mov_b32 s2, 0
.LBB6_1779:
	s_andn2_b32 vcc_lo, exec_lo, s2
	s_cbranch_vccnz .LBB6_1784
; %bb.1780:
	s_cmp_gt_i32 s0, 0
	s_mov_b32 s0, -1
	s_cbranch_scc0 .LBB6_1782
; %bb.1781:
	v_cvt_i32_f64_e32 v2, v[0:1]
	s_mov_b32 s0, 0
	global_store_byte v[8:9], v2, off
.LBB6_1782:
	s_andn2_b32 vcc_lo, exec_lo, s0
	s_cbranch_vccnz .LBB6_1784
; %bb.1783:
	v_trunc_f64_e32 v[0:1], v[0:1]
	v_ldexp_f64 v[2:3], v[0:1], 0xffffffe0
	v_floor_f64_e32 v[2:3], v[2:3]
	v_fma_f64 v[0:1], 0xc1f00000, v[2:3], v[0:1]
	v_cvt_u32_f64_e32 v0, v[0:1]
	global_store_byte v[8:9], v0, off
.LBB6_1784:
	s_mov_b32 s5, -1
.LBB6_1785:
	s_andn2_b32 vcc_lo, exec_lo, s5
	s_cbranch_vccnz .LBB6_1981
; %bb.1786:
	v_and_b32_e32 v1, 0x7fffffff, v7
	v_mov_b32_e32 v0, v6
	s_mov_b32 s2, 0xbd3237f4
	s_mov_b32 s10, 0xb5e68a13
	;; [unrolled: 1-line block ×4, first 2 shown]
	v_div_scale_f64 v[2:3], null, v[0:1], v[0:1], 1.0
	v_div_scale_f64 v[13:14], vcc_lo, 1.0, v[0:1], 1.0
	s_cmp_lt_i32 s12, 11
	v_rcp_f64_e32 v[8:9], v[2:3]
	v_fma_f64 v[11:12], -v[2:3], v[8:9], 1.0
	v_fma_f64 v[8:9], v[8:9], v[11:12], v[8:9]
	v_fma_f64 v[11:12], -v[2:3], v[8:9], 1.0
	v_fma_f64 v[8:9], v[8:9], v[11:12], v[8:9]
	v_mul_f64 v[11:12], v[13:14], v[8:9]
	v_fma_f64 v[2:3], -v[2:3], v[11:12], v[13:14]
	v_div_fmas_f64 v[2:3], v[2:3], v[8:9], v[11:12]
	v_cmp_gt_f64_e64 vcc_lo, |v[6:7]|, 1.0
	v_div_fixup_f64 v[2:3], v[2:3], |v[6:7]|, 1.0
	v_cndmask_b32_e32 v1, v1, v3, vcc_lo
	v_cndmask_b32_e32 v0, v6, v2, vcc_lo
	v_mul_f64 v[2:3], v[0:1], v[0:1]
	v_fma_f64 v[8:9], v[2:3], s[10:11], s[2:3]
	s_mov_b32 s2, 0x69efb384
	s_mov_b32 s3, 0x3f4b2bb0
	;; [unrolled: 1-line block ×4, first 2 shown]
	v_fma_f64 v[8:9], v[2:3], v[8:9], s[2:3]
	s_mov_b32 s2, 0xaf56de9b
	s_mov_b32 s3, 0xbf67952d
	v_fma_f64 v[8:9], v[2:3], v[8:9], s[2:3]
	s_mov_b32 s2, 0xa595c56f
	s_mov_b32 s3, 0x3f7d6d43
	;; [unrolled: 3-line block ×18, first 2 shown]
	v_mul_f64 v[2:3], v[2:3], v[8:9]
	v_add_nc_u32_e32 v8, s1, v10
	v_fma_f64 v[0:1], v[0:1], v[2:3], v[0:1]
	v_fma_f64 v[2:3], s[10:11], s[2:3], -v[0:1]
	v_cndmask_b32_e32 v1, v1, v3, vcc_lo
	v_ashrrev_i32_e32 v3, 31, v8
	v_cndmask_b32_e32 v0, v0, v2, vcc_lo
	v_add_co_u32 v6, vcc_lo, s8, v8
	v_bfi_b32 v1, 0x7fffffff, v1, v7
	v_add_co_ci_u32_e64 v7, null, s9, v3, vcc_lo
	s_cbranch_scc1 .LBB6_1864
; %bb.1787:
	s_and_b32 s2, 0xffff, s12
	s_mov_b32 s10, -1
	s_mov_b32 s3, 0
	s_cmp_gt_i32 s2, 25
	s_mov_b32 s5, 0
	s_mov_b32 s0, 0
	s_cbranch_scc0 .LBB6_1820
; %bb.1788:
	s_cmp_gt_i32 s2, 28
	s_cbranch_scc0 .LBB6_1803
; %bb.1789:
	s_cmp_gt_i32 s2, 43
	;; [unrolled: 3-line block ×3, first 2 shown]
	s_cbranch_scc0 .LBB6_1793
; %bb.1791:
	s_mov_b32 s0, -1
	s_mov_b32 s10, 0
	s_cmp_eq_u32 s2, 46
	s_cbranch_scc0 .LBB6_1793
; %bb.1792:
	v_cvt_f32_f64_e32 v2, v[0:1]
	s_mov_b32 s0, 0
	s_mov_b32 s5, -1
	v_bfe_u32 v3, v2, 16, 1
	v_cmp_o_f32_e32 vcc_lo, v2, v2
	v_add3_u32 v2, v2, v3, 0x7fff
	v_mov_b32_e32 v3, 0x7fc0
	v_cndmask_b32_sdwa v2, v3, v2, vcc_lo dst_sel:DWORD dst_unused:UNUSED_PAD src0_sel:DWORD src1_sel:WORD_1
	global_store_dword v[6:7], v2, off
.LBB6_1793:
	s_and_b32 vcc_lo, exec_lo, s10
	s_cbranch_vccz .LBB6_1798
; %bb.1794:
	s_cmp_eq_u32 s2, 44
	s_mov_b32 s0, -1
	s_cbranch_scc0 .LBB6_1798
; %bb.1795:
	v_cvt_f32_f64_e32 v2, v[0:1]
	v_mov_b32_e32 v3, 0xff
	s_mov_b32 s5, exec_lo
	v_bfe_u32 v9, v2, 23, 8
	v_cmpx_ne_u32_e32 0xff, v9
	s_cbranch_execz .LBB6_1797
; %bb.1796:
	v_and_b32_e32 v3, 0x400000, v2
	v_and_or_b32 v9, 0x3fffff, v2, v9
	v_lshrrev_b32_e32 v2, 23, v2
	v_cmp_ne_u32_e32 vcc_lo, 0, v3
	v_cmp_ne_u32_e64 s0, 0, v9
	s_and_b32 s0, vcc_lo, s0
	v_cndmask_b32_e64 v3, 0, 1, s0
	v_add_nc_u32_e32 v3, v2, v3
.LBB6_1797:
	s_or_b32 exec_lo, exec_lo, s5
	s_mov_b32 s0, 0
	s_mov_b32 s5, -1
	global_store_byte v[6:7], v3, off
.LBB6_1798:
	s_mov_b32 s10, 0
.LBB6_1799:
	s_and_b32 vcc_lo, exec_lo, s10
	s_cbranch_vccz .LBB6_1802
; %bb.1800:
	s_cmp_eq_u32 s2, 29
	s_mov_b32 s0, -1
	s_cbranch_scc0 .LBB6_1802
; %bb.1801:
	v_trunc_f64_e32 v[2:3], v[0:1]
	s_mov_b32 s0, 0
	s_mov_b32 s5, -1
	v_ldexp_f64 v[9:10], v[2:3], 0xffffffe0
	v_floor_f64_e32 v[9:10], v[9:10]
	v_fma_f64 v[2:3], 0xc1f00000, v[9:10], v[2:3]
	v_cvt_u32_f64_e32 v10, v[9:10]
	v_cvt_u32_f64_e32 v9, v[2:3]
	global_store_dwordx2 v[6:7], v[9:10], off
.LBB6_1802:
	s_mov_b32 s10, 0
.LBB6_1803:
	s_and_b32 vcc_lo, exec_lo, s10
	s_cbranch_vccz .LBB6_1819
; %bb.1804:
	s_cmp_lt_i32 s2, 27
	s_mov_b32 s5, -1
	s_cbranch_scc1 .LBB6_1810
; %bb.1805:
	v_cvt_u32_f64_e32 v2, v[0:1]
	s_cmp_gt_i32 s2, 27
	s_cbranch_scc0 .LBB6_1807
; %bb.1806:
	s_mov_b32 s5, 0
	global_store_dword v[6:7], v2, off
.LBB6_1807:
	s_andn2_b32 vcc_lo, exec_lo, s5
	s_cbranch_vccnz .LBB6_1809
; %bb.1808:
	global_store_short v[6:7], v2, off
.LBB6_1809:
	s_mov_b32 s5, 0
.LBB6_1810:
	s_andn2_b32 vcc_lo, exec_lo, s5
	s_cbranch_vccnz .LBB6_1818
; %bb.1811:
	v_cvt_f32_f64_e32 v2, v[0:1]
	v_mov_b32_e32 v9, 0x80
	s_mov_b32 s5, exec_lo
	v_and_b32_e32 v3, 0x7fffffff, v2
	v_cmpx_gt_u32_e32 0x43800000, v3
	s_cbranch_execz .LBB6_1817
; %bb.1812:
	v_cmp_lt_u32_e32 vcc_lo, 0x3bffffff, v3
	s_mov_b32 s10, 0
                                        ; implicit-def: $vgpr3
	s_and_saveexec_b32 s11, vcc_lo
	s_xor_b32 s11, exec_lo, s11
	s_cbranch_execz .LBB6_2038
; %bb.1813:
	v_bfe_u32 v3, v2, 20, 1
	s_mov_b32 s10, exec_lo
	v_add3_u32 v3, v2, v3, 0x487ffff
	v_lshrrev_b32_e32 v3, 20, v3
	s_andn2_saveexec_b32 s11, s11
	s_cbranch_execnz .LBB6_2039
.LBB6_1814:
	s_or_b32 exec_lo, exec_lo, s11
	v_mov_b32_e32 v9, 0
	s_and_saveexec_b32 s11, s10
.LBB6_1815:
	v_lshrrev_b32_e32 v2, 24, v2
	v_and_or_b32 v9, 0x80, v2, v3
.LBB6_1816:
	s_or_b32 exec_lo, exec_lo, s11
.LBB6_1817:
	s_or_b32 exec_lo, exec_lo, s5
	global_store_byte v[6:7], v9, off
.LBB6_1818:
	s_mov_b32 s5, -1
.LBB6_1819:
	s_mov_b32 s10, 0
.LBB6_1820:
	s_and_b32 vcc_lo, exec_lo, s10
	s_cbranch_vccz .LBB6_1860
; %bb.1821:
	s_cmp_gt_i32 s2, 22
	s_mov_b32 s3, -1
	s_cbranch_scc0 .LBB6_1853
; %bb.1822:
	s_cmp_lt_i32 s2, 24
	s_cbranch_scc1 .LBB6_1842
; %bb.1823:
	s_cmp_gt_i32 s2, 24
	s_cbranch_scc0 .LBB6_1831
; %bb.1824:
	v_cvt_f32_f64_e32 v2, v[0:1]
	v_mov_b32_e32 v9, 0x80
	s_mov_b32 s3, exec_lo
	v_and_b32_e32 v3, 0x7fffffff, v2
	v_cmpx_gt_u32_e32 0x47800000, v3
	s_cbranch_execz .LBB6_1830
; %bb.1825:
	v_cmp_lt_u32_e32 vcc_lo, 0x37ffffff, v3
	s_mov_b32 s5, 0
                                        ; implicit-def: $vgpr3
	s_and_saveexec_b32 s10, vcc_lo
	s_xor_b32 s10, exec_lo, s10
	s_cbranch_execz .LBB6_2041
; %bb.1826:
	v_bfe_u32 v3, v2, 21, 1
	s_mov_b32 s5, exec_lo
	v_add3_u32 v3, v2, v3, 0x88fffff
	v_lshrrev_b32_e32 v3, 21, v3
	s_andn2_saveexec_b32 s10, s10
	s_cbranch_execnz .LBB6_2042
.LBB6_1827:
	s_or_b32 exec_lo, exec_lo, s10
	v_mov_b32_e32 v9, 0
	s_and_saveexec_b32 s10, s5
.LBB6_1828:
	v_lshrrev_b32_e32 v2, 24, v2
	v_and_or_b32 v9, 0x80, v2, v3
.LBB6_1829:
	s_or_b32 exec_lo, exec_lo, s10
.LBB6_1830:
	s_or_b32 exec_lo, exec_lo, s3
	s_mov_b32 s3, 0
	global_store_byte v[6:7], v9, off
.LBB6_1831:
	s_and_b32 vcc_lo, exec_lo, s3
	s_cbranch_vccz .LBB6_1841
; %bb.1832:
	v_cvt_f32_f64_e32 v2, v[0:1]
	s_mov_b32 s3, exec_lo
                                        ; implicit-def: $vgpr3
	v_and_b32_e32 v9, 0x7fffffff, v2
	v_cmpx_gt_u32_e32 0x43f00000, v9
	s_xor_b32 s3, exec_lo, s3
	s_cbranch_execz .LBB6_1838
; %bb.1833:
	s_mov_b32 s5, exec_lo
                                        ; implicit-def: $vgpr3
	v_cmpx_lt_u32_e32 0x3c7fffff, v9
	s_xor_b32 s5, exec_lo, s5
; %bb.1834:
	v_bfe_u32 v3, v2, 20, 1
	v_add3_u32 v3, v2, v3, 0x407ffff
	v_and_b32_e32 v9, 0xff00000, v3
	v_lshrrev_b32_e32 v3, 20, v3
	v_cmp_ne_u32_e32 vcc_lo, 0x7f00000, v9
	v_cndmask_b32_e32 v3, 0x7e, v3, vcc_lo
; %bb.1835:
	s_andn2_saveexec_b32 s5, s5
; %bb.1836:
	v_add_f32_e64 v3, 0x46800000, |v2|
; %bb.1837:
	s_or_b32 exec_lo, exec_lo, s5
                                        ; implicit-def: $vgpr9
.LBB6_1838:
	s_andn2_saveexec_b32 s3, s3
; %bb.1839:
	v_mov_b32_e32 v3, 0x7f
	v_cmp_lt_u32_e32 vcc_lo, 0x7f800000, v9
	v_cndmask_b32_e32 v3, 0x7e, v3, vcc_lo
; %bb.1840:
	s_or_b32 exec_lo, exec_lo, s3
	v_lshrrev_b32_e32 v2, 24, v2
	v_and_or_b32 v2, 0x80, v2, v3
	global_store_byte v[6:7], v2, off
.LBB6_1841:
	s_mov_b32 s3, 0
.LBB6_1842:
	s_andn2_b32 vcc_lo, exec_lo, s3
	s_cbranch_vccnz .LBB6_1852
; %bb.1843:
	v_cvt_f32_f64_e32 v2, v[0:1]
	s_mov_b32 s3, exec_lo
                                        ; implicit-def: $vgpr3
	v_and_b32_e32 v9, 0x7fffffff, v2
	v_cmpx_gt_u32_e32 0x47800000, v9
	s_xor_b32 s3, exec_lo, s3
	s_cbranch_execz .LBB6_1849
; %bb.1844:
	s_mov_b32 s5, exec_lo
                                        ; implicit-def: $vgpr3
	v_cmpx_lt_u32_e32 0x387fffff, v9
	s_xor_b32 s5, exec_lo, s5
; %bb.1845:
	v_bfe_u32 v3, v2, 21, 1
	v_add3_u32 v3, v2, v3, 0x80fffff
	v_lshrrev_b32_e32 v3, 21, v3
; %bb.1846:
	s_andn2_saveexec_b32 s5, s5
; %bb.1847:
	v_add_f32_e64 v3, 0x43000000, |v2|
; %bb.1848:
	s_or_b32 exec_lo, exec_lo, s5
                                        ; implicit-def: $vgpr9
.LBB6_1849:
	s_andn2_saveexec_b32 s3, s3
; %bb.1850:
	v_mov_b32_e32 v3, 0x7f
	v_cmp_lt_u32_e32 vcc_lo, 0x7f800000, v9
	v_cndmask_b32_e32 v3, 0x7c, v3, vcc_lo
; %bb.1851:
	s_or_b32 exec_lo, exec_lo, s3
	v_lshrrev_b32_e32 v2, 24, v2
	v_and_or_b32 v2, 0x80, v2, v3
	global_store_byte v[6:7], v2, off
.LBB6_1852:
	s_mov_b32 s3, 0
	s_mov_b32 s5, -1
.LBB6_1853:
	s_andn2_b32 vcc_lo, exec_lo, s3
	s_mov_b32 s3, 0
	s_cbranch_vccnz .LBB6_1860
; %bb.1854:
	s_cmp_gt_i32 s2, 14
	s_mov_b32 s3, -1
	s_cbranch_scc0 .LBB6_1858
; %bb.1855:
	s_cmp_eq_u32 s2, 15
	s_mov_b32 s0, -1
	s_cbranch_scc0 .LBB6_1857
; %bb.1856:
	v_cvt_f32_f64_e32 v2, v[0:1]
	s_mov_b32 s0, 0
	s_mov_b32 s5, -1
	v_bfe_u32 v3, v2, 16, 1
	v_cmp_o_f32_e32 vcc_lo, v2, v2
	v_add3_u32 v2, v2, v3, 0x7fff
	v_mov_b32_e32 v3, 0x7fc0
	v_cndmask_b32_sdwa v2, v3, v2, vcc_lo dst_sel:DWORD dst_unused:UNUSED_PAD src0_sel:DWORD src1_sel:WORD_1
	global_store_short v[6:7], v2, off
.LBB6_1857:
	s_mov_b32 s3, 0
.LBB6_1858:
	s_and_b32 vcc_lo, exec_lo, s3
	s_mov_b32 s3, 0
	s_cbranch_vccz .LBB6_1860
; %bb.1859:
	s_cmp_lg_u32 s2, 11
	s_mov_b32 s3, -1
	s_cselect_b32 s0, -1, 0
.LBB6_1860:
	s_and_b32 vcc_lo, exec_lo, s0
	s_cbranch_vccnz .LBB6_2040
; %bb.1861:
	s_andn2_b32 vcc_lo, exec_lo, s3
	s_cbranch_vccnz .LBB6_1863
.LBB6_1862:
	v_cmp_neq_f64_e32 vcc_lo, 0, v[0:1]
	s_mov_b32 s5, -1
	v_cndmask_b32_e64 v2, 0, 1, vcc_lo
	global_store_byte v[6:7], v2, off
.LBB6_1863:
	s_mov_b32 s0, 0
	s_branch .LBB6_1865
.LBB6_1864:
	s_mov_b32 s0, -1
	s_mov_b32 s5, 0
.LBB6_1865:
	s_and_b32 vcc_lo, exec_lo, s0
	s_cbranch_vccz .LBB6_1904
; %bb.1866:
	s_and_b32 s0, 0xffff, s12
	s_mov_b32 s2, -1
	s_cmp_lt_i32 s0, 5
	s_cbranch_scc1 .LBB6_1887
; %bb.1867:
	s_cmp_lt_i32 s0, 8
	s_cbranch_scc1 .LBB6_1877
; %bb.1868:
	;; [unrolled: 3-line block ×3, first 2 shown]
	s_cmp_gt_i32 s0, 9
	s_cbranch_scc0 .LBB6_1871
; %bb.1870:
	v_mov_b32_e32 v2, 0
	s_mov_b32 s2, 0
	v_mov_b32_e32 v3, v2
	global_store_dwordx4 v[6:7], v[0:3], off
.LBB6_1871:
	s_andn2_b32 vcc_lo, exec_lo, s2
	s_cbranch_vccnz .LBB6_1873
; %bb.1872:
	v_cvt_f32_f64_e32 v2, v[0:1]
	v_mov_b32_e32 v3, 0
	global_store_dwordx2 v[6:7], v[2:3], off
.LBB6_1873:
	s_mov_b32 s2, 0
.LBB6_1874:
	s_andn2_b32 vcc_lo, exec_lo, s2
	s_cbranch_vccnz .LBB6_1876
; %bb.1875:
	v_and_or_b32 v2, 0x1ff, v1, v0
	v_lshrrev_b32_e32 v3, 8, v1
	v_bfe_u32 v9, v1, 20, 11
	v_cmp_ne_u32_e32 vcc_lo, 0, v2
	v_sub_nc_u32_e32 v10, 0x3f1, v9
	v_add_nc_u32_e32 v9, 0xfffffc10, v9
	v_cndmask_b32_e64 v2, 0, 1, vcc_lo
	v_and_or_b32 v2, 0xffe, v3, v2
	v_med3_i32 v3, v10, 0, 13
	v_or_b32_e32 v10, 0x1000, v2
	v_lshrrev_b32_e32 v11, v3, v10
	v_lshlrev_b32_e32 v3, v3, v11
	v_cmp_ne_u32_e32 vcc_lo, v3, v10
	v_lshl_or_b32 v10, v9, 12, v2
	v_cndmask_b32_e64 v3, 0, 1, vcc_lo
	v_cmp_gt_i32_e32 vcc_lo, 1, v9
	v_or_b32_e32 v3, v11, v3
	v_cndmask_b32_e32 v3, v10, v3, vcc_lo
	v_and_b32_e32 v10, 7, v3
	v_lshrrev_b32_e32 v3, 2, v3
	v_cmp_lt_i32_e32 vcc_lo, 5, v10
	v_cndmask_b32_e64 v11, 0, 1, vcc_lo
	v_cmp_eq_u32_e32 vcc_lo, 3, v10
	v_cndmask_b32_e64 v10, 0, 1, vcc_lo
	v_cmp_ne_u32_e32 vcc_lo, 0, v2
	v_or_b32_e32 v10, v10, v11
	v_mov_b32_e32 v11, 0x7e00
	v_add_nc_u32_e32 v3, v3, v10
	v_cndmask_b32_e32 v2, 0x7c00, v11, vcc_lo
	v_cmp_gt_i32_e32 vcc_lo, 31, v9
	v_cndmask_b32_e32 v3, 0x7c00, v3, vcc_lo
	v_cmp_eq_u32_e32 vcc_lo, 0x40f, v9
	v_cndmask_b32_e32 v2, v3, v2, vcc_lo
	v_lshrrev_b32_e32 v3, 16, v1
	v_and_or_b32 v2, 0x8000, v3, v2
	v_and_b32_e32 v2, 0xffff, v2
	global_store_dword v[6:7], v2, off
.LBB6_1876:
	s_mov_b32 s2, 0
.LBB6_1877:
	s_andn2_b32 vcc_lo, exec_lo, s2
	s_cbranch_vccnz .LBB6_1886
; %bb.1878:
	s_cmp_lt_i32 s0, 6
	s_mov_b32 s2, -1
	s_cbranch_scc1 .LBB6_1884
; %bb.1879:
	s_cmp_gt_i32 s0, 6
	s_cbranch_scc0 .LBB6_1881
; %bb.1880:
	s_mov_b32 s2, 0
	global_store_dwordx2 v[6:7], v[0:1], off
.LBB6_1881:
	s_andn2_b32 vcc_lo, exec_lo, s2
	s_cbranch_vccnz .LBB6_1883
; %bb.1882:
	v_cvt_f32_f64_e32 v2, v[0:1]
	global_store_dword v[6:7], v2, off
.LBB6_1883:
	s_mov_b32 s2, 0
.LBB6_1884:
	s_andn2_b32 vcc_lo, exec_lo, s2
	s_cbranch_vccnz .LBB6_1886
; %bb.1885:
	v_and_or_b32 v2, 0x1ff, v1, v0
	v_lshrrev_b32_e32 v3, 8, v1
	v_bfe_u32 v9, v1, 20, 11
	v_cmp_ne_u32_e32 vcc_lo, 0, v2
	v_sub_nc_u32_e32 v10, 0x3f1, v9
	v_add_nc_u32_e32 v9, 0xfffffc10, v9
	v_cndmask_b32_e64 v2, 0, 1, vcc_lo
	v_and_or_b32 v2, 0xffe, v3, v2
	v_med3_i32 v3, v10, 0, 13
	v_or_b32_e32 v10, 0x1000, v2
	v_lshrrev_b32_e32 v11, v3, v10
	v_lshlrev_b32_e32 v3, v3, v11
	v_cmp_ne_u32_e32 vcc_lo, v3, v10
	v_lshl_or_b32 v10, v9, 12, v2
	v_cndmask_b32_e64 v3, 0, 1, vcc_lo
	v_cmp_gt_i32_e32 vcc_lo, 1, v9
	v_or_b32_e32 v3, v11, v3
	v_cndmask_b32_e32 v3, v10, v3, vcc_lo
	v_and_b32_e32 v10, 7, v3
	v_lshrrev_b32_e32 v3, 2, v3
	v_cmp_lt_i32_e32 vcc_lo, 5, v10
	v_cndmask_b32_e64 v11, 0, 1, vcc_lo
	v_cmp_eq_u32_e32 vcc_lo, 3, v10
	v_cndmask_b32_e64 v10, 0, 1, vcc_lo
	v_cmp_ne_u32_e32 vcc_lo, 0, v2
	v_or_b32_e32 v10, v10, v11
	v_mov_b32_e32 v11, 0x7e00
	v_add_nc_u32_e32 v3, v3, v10
	v_cndmask_b32_e32 v2, 0x7c00, v11, vcc_lo
	v_cmp_gt_i32_e32 vcc_lo, 31, v9
	v_cndmask_b32_e32 v3, 0x7c00, v3, vcc_lo
	v_cmp_eq_u32_e32 vcc_lo, 0x40f, v9
	v_cndmask_b32_e32 v2, v3, v2, vcc_lo
	v_lshrrev_b32_e32 v3, 16, v1
	v_and_or_b32 v2, 0x8000, v3, v2
	global_store_short v[6:7], v2, off
.LBB6_1886:
	s_mov_b32 s2, 0
.LBB6_1887:
	s_andn2_b32 vcc_lo, exec_lo, s2
	s_cbranch_vccnz .LBB6_1903
; %bb.1888:
	s_cmp_lt_i32 s0, 2
	s_mov_b32 s2, -1
	s_cbranch_scc1 .LBB6_1898
; %bb.1889:
	s_cmp_lt_i32 s0, 3
	s_cbranch_scc1 .LBB6_1895
; %bb.1890:
	s_cmp_gt_i32 s0, 3
	s_cbranch_scc0 .LBB6_1892
; %bb.1891:
	v_trunc_f64_e32 v[2:3], v[0:1]
	s_mov_b32 s2, 0
	v_ldexp_f64 v[9:10], v[2:3], 0xffffffe0
	v_floor_f64_e32 v[9:10], v[9:10]
	v_fma_f64 v[2:3], 0xc1f00000, v[9:10], v[2:3]
	v_cvt_i32_f64_e32 v10, v[9:10]
	v_cvt_u32_f64_e32 v9, v[2:3]
	global_store_dwordx2 v[6:7], v[9:10], off
.LBB6_1892:
	s_andn2_b32 vcc_lo, exec_lo, s2
	s_cbranch_vccnz .LBB6_1894
; %bb.1893:
	v_cvt_i32_f64_e32 v2, v[0:1]
	global_store_dword v[6:7], v2, off
.LBB6_1894:
	s_mov_b32 s2, 0
.LBB6_1895:
	s_andn2_b32 vcc_lo, exec_lo, s2
	s_cbranch_vccnz .LBB6_1897
; %bb.1896:
	v_cvt_i32_f64_e32 v2, v[0:1]
	global_store_short v[6:7], v2, off
.LBB6_1897:
	s_mov_b32 s2, 0
.LBB6_1898:
	s_andn2_b32 vcc_lo, exec_lo, s2
	s_cbranch_vccnz .LBB6_1903
; %bb.1899:
	s_cmp_gt_i32 s0, 0
	s_mov_b32 s0, -1
	s_cbranch_scc0 .LBB6_1901
; %bb.1900:
	v_cvt_i32_f64_e32 v2, v[0:1]
	s_mov_b32 s0, 0
	global_store_byte v[6:7], v2, off
.LBB6_1901:
	s_andn2_b32 vcc_lo, exec_lo, s0
	s_cbranch_vccnz .LBB6_1903
; %bb.1902:
	v_trunc_f64_e32 v[0:1], v[0:1]
	v_ldexp_f64 v[2:3], v[0:1], 0xffffffe0
	v_floor_f64_e32 v[2:3], v[2:3]
	v_fma_f64 v[0:1], 0xc1f00000, v[2:3], v[0:1]
	v_cvt_u32_f64_e32 v0, v[0:1]
	global_store_byte v[6:7], v0, off
.LBB6_1903:
	s_mov_b32 s5, -1
.LBB6_1904:
	s_andn2_b32 vcc_lo, exec_lo, s5
	s_cbranch_vccnz .LBB6_1981
; %bb.1905:
	v_and_b32_e32 v1, 0x7fffffff, v5
	v_mov_b32_e32 v0, v4
	s_mov_b32 s2, 0xbd3237f4
	s_mov_b32 s10, 0xb5e68a13
	;; [unrolled: 1-line block ×4, first 2 shown]
	v_div_scale_f64 v[2:3], null, v[0:1], v[0:1], 1.0
	v_div_scale_f64 v[11:12], vcc_lo, 1.0, v[0:1], 1.0
	s_cmp_lt_i32 s12, 11
	v_rcp_f64_e32 v[6:7], v[2:3]
	v_fma_f64 v[9:10], -v[2:3], v[6:7], 1.0
	v_fma_f64 v[6:7], v[6:7], v[9:10], v[6:7]
	v_fma_f64 v[9:10], -v[2:3], v[6:7], 1.0
	v_fma_f64 v[6:7], v[6:7], v[9:10], v[6:7]
	v_mul_f64 v[9:10], v[11:12], v[6:7]
	v_fma_f64 v[2:3], -v[2:3], v[9:10], v[11:12]
	v_div_fmas_f64 v[2:3], v[2:3], v[6:7], v[9:10]
	v_cmp_gt_f64_e64 vcc_lo, |v[4:5]|, 1.0
	v_div_fixup_f64 v[2:3], v[2:3], |v[4:5]|, 1.0
	v_cndmask_b32_e32 v1, v1, v3, vcc_lo
	v_cndmask_b32_e32 v0, v4, v2, vcc_lo
	v_add_nc_u32_e32 v4, s1, v8
	v_mul_f64 v[2:3], v[0:1], v[0:1]
	v_fma_f64 v[6:7], v[2:3], s[10:11], s[2:3]
	s_mov_b32 s2, 0x69efb384
	s_mov_b32 s3, 0x3f4b2bb0
	;; [unrolled: 1-line block ×4, first 2 shown]
	v_fma_f64 v[6:7], v[2:3], v[6:7], s[2:3]
	s_mov_b32 s2, 0xaf56de9b
	s_mov_b32 s3, 0xbf67952d
	v_fma_f64 v[6:7], v[2:3], v[6:7], s[2:3]
	s_mov_b32 s2, 0xa595c56f
	s_mov_b32 s3, 0x3f7d6d43
	;; [unrolled: 3-line block ×18, first 2 shown]
	v_mul_f64 v[2:3], v[2:3], v[6:7]
	v_fma_f64 v[0:1], v[0:1], v[2:3], v[0:1]
	v_fma_f64 v[2:3], s[10:11], s[2:3], -v[0:1]
	v_cndmask_b32_e32 v1, v1, v3, vcc_lo
	v_ashrrev_i32_e32 v3, 31, v4
	v_cndmask_b32_e32 v0, v0, v2, vcc_lo
	v_add_co_u32 v4, vcc_lo, s8, v4
	v_bfi_b32 v1, 0x7fffffff, v1, v5
	v_add_co_ci_u32_e64 v5, null, s9, v3, vcc_lo
	s_cbranch_scc1 .LBB6_2026
; %bb.1906:
	s_and_b32 s1, 0xffff, s12
	s_mov_b32 s3, -1
	s_mov_b32 s2, 0
	s_cmp_gt_i32 s1, 25
	s_mov_b32 s0, 0
	s_cbranch_scc0 .LBB6_1939
; %bb.1907:
	s_cmp_gt_i32 s1, 28
	s_cbranch_scc0 .LBB6_1923
; %bb.1908:
	s_cmp_gt_i32 s1, 43
	;; [unrolled: 3-line block ×3, first 2 shown]
	s_cbranch_scc0 .LBB6_1913
; %bb.1910:
	s_cmp_eq_u32 s1, 46
	s_mov_b32 s0, -1
	s_cbranch_scc0 .LBB6_1912
; %bb.1911:
	v_cvt_f32_f64_e32 v2, v[0:1]
	s_mov_b32 s0, 0
	v_bfe_u32 v3, v2, 16, 1
	v_cmp_o_f32_e32 vcc_lo, v2, v2
	v_add3_u32 v2, v2, v3, 0x7fff
	v_mov_b32_e32 v3, 0x7fc0
	v_cndmask_b32_sdwa v2, v3, v2, vcc_lo dst_sel:DWORD dst_unused:UNUSED_PAD src0_sel:DWORD src1_sel:WORD_1
	global_store_dword v[4:5], v2, off
.LBB6_1912:
	s_mov_b32 s3, 0
.LBB6_1913:
	s_and_b32 vcc_lo, exec_lo, s3
	s_cbranch_vccz .LBB6_1918
; %bb.1914:
	s_cmp_eq_u32 s1, 44
	s_mov_b32 s0, -1
	s_cbranch_scc0 .LBB6_1918
; %bb.1915:
	v_cvt_f32_f64_e32 v2, v[0:1]
	v_mov_b32_e32 v3, 0xff
	s_mov_b32 s3, exec_lo
	v_bfe_u32 v6, v2, 23, 8
	v_cmpx_ne_u32_e32 0xff, v6
	s_cbranch_execz .LBB6_1917
; %bb.1916:
	v_and_b32_e32 v3, 0x400000, v2
	v_and_or_b32 v6, 0x3fffff, v2, v6
	v_lshrrev_b32_e32 v2, 23, v2
	v_cmp_ne_u32_e32 vcc_lo, 0, v3
	v_cmp_ne_u32_e64 s0, 0, v6
	s_and_b32 s0, vcc_lo, s0
	v_cndmask_b32_e64 v3, 0, 1, s0
	v_add_nc_u32_e32 v3, v2, v3
.LBB6_1917:
	s_or_b32 exec_lo, exec_lo, s3
	s_mov_b32 s0, 0
	global_store_byte v[4:5], v3, off
.LBB6_1918:
	s_mov_b32 s3, 0
.LBB6_1919:
	s_and_b32 vcc_lo, exec_lo, s3
	s_cbranch_vccz .LBB6_1922
; %bb.1920:
	s_cmp_eq_u32 s1, 29
	s_mov_b32 s0, -1
	s_cbranch_scc0 .LBB6_1922
; %bb.1921:
	v_trunc_f64_e32 v[2:3], v[0:1]
	s_mov_b32 s0, 0
	v_ldexp_f64 v[6:7], v[2:3], 0xffffffe0
	v_floor_f64_e32 v[6:7], v[6:7]
	v_fma_f64 v[2:3], 0xc1f00000, v[6:7], v[2:3]
	v_cvt_u32_f64_e32 v7, v[6:7]
	v_cvt_u32_f64_e32 v6, v[2:3]
	global_store_dwordx2 v[4:5], v[6:7], off
.LBB6_1922:
	s_mov_b32 s3, 0
.LBB6_1923:
	s_and_b32 vcc_lo, exec_lo, s3
	s_cbranch_vccz .LBB6_1938
; %bb.1924:
	s_cmp_lt_i32 s1, 27
	s_mov_b32 s3, -1
	s_cbranch_scc1 .LBB6_1930
; %bb.1925:
	v_cvt_u32_f64_e32 v2, v[0:1]
	s_cmp_gt_i32 s1, 27
	s_cbranch_scc0 .LBB6_1927
; %bb.1926:
	s_mov_b32 s3, 0
	global_store_dword v[4:5], v2, off
.LBB6_1927:
	s_andn2_b32 vcc_lo, exec_lo, s3
	s_cbranch_vccnz .LBB6_1929
; %bb.1928:
	global_store_short v[4:5], v2, off
.LBB6_1929:
	s_mov_b32 s3, 0
.LBB6_1930:
	s_andn2_b32 vcc_lo, exec_lo, s3
	s_cbranch_vccnz .LBB6_1938
; %bb.1931:
	v_cvt_f32_f64_e32 v2, v[0:1]
	v_mov_b32_e32 v6, 0x80
	s_mov_b32 s3, exec_lo
	v_and_b32_e32 v3, 0x7fffffff, v2
	v_cmpx_gt_u32_e32 0x43800000, v3
	s_cbranch_execz .LBB6_1937
; %bb.1932:
	v_cmp_lt_u32_e32 vcc_lo, 0x3bffffff, v3
	s_mov_b32 s5, 0
                                        ; implicit-def: $vgpr3
	s_and_saveexec_b32 s8, vcc_lo
	s_xor_b32 s8, exec_lo, s8
	s_cbranch_execz .LBB6_2043
; %bb.1933:
	v_bfe_u32 v3, v2, 20, 1
	s_mov_b32 s5, exec_lo
	v_add3_u32 v3, v2, v3, 0x487ffff
	v_lshrrev_b32_e32 v3, 20, v3
	s_andn2_saveexec_b32 s8, s8
	s_cbranch_execnz .LBB6_2044
.LBB6_1934:
	s_or_b32 exec_lo, exec_lo, s8
	v_mov_b32_e32 v6, 0
	s_and_saveexec_b32 s8, s5
.LBB6_1935:
	v_lshrrev_b32_e32 v2, 24, v2
	v_and_or_b32 v6, 0x80, v2, v3
.LBB6_1936:
	s_or_b32 exec_lo, exec_lo, s8
.LBB6_1937:
	s_or_b32 exec_lo, exec_lo, s3
	global_store_byte v[4:5], v6, off
.LBB6_1938:
	s_mov_b32 s3, 0
.LBB6_1939:
	s_and_b32 vcc_lo, exec_lo, s3
	s_cbranch_vccz .LBB6_1979
; %bb.1940:
	s_cmp_gt_i32 s1, 22
	s_mov_b32 s2, -1
	s_cbranch_scc0 .LBB6_1972
; %bb.1941:
	s_cmp_lt_i32 s1, 24
	s_cbranch_scc1 .LBB6_1961
; %bb.1942:
	s_cmp_gt_i32 s1, 24
	s_cbranch_scc0 .LBB6_1950
; %bb.1943:
	v_cvt_f32_f64_e32 v2, v[0:1]
	v_mov_b32_e32 v6, 0x80
	s_mov_b32 s2, exec_lo
	v_and_b32_e32 v3, 0x7fffffff, v2
	v_cmpx_gt_u32_e32 0x47800000, v3
	s_cbranch_execz .LBB6_1949
; %bb.1944:
	v_cmp_lt_u32_e32 vcc_lo, 0x37ffffff, v3
	s_mov_b32 s3, 0
                                        ; implicit-def: $vgpr3
	s_and_saveexec_b32 s5, vcc_lo
	s_xor_b32 s5, exec_lo, s5
	s_cbranch_execz .LBB6_2046
; %bb.1945:
	v_bfe_u32 v3, v2, 21, 1
	s_mov_b32 s3, exec_lo
	v_add3_u32 v3, v2, v3, 0x88fffff
	v_lshrrev_b32_e32 v3, 21, v3
	s_andn2_saveexec_b32 s5, s5
	s_cbranch_execnz .LBB6_2047
.LBB6_1946:
	s_or_b32 exec_lo, exec_lo, s5
	v_mov_b32_e32 v6, 0
	s_and_saveexec_b32 s5, s3
.LBB6_1947:
	v_lshrrev_b32_e32 v2, 24, v2
	v_and_or_b32 v6, 0x80, v2, v3
.LBB6_1948:
	s_or_b32 exec_lo, exec_lo, s5
.LBB6_1949:
	s_or_b32 exec_lo, exec_lo, s2
	s_mov_b32 s2, 0
	global_store_byte v[4:5], v6, off
.LBB6_1950:
	s_and_b32 vcc_lo, exec_lo, s2
	s_cbranch_vccz .LBB6_1960
; %bb.1951:
	v_cvt_f32_f64_e32 v2, v[0:1]
	s_mov_b32 s2, exec_lo
                                        ; implicit-def: $vgpr3
	v_and_b32_e32 v6, 0x7fffffff, v2
	v_cmpx_gt_u32_e32 0x43f00000, v6
	s_xor_b32 s2, exec_lo, s2
	s_cbranch_execz .LBB6_1957
; %bb.1952:
	s_mov_b32 s3, exec_lo
                                        ; implicit-def: $vgpr3
	v_cmpx_lt_u32_e32 0x3c7fffff, v6
	s_xor_b32 s3, exec_lo, s3
; %bb.1953:
	v_bfe_u32 v3, v2, 20, 1
	v_add3_u32 v3, v2, v3, 0x407ffff
	v_and_b32_e32 v6, 0xff00000, v3
	v_lshrrev_b32_e32 v3, 20, v3
	v_cmp_ne_u32_e32 vcc_lo, 0x7f00000, v6
	v_cndmask_b32_e32 v3, 0x7e, v3, vcc_lo
; %bb.1954:
	s_andn2_saveexec_b32 s3, s3
; %bb.1955:
	v_add_f32_e64 v3, 0x46800000, |v2|
; %bb.1956:
	s_or_b32 exec_lo, exec_lo, s3
                                        ; implicit-def: $vgpr6
.LBB6_1957:
	s_andn2_saveexec_b32 s2, s2
; %bb.1958:
	v_mov_b32_e32 v3, 0x7f
	v_cmp_lt_u32_e32 vcc_lo, 0x7f800000, v6
	v_cndmask_b32_e32 v3, 0x7e, v3, vcc_lo
; %bb.1959:
	s_or_b32 exec_lo, exec_lo, s2
	v_lshrrev_b32_e32 v2, 24, v2
	v_and_or_b32 v2, 0x80, v2, v3
	global_store_byte v[4:5], v2, off
.LBB6_1960:
	s_mov_b32 s2, 0
.LBB6_1961:
	s_andn2_b32 vcc_lo, exec_lo, s2
	s_cbranch_vccnz .LBB6_1971
; %bb.1962:
	v_cvt_f32_f64_e32 v2, v[0:1]
	s_mov_b32 s2, exec_lo
                                        ; implicit-def: $vgpr3
	v_and_b32_e32 v6, 0x7fffffff, v2
	v_cmpx_gt_u32_e32 0x47800000, v6
	s_xor_b32 s2, exec_lo, s2
	s_cbranch_execz .LBB6_1968
; %bb.1963:
	s_mov_b32 s3, exec_lo
                                        ; implicit-def: $vgpr3
	v_cmpx_lt_u32_e32 0x387fffff, v6
	s_xor_b32 s3, exec_lo, s3
; %bb.1964:
	v_bfe_u32 v3, v2, 21, 1
	v_add3_u32 v3, v2, v3, 0x80fffff
	v_lshrrev_b32_e32 v3, 21, v3
; %bb.1965:
	s_andn2_saveexec_b32 s3, s3
; %bb.1966:
	v_add_f32_e64 v3, 0x43000000, |v2|
; %bb.1967:
	s_or_b32 exec_lo, exec_lo, s3
                                        ; implicit-def: $vgpr6
.LBB6_1968:
	s_andn2_saveexec_b32 s2, s2
; %bb.1969:
	v_mov_b32_e32 v3, 0x7f
	v_cmp_lt_u32_e32 vcc_lo, 0x7f800000, v6
	v_cndmask_b32_e32 v3, 0x7c, v3, vcc_lo
; %bb.1970:
	s_or_b32 exec_lo, exec_lo, s2
	v_lshrrev_b32_e32 v2, 24, v2
	v_and_or_b32 v2, 0x80, v2, v3
	global_store_byte v[4:5], v2, off
.LBB6_1971:
	s_mov_b32 s2, 0
.LBB6_1972:
	s_andn2_b32 vcc_lo, exec_lo, s2
	s_mov_b32 s2, 0
	s_cbranch_vccnz .LBB6_1979
; %bb.1973:
	s_cmp_gt_i32 s1, 14
	s_mov_b32 s2, -1
	s_cbranch_scc0 .LBB6_1977
; %bb.1974:
	s_cmp_eq_u32 s1, 15
	s_mov_b32 s0, -1
	s_cbranch_scc0 .LBB6_1976
; %bb.1975:
	v_cvt_f32_f64_e32 v2, v[0:1]
	s_mov_b32 s0, 0
	v_bfe_u32 v3, v2, 16, 1
	v_cmp_o_f32_e32 vcc_lo, v2, v2
	v_add3_u32 v2, v2, v3, 0x7fff
	v_mov_b32_e32 v3, 0x7fc0
	v_cndmask_b32_sdwa v2, v3, v2, vcc_lo dst_sel:DWORD dst_unused:UNUSED_PAD src0_sel:DWORD src1_sel:WORD_1
	global_store_short v[4:5], v2, off
.LBB6_1976:
	s_mov_b32 s2, 0
.LBB6_1977:
	s_and_b32 vcc_lo, exec_lo, s2
	s_mov_b32 s2, 0
	s_cbranch_vccz .LBB6_1979
; %bb.1978:
	s_cmp_lg_u32 s1, 11
	s_mov_b32 s2, -1
	s_cselect_b32 s0, -1, 0
.LBB6_1979:
	s_and_b32 vcc_lo, exec_lo, s0
	s_cbranch_vccnz .LBB6_2045
.LBB6_1980:
	s_mov_b32 s0, 0
	s_branch .LBB6_1982
.LBB6_1981:
	s_mov_b32 s0, 0
	s_mov_b32 s2, 0
                                        ; implicit-def: $sgpr12
                                        ; implicit-def: $vgpr4_vgpr5
                                        ; implicit-def: $vgpr0_vgpr1
.LBB6_1982:
	s_andn2_b32 s1, s7, exec_lo
	s_and_b32 s3, s4, exec_lo
	s_and_b32 s0, s0, exec_lo
	;; [unrolled: 1-line block ×3, first 2 shown]
	s_or_b32 s7, s1, s3
.LBB6_1983:
	s_or_b32 exec_lo, exec_lo, s6
	s_and_saveexec_b32 s1, s7
	s_cbranch_execz .LBB6_1986
; %bb.1984:
	; divergent unreachable
	s_or_b32 exec_lo, exec_lo, s1
	s_and_saveexec_b32 s1, s4
	s_xor_b32 s1, exec_lo, s1
	s_cbranch_execnz .LBB6_1987
.LBB6_1985:
	s_or_b32 exec_lo, exec_lo, s1
	s_and_saveexec_b32 s1, s0
	s_cbranch_execnz .LBB6_1988
	s_branch .LBB6_2025
.LBB6_1986:
	s_or_b32 exec_lo, exec_lo, s1
	s_and_saveexec_b32 s1, s4
	s_xor_b32 s1, exec_lo, s1
	s_cbranch_execz .LBB6_1985
.LBB6_1987:
	s_waitcnt vmcnt(0)
	v_cmp_neq_f64_e32 vcc_lo, 0, v[0:1]
	v_cndmask_b32_e64 v2, 0, 1, vcc_lo
	global_store_byte v[4:5], v2, off
	s_or_b32 exec_lo, exec_lo, s1
	s_and_saveexec_b32 s1, s0
	s_cbranch_execz .LBB6_2025
.LBB6_1988:
	s_sext_i32_i16 s1, s12
	s_mov_b32 s0, -1
	s_cmp_lt_i32 s1, 5
	s_cbranch_scc1 .LBB6_2009
; %bb.1989:
	s_cmp_lt_i32 s1, 8
	s_cbranch_scc1 .LBB6_1999
; %bb.1990:
	;; [unrolled: 3-line block ×3, first 2 shown]
	s_cmp_gt_i32 s1, 9
	s_cbranch_scc0 .LBB6_1993
; %bb.1992:
	s_waitcnt vmcnt(0)
	v_mov_b32_e32 v2, 0
	s_mov_b32 s0, 0
	v_mov_b32_e32 v3, v2
	global_store_dwordx4 v[4:5], v[0:3], off
.LBB6_1993:
	s_andn2_b32 vcc_lo, exec_lo, s0
	s_cbranch_vccnz .LBB6_1995
; %bb.1994:
	s_waitcnt vmcnt(0)
	v_cvt_f32_f64_e32 v2, v[0:1]
	v_mov_b32_e32 v3, 0
	global_store_dwordx2 v[4:5], v[2:3], off
.LBB6_1995:
	s_mov_b32 s0, 0
.LBB6_1996:
	s_andn2_b32 vcc_lo, exec_lo, s0
	s_cbranch_vccnz .LBB6_1998
; %bb.1997:
	s_waitcnt vmcnt(0)
	v_and_or_b32 v2, 0x1ff, v1, v0
	v_lshrrev_b32_e32 v3, 8, v1
	v_bfe_u32 v6, v1, 20, 11
	v_cmp_ne_u32_e32 vcc_lo, 0, v2
	v_sub_nc_u32_e32 v7, 0x3f1, v6
	v_add_nc_u32_e32 v6, 0xfffffc10, v6
	v_cndmask_b32_e64 v2, 0, 1, vcc_lo
	v_and_or_b32 v2, 0xffe, v3, v2
	v_med3_i32 v3, v7, 0, 13
	v_or_b32_e32 v7, 0x1000, v2
	v_lshrrev_b32_e32 v8, v3, v7
	v_lshlrev_b32_e32 v3, v3, v8
	v_cmp_ne_u32_e32 vcc_lo, v3, v7
	v_lshl_or_b32 v7, v6, 12, v2
	v_cndmask_b32_e64 v3, 0, 1, vcc_lo
	v_cmp_gt_i32_e32 vcc_lo, 1, v6
	v_or_b32_e32 v3, v8, v3
	v_cndmask_b32_e32 v3, v7, v3, vcc_lo
	v_and_b32_e32 v7, 7, v3
	v_lshrrev_b32_e32 v3, 2, v3
	v_cmp_lt_i32_e32 vcc_lo, 5, v7
	v_cndmask_b32_e64 v8, 0, 1, vcc_lo
	v_cmp_eq_u32_e32 vcc_lo, 3, v7
	v_cndmask_b32_e64 v7, 0, 1, vcc_lo
	v_cmp_ne_u32_e32 vcc_lo, 0, v2
	v_or_b32_e32 v7, v7, v8
	v_mov_b32_e32 v8, 0x7e00
	v_add_nc_u32_e32 v3, v3, v7
	v_cndmask_b32_e32 v2, 0x7c00, v8, vcc_lo
	v_cmp_gt_i32_e32 vcc_lo, 31, v6
	v_cndmask_b32_e32 v3, 0x7c00, v3, vcc_lo
	v_cmp_eq_u32_e32 vcc_lo, 0x40f, v6
	v_cndmask_b32_e32 v2, v3, v2, vcc_lo
	v_lshrrev_b32_e32 v3, 16, v1
	v_and_or_b32 v2, 0x8000, v3, v2
	v_and_b32_e32 v2, 0xffff, v2
	global_store_dword v[4:5], v2, off
.LBB6_1998:
	s_mov_b32 s0, 0
.LBB6_1999:
	s_andn2_b32 vcc_lo, exec_lo, s0
	s_cbranch_vccnz .LBB6_2008
; %bb.2000:
	s_sext_i32_i16 s1, s12
	s_mov_b32 s0, -1
	s_cmp_lt_i32 s1, 6
	s_cbranch_scc1 .LBB6_2006
; %bb.2001:
	s_cmp_gt_i32 s1, 6
	s_cbranch_scc0 .LBB6_2003
; %bb.2002:
	s_mov_b32 s0, 0
	s_waitcnt vmcnt(0)
	global_store_dwordx2 v[4:5], v[0:1], off
.LBB6_2003:
	s_andn2_b32 vcc_lo, exec_lo, s0
	s_cbranch_vccnz .LBB6_2005
; %bb.2004:
	s_waitcnt vmcnt(0)
	v_cvt_f32_f64_e32 v2, v[0:1]
	global_store_dword v[4:5], v2, off
.LBB6_2005:
	s_mov_b32 s0, 0
.LBB6_2006:
	s_andn2_b32 vcc_lo, exec_lo, s0
	s_cbranch_vccnz .LBB6_2008
; %bb.2007:
	s_waitcnt vmcnt(0)
	v_and_or_b32 v2, 0x1ff, v1, v0
	v_lshrrev_b32_e32 v3, 8, v1
	v_bfe_u32 v6, v1, 20, 11
	v_cmp_ne_u32_e32 vcc_lo, 0, v2
	v_sub_nc_u32_e32 v7, 0x3f1, v6
	v_add_nc_u32_e32 v6, 0xfffffc10, v6
	v_cndmask_b32_e64 v2, 0, 1, vcc_lo
	v_and_or_b32 v2, 0xffe, v3, v2
	v_med3_i32 v3, v7, 0, 13
	v_or_b32_e32 v7, 0x1000, v2
	v_lshrrev_b32_e32 v8, v3, v7
	v_lshlrev_b32_e32 v3, v3, v8
	v_cmp_ne_u32_e32 vcc_lo, v3, v7
	v_lshl_or_b32 v7, v6, 12, v2
	v_cndmask_b32_e64 v3, 0, 1, vcc_lo
	v_cmp_gt_i32_e32 vcc_lo, 1, v6
	v_or_b32_e32 v3, v8, v3
	v_cndmask_b32_e32 v3, v7, v3, vcc_lo
	v_and_b32_e32 v7, 7, v3
	v_lshrrev_b32_e32 v3, 2, v3
	v_cmp_lt_i32_e32 vcc_lo, 5, v7
	v_cndmask_b32_e64 v8, 0, 1, vcc_lo
	v_cmp_eq_u32_e32 vcc_lo, 3, v7
	v_cndmask_b32_e64 v7, 0, 1, vcc_lo
	v_cmp_ne_u32_e32 vcc_lo, 0, v2
	v_or_b32_e32 v7, v7, v8
	v_mov_b32_e32 v8, 0x7e00
	v_add_nc_u32_e32 v3, v3, v7
	v_cndmask_b32_e32 v2, 0x7c00, v8, vcc_lo
	v_cmp_gt_i32_e32 vcc_lo, 31, v6
	v_cndmask_b32_e32 v3, 0x7c00, v3, vcc_lo
	v_cmp_eq_u32_e32 vcc_lo, 0x40f, v6
	v_cndmask_b32_e32 v2, v3, v2, vcc_lo
	v_lshrrev_b32_e32 v3, 16, v1
	v_and_or_b32 v2, 0x8000, v3, v2
	global_store_short v[4:5], v2, off
.LBB6_2008:
	s_mov_b32 s0, 0
.LBB6_2009:
	s_andn2_b32 vcc_lo, exec_lo, s0
	s_cbranch_vccnz .LBB6_2025
; %bb.2010:
	s_sext_i32_i16 s1, s12
	s_mov_b32 s0, -1
	s_cmp_lt_i32 s1, 2
	s_cbranch_scc1 .LBB6_2020
; %bb.2011:
	s_cmp_lt_i32 s1, 3
	s_cbranch_scc1 .LBB6_2017
; %bb.2012:
	s_cmp_gt_i32 s1, 3
	s_cbranch_scc0 .LBB6_2014
; %bb.2013:
	s_waitcnt vmcnt(0)
	v_trunc_f64_e32 v[2:3], v[0:1]
	s_mov_b32 s0, 0
	v_ldexp_f64 v[6:7], v[2:3], 0xffffffe0
	v_floor_f64_e32 v[6:7], v[6:7]
	v_fma_f64 v[2:3], 0xc1f00000, v[6:7], v[2:3]
	v_cvt_i32_f64_e32 v7, v[6:7]
	v_cvt_u32_f64_e32 v6, v[2:3]
	global_store_dwordx2 v[4:5], v[6:7], off
.LBB6_2014:
	s_andn2_b32 vcc_lo, exec_lo, s0
	s_cbranch_vccnz .LBB6_2016
; %bb.2015:
	s_waitcnt vmcnt(0)
	v_cvt_i32_f64_e32 v2, v[0:1]
	global_store_dword v[4:5], v2, off
.LBB6_2016:
	s_mov_b32 s0, 0
.LBB6_2017:
	s_andn2_b32 vcc_lo, exec_lo, s0
	s_cbranch_vccnz .LBB6_2019
; %bb.2018:
	s_waitcnt vmcnt(0)
	v_cvt_i32_f64_e32 v2, v[0:1]
	global_store_short v[4:5], v2, off
.LBB6_2019:
	s_mov_b32 s0, 0
.LBB6_2020:
	s_andn2_b32 vcc_lo, exec_lo, s0
	s_cbranch_vccnz .LBB6_2025
; %bb.2021:
	s_sext_i32_i16 s0, s12
	s_cmp_gt_i32 s0, 0
	s_mov_b32 s0, -1
	s_cbranch_scc0 .LBB6_2023
; %bb.2022:
	s_waitcnt vmcnt(0)
	v_cvt_i32_f64_e32 v2, v[0:1]
	s_mov_b32 s0, 0
	global_store_byte v[4:5], v2, off
.LBB6_2023:
	s_andn2_b32 vcc_lo, exec_lo, s0
	s_cbranch_vccnz .LBB6_2025
; %bb.2024:
	s_waitcnt vmcnt(0)
	v_trunc_f64_e32 v[0:1], v[0:1]
	v_ldexp_f64 v[2:3], v[0:1], 0xffffffe0
	v_floor_f64_e32 v[2:3], v[2:3]
	v_fma_f64 v[0:1], 0xc1f00000, v[2:3], v[0:1]
	v_cvt_u32_f64_e32 v0, v[0:1]
	global_store_byte v[4:5], v0, off
	s_endpgm
.LBB6_2025:
	s_endpgm
.LBB6_2026:
	s_mov_b32 s2, 0
	s_mov_b32 s0, -1
	s_branch .LBB6_1982
.LBB6_2027:
	s_or_b32 s4, s4, exec_lo
	s_trap 2
	s_cbranch_execz .LBB6_1496
	s_branch .LBB6_1497
.LBB6_2028:
	s_andn2_saveexec_b32 s11, s11
	s_cbranch_execz .LBB6_1576
.LBB6_2029:
	v_add_f32_e64 v3, 0x46000000, |v2|
	s_andn2_b32 s10, s10, exec_lo
	v_and_b32_e32 v3, 0xff, v3
	v_cmp_ne_u32_e32 vcc_lo, 0, v3
	s_and_b32 s13, vcc_lo, exec_lo
	s_or_b32 s10, s10, s13
	s_or_b32 exec_lo, exec_lo, s11
	v_mov_b32_e32 v13, 0
	s_and_saveexec_b32 s11, s10
	s_cbranch_execnz .LBB6_1577
	s_branch .LBB6_1578
.LBB6_2030:
	s_or_b32 s4, s4, exec_lo
	s_trap 2
	s_cbranch_execz .LBB6_1624
	s_branch .LBB6_1625
.LBB6_2031:
	s_andn2_saveexec_b32 s10, s10
	s_cbranch_execz .LBB6_1589
.LBB6_2032:
	v_add_f32_e64 v3, 0x42800000, |v2|
	s_andn2_b32 s5, s5, exec_lo
	v_and_b32_e32 v3, 0xff, v3
	v_cmp_ne_u32_e32 vcc_lo, 0, v3
	s_and_b32 s11, vcc_lo, exec_lo
	s_or_b32 s5, s5, s11
	s_or_b32 exec_lo, exec_lo, s10
	v_mov_b32_e32 v13, 0
	s_and_saveexec_b32 s10, s5
	s_cbranch_execnz .LBB6_1590
	s_branch .LBB6_1591
.LBB6_2033:
	s_andn2_saveexec_b32 s11, s11
	s_cbranch_execz .LBB6_1695
.LBB6_2034:
	v_add_f32_e64 v3, 0x46000000, |v2|
	s_andn2_b32 s10, s10, exec_lo
	v_and_b32_e32 v3, 0xff, v3
	v_cmp_ne_u32_e32 vcc_lo, 0, v3
	s_and_b32 s13, vcc_lo, exec_lo
	s_or_b32 s10, s10, s13
	s_or_b32 exec_lo, exec_lo, s11
	v_mov_b32_e32 v11, 0
	s_and_saveexec_b32 s11, s10
	s_cbranch_execnz .LBB6_1696
	s_branch .LBB6_1697
.LBB6_2035:
	s_or_b32 s4, s4, exec_lo
	s_trap 2
	s_cbranch_execz .LBB6_1743
	s_branch .LBB6_1744
.LBB6_2036:
	s_andn2_saveexec_b32 s10, s10
	s_cbranch_execz .LBB6_1708
.LBB6_2037:
	v_add_f32_e64 v3, 0x42800000, |v2|
	s_andn2_b32 s5, s5, exec_lo
	v_and_b32_e32 v3, 0xff, v3
	v_cmp_ne_u32_e32 vcc_lo, 0, v3
	s_and_b32 s11, vcc_lo, exec_lo
	s_or_b32 s5, s5, s11
	s_or_b32 exec_lo, exec_lo, s10
	v_mov_b32_e32 v11, 0
	s_and_saveexec_b32 s10, s5
	s_cbranch_execnz .LBB6_1709
	s_branch .LBB6_1710
.LBB6_2038:
	s_andn2_saveexec_b32 s11, s11
	s_cbranch_execz .LBB6_1814
.LBB6_2039:
	v_add_f32_e64 v3, 0x46000000, |v2|
	s_andn2_b32 s10, s10, exec_lo
	v_and_b32_e32 v3, 0xff, v3
	v_cmp_ne_u32_e32 vcc_lo, 0, v3
	s_and_b32 s13, vcc_lo, exec_lo
	s_or_b32 s10, s10, s13
	s_or_b32 exec_lo, exec_lo, s11
	v_mov_b32_e32 v9, 0
	s_and_saveexec_b32 s11, s10
	s_cbranch_execnz .LBB6_1815
	s_branch .LBB6_1816
.LBB6_2040:
	s_or_b32 s4, s4, exec_lo
	s_trap 2
	s_cbranch_execz .LBB6_1862
	s_branch .LBB6_1863
.LBB6_2041:
	s_andn2_saveexec_b32 s10, s10
	s_cbranch_execz .LBB6_1827
.LBB6_2042:
	v_add_f32_e64 v3, 0x42800000, |v2|
	s_andn2_b32 s5, s5, exec_lo
	v_and_b32_e32 v3, 0xff, v3
	v_cmp_ne_u32_e32 vcc_lo, 0, v3
	s_and_b32 s11, vcc_lo, exec_lo
	s_or_b32 s5, s5, s11
	s_or_b32 exec_lo, exec_lo, s10
	v_mov_b32_e32 v9, 0
	s_and_saveexec_b32 s10, s5
	s_cbranch_execnz .LBB6_1828
	s_branch .LBB6_1829
.LBB6_2043:
	s_andn2_saveexec_b32 s8, s8
	s_cbranch_execz .LBB6_1934
.LBB6_2044:
	v_add_f32_e64 v3, 0x46000000, |v2|
	s_andn2_b32 s5, s5, exec_lo
	v_and_b32_e32 v3, 0xff, v3
	v_cmp_ne_u32_e32 vcc_lo, 0, v3
	s_and_b32 s9, vcc_lo, exec_lo
	s_or_b32 s5, s5, s9
	s_or_b32 exec_lo, exec_lo, s8
	v_mov_b32_e32 v6, 0
	s_and_saveexec_b32 s8, s5
	s_cbranch_execnz .LBB6_1935
	s_branch .LBB6_1936
.LBB6_2045:
	s_mov_b32 s2, 0
	s_or_b32 s4, s4, exec_lo
	s_trap 2
	s_branch .LBB6_1980
.LBB6_2046:
	s_andn2_saveexec_b32 s5, s5
	s_cbranch_execz .LBB6_1946
.LBB6_2047:
	v_add_f32_e64 v3, 0x42800000, |v2|
	s_andn2_b32 s3, s3, exec_lo
	v_and_b32_e32 v3, 0xff, v3
	v_cmp_ne_u32_e32 vcc_lo, 0, v3
	s_and_b32 s8, vcc_lo, exec_lo
	s_or_b32 s3, s3, s8
	s_or_b32 exec_lo, exec_lo, s5
	v_mov_b32_e32 v6, 0
	s_and_saveexec_b32 s5, s3
	s_cbranch_execnz .LBB6_1947
	s_branch .LBB6_1948
	.section	.rodata,"a",@progbits
	.p2align	6, 0x0
	.amdhsa_kernel _ZN2at6native32elementwise_kernel_manual_unrollILi128ELi4EZNS0_15gpu_kernel_implIZZZNS0_16atan_kernel_cudaERNS_18TensorIteratorBaseEENKUlvE0_clEvENKUlvE_clEvEUldE_EEvS4_RKT_EUlibE_EEviT1_
		.amdhsa_group_segment_fixed_size 0
		.amdhsa_private_segment_fixed_size 0
		.amdhsa_kernarg_size 40
		.amdhsa_user_sgpr_count 6
		.amdhsa_user_sgpr_private_segment_buffer 1
		.amdhsa_user_sgpr_dispatch_ptr 0
		.amdhsa_user_sgpr_queue_ptr 0
		.amdhsa_user_sgpr_kernarg_segment_ptr 1
		.amdhsa_user_sgpr_dispatch_id 0
		.amdhsa_user_sgpr_flat_scratch_init 0
		.amdhsa_user_sgpr_private_segment_size 0
		.amdhsa_wavefront_size32 1
		.amdhsa_uses_dynamic_stack 0
		.amdhsa_system_sgpr_private_segment_wavefront_offset 0
		.amdhsa_system_sgpr_workgroup_id_x 1
		.amdhsa_system_sgpr_workgroup_id_y 0
		.amdhsa_system_sgpr_workgroup_id_z 0
		.amdhsa_system_sgpr_workgroup_info 0
		.amdhsa_system_vgpr_workitem_id 0
		.amdhsa_next_free_vgpr 19
		.amdhsa_next_free_sgpr 26
		.amdhsa_reserve_vcc 1
		.amdhsa_reserve_flat_scratch 0
		.amdhsa_float_round_mode_32 0
		.amdhsa_float_round_mode_16_64 0
		.amdhsa_float_denorm_mode_32 3
		.amdhsa_float_denorm_mode_16_64 3
		.amdhsa_dx10_clamp 1
		.amdhsa_ieee_mode 1
		.amdhsa_fp16_overflow 0
		.amdhsa_workgroup_processor_mode 1
		.amdhsa_memory_ordered 1
		.amdhsa_forward_progress 1
		.amdhsa_shared_vgpr_count 0
		.amdhsa_exception_fp_ieee_invalid_op 0
		.amdhsa_exception_fp_denorm_src 0
		.amdhsa_exception_fp_ieee_div_zero 0
		.amdhsa_exception_fp_ieee_overflow 0
		.amdhsa_exception_fp_ieee_underflow 0
		.amdhsa_exception_fp_ieee_inexact 0
		.amdhsa_exception_int_div_zero 0
	.end_amdhsa_kernel
	.section	.text._ZN2at6native32elementwise_kernel_manual_unrollILi128ELi4EZNS0_15gpu_kernel_implIZZZNS0_16atan_kernel_cudaERNS_18TensorIteratorBaseEENKUlvE0_clEvENKUlvE_clEvEUldE_EEvS4_RKT_EUlibE_EEviT1_,"axG",@progbits,_ZN2at6native32elementwise_kernel_manual_unrollILi128ELi4EZNS0_15gpu_kernel_implIZZZNS0_16atan_kernel_cudaERNS_18TensorIteratorBaseEENKUlvE0_clEvENKUlvE_clEvEUldE_EEvS4_RKT_EUlibE_EEviT1_,comdat
.Lfunc_end6:
	.size	_ZN2at6native32elementwise_kernel_manual_unrollILi128ELi4EZNS0_15gpu_kernel_implIZZZNS0_16atan_kernel_cudaERNS_18TensorIteratorBaseEENKUlvE0_clEvENKUlvE_clEvEUldE_EEvS4_RKT_EUlibE_EEviT1_, .Lfunc_end6-_ZN2at6native32elementwise_kernel_manual_unrollILi128ELi4EZNS0_15gpu_kernel_implIZZZNS0_16atan_kernel_cudaERNS_18TensorIteratorBaseEENKUlvE0_clEvENKUlvE_clEvEUldE_EEvS4_RKT_EUlibE_EEviT1_
                                        ; -- End function
	.set _ZN2at6native32elementwise_kernel_manual_unrollILi128ELi4EZNS0_15gpu_kernel_implIZZZNS0_16atan_kernel_cudaERNS_18TensorIteratorBaseEENKUlvE0_clEvENKUlvE_clEvEUldE_EEvS4_RKT_EUlibE_EEviT1_.num_vgpr, 19
	.set _ZN2at6native32elementwise_kernel_manual_unrollILi128ELi4EZNS0_15gpu_kernel_implIZZZNS0_16atan_kernel_cudaERNS_18TensorIteratorBaseEENKUlvE0_clEvENKUlvE_clEvEUldE_EEvS4_RKT_EUlibE_EEviT1_.num_agpr, 0
	.set _ZN2at6native32elementwise_kernel_manual_unrollILi128ELi4EZNS0_15gpu_kernel_implIZZZNS0_16atan_kernel_cudaERNS_18TensorIteratorBaseEENKUlvE0_clEvENKUlvE_clEvEUldE_EEvS4_RKT_EUlibE_EEviT1_.numbered_sgpr, 26
	.set _ZN2at6native32elementwise_kernel_manual_unrollILi128ELi4EZNS0_15gpu_kernel_implIZZZNS0_16atan_kernel_cudaERNS_18TensorIteratorBaseEENKUlvE0_clEvENKUlvE_clEvEUldE_EEvS4_RKT_EUlibE_EEviT1_.num_named_barrier, 0
	.set _ZN2at6native32elementwise_kernel_manual_unrollILi128ELi4EZNS0_15gpu_kernel_implIZZZNS0_16atan_kernel_cudaERNS_18TensorIteratorBaseEENKUlvE0_clEvENKUlvE_clEvEUldE_EEvS4_RKT_EUlibE_EEviT1_.private_seg_size, 0
	.set _ZN2at6native32elementwise_kernel_manual_unrollILi128ELi4EZNS0_15gpu_kernel_implIZZZNS0_16atan_kernel_cudaERNS_18TensorIteratorBaseEENKUlvE0_clEvENKUlvE_clEvEUldE_EEvS4_RKT_EUlibE_EEviT1_.uses_vcc, 1
	.set _ZN2at6native32elementwise_kernel_manual_unrollILi128ELi4EZNS0_15gpu_kernel_implIZZZNS0_16atan_kernel_cudaERNS_18TensorIteratorBaseEENKUlvE0_clEvENKUlvE_clEvEUldE_EEvS4_RKT_EUlibE_EEviT1_.uses_flat_scratch, 0
	.set _ZN2at6native32elementwise_kernel_manual_unrollILi128ELi4EZNS0_15gpu_kernel_implIZZZNS0_16atan_kernel_cudaERNS_18TensorIteratorBaseEENKUlvE0_clEvENKUlvE_clEvEUldE_EEvS4_RKT_EUlibE_EEviT1_.has_dyn_sized_stack, 0
	.set _ZN2at6native32elementwise_kernel_manual_unrollILi128ELi4EZNS0_15gpu_kernel_implIZZZNS0_16atan_kernel_cudaERNS_18TensorIteratorBaseEENKUlvE0_clEvENKUlvE_clEvEUldE_EEvS4_RKT_EUlibE_EEviT1_.has_recursion, 0
	.set _ZN2at6native32elementwise_kernel_manual_unrollILi128ELi4EZNS0_15gpu_kernel_implIZZZNS0_16atan_kernel_cudaERNS_18TensorIteratorBaseEENKUlvE0_clEvENKUlvE_clEvEUldE_EEvS4_RKT_EUlibE_EEviT1_.has_indirect_call, 0
	.section	.AMDGPU.csdata,"",@progbits
; Kernel info:
; codeLenInByte = 39732
; TotalNumSgprs: 28
; NumVgprs: 19
; ScratchSize: 0
; MemoryBound: 1
; FloatMode: 240
; IeeeMode: 1
; LDSByteSize: 0 bytes/workgroup (compile time only)
; SGPRBlocks: 0
; VGPRBlocks: 2
; NumSGPRsForWavesPerEU: 28
; NumVGPRsForWavesPerEU: 19
; Occupancy: 16
; WaveLimiterHint : 0
; COMPUTE_PGM_RSRC2:SCRATCH_EN: 0
; COMPUTE_PGM_RSRC2:USER_SGPR: 6
; COMPUTE_PGM_RSRC2:TRAP_HANDLER: 0
; COMPUTE_PGM_RSRC2:TGID_X_EN: 1
; COMPUTE_PGM_RSRC2:TGID_Y_EN: 0
; COMPUTE_PGM_RSRC2:TGID_Z_EN: 0
; COMPUTE_PGM_RSRC2:TIDIG_COMP_CNT: 0
	.section	.text._ZN2at6native32elementwise_kernel_manual_unrollILi128ELi4EZNS0_15gpu_kernel_implIZZZNS0_16atan_kernel_cudaERNS_18TensorIteratorBaseEENKUlvE0_clEvENKUlvE_clEvEUldE_EEvS4_RKT_EUlibE0_EEviT1_,"axG",@progbits,_ZN2at6native32elementwise_kernel_manual_unrollILi128ELi4EZNS0_15gpu_kernel_implIZZZNS0_16atan_kernel_cudaERNS_18TensorIteratorBaseEENKUlvE0_clEvENKUlvE_clEvEUldE_EEvS4_RKT_EUlibE0_EEviT1_,comdat
	.globl	_ZN2at6native32elementwise_kernel_manual_unrollILi128ELi4EZNS0_15gpu_kernel_implIZZZNS0_16atan_kernel_cudaERNS_18TensorIteratorBaseEENKUlvE0_clEvENKUlvE_clEvEUldE_EEvS4_RKT_EUlibE0_EEviT1_ ; -- Begin function _ZN2at6native32elementwise_kernel_manual_unrollILi128ELi4EZNS0_15gpu_kernel_implIZZZNS0_16atan_kernel_cudaERNS_18TensorIteratorBaseEENKUlvE0_clEvENKUlvE_clEvEUldE_EEvS4_RKT_EUlibE0_EEviT1_
	.p2align	8
	.type	_ZN2at6native32elementwise_kernel_manual_unrollILi128ELi4EZNS0_15gpu_kernel_implIZZZNS0_16atan_kernel_cudaERNS_18TensorIteratorBaseEENKUlvE0_clEvENKUlvE_clEvEUldE_EEvS4_RKT_EUlibE0_EEviT1_,@function
_ZN2at6native32elementwise_kernel_manual_unrollILi128ELi4EZNS0_15gpu_kernel_implIZZZNS0_16atan_kernel_cudaERNS_18TensorIteratorBaseEENKUlvE0_clEvENKUlvE_clEvEUldE_EEvS4_RKT_EUlibE0_EEviT1_: ; @_ZN2at6native32elementwise_kernel_manual_unrollILi128ELi4EZNS0_15gpu_kernel_implIZZZNS0_16atan_kernel_cudaERNS_18TensorIteratorBaseEENKUlvE0_clEvENKUlvE_clEvEUldE_EEvS4_RKT_EUlibE0_EEviT1_
; %bb.0:
	s_clause 0x1
	s_load_dword s24, s[4:5], 0x8
	s_load_dword s33, s[4:5], 0x0
	v_lshl_or_b32 v10, s6, 9, v0
	s_add_u32 s2, s4, 8
	s_addc_u32 s3, s5, 0
	s_mov_b32 s1, -1
	s_mov_b32 s26, 0
	v_or_b32_e32 v13, 0x180, v10
	s_mov_b32 s12, 0
	s_mov_b32 s0, exec_lo
	s_waitcnt lgkmcnt(0)
	s_add_i32 s25, s24, -1
	s_cmp_gt_u32 s25, 1
	s_cselect_b32 s27, -1, 0
	v_cmpx_le_i32_e64 s33, v13
	s_xor_b32 s28, exec_lo, s0
	s_cbranch_execz .LBB7_1089
; %bb.1:
	v_mov_b32_e32 v0, 0
	s_clause 0x3
	s_load_dwordx4 s[16:19], s[2:3], 0x4
	s_load_dwordx2 s[6:7], s[2:3], 0x14
	s_load_dwordx4 s[12:15], s[2:3], 0xc4
	s_load_dwordx4 s[8:11], s[2:3], 0x148
	s_cmp_lg_u32 s24, 0
	s_mov_b32 s39, 0
	s_cselect_b32 s34, -1, 0
	global_load_ushort v0, v0, s[2:3] offset:345
	s_add_u32 s20, s2, 0xc4
	s_addc_u32 s21, s3, 0
	s_min_u32 s35, s25, 15
	s_cmp_gt_u32 s24, 1
	s_mov_b32 s37, 0
	s_cselect_b32 s31, -1, 0
	s_mov_b32 s36, 0
	s_mov_b32 s38, exec_lo
	s_waitcnt vmcnt(0)
	v_readfirstlane_b32 s29, v0
	s_and_b32 s0, 0xffff, s29
	s_lshr_b32 s30, s0, 8
	v_cmpx_gt_i32_e64 s33, v10
	s_cbranch_execz .LBB7_266
; %bb.2:
	s_andn2_b32 vcc_lo, exec_lo, s27
	s_cbranch_vccnz .LBB7_7
; %bb.3:
	s_andn2_b32 vcc_lo, exec_lo, s34
	s_cbranch_vccnz .LBB7_8
; %bb.4:
	s_add_i32 s37, s35, 1
	s_cmp_eq_u32 s25, 2
	s_cbranch_scc1 .LBB7_9
; %bb.5:
	v_mov_b32_e32 v2, 0
	v_mov_b32_e32 v0, 0
	;; [unrolled: 1-line block ×3, first 2 shown]
	s_and_b32 s36, s37, 28
	s_mov_b32 s40, 0
	s_mov_b64 s[0:1], s[2:3]
	s_mov_b64 s[22:23], s[20:21]
.LBB7_6:                                ; =>This Inner Loop Header: Depth=1
	s_clause 0x1
	s_load_dwordx8 s[44:51], s[0:1], 0x4
	s_load_dwordx4 s[60:63], s[0:1], 0x24
	s_load_dwordx8 s[52:59], s[22:23], 0x0
	s_add_u32 s0, s0, 48
	s_addc_u32 s1, s1, 0
	s_add_i32 s40, s40, 4
	s_add_u32 s22, s22, 32
	s_addc_u32 s23, s23, 0
	s_cmp_lg_u32 s36, s40
	s_waitcnt lgkmcnt(0)
	v_mul_hi_u32 v3, s45, v1
	v_add_nc_u32_e32 v3, v1, v3
	v_lshrrev_b32_e32 v3, s46, v3
	v_mul_hi_u32 v4, s48, v3
	v_mul_lo_u32 v6, v3, s44
	v_add_nc_u32_e32 v4, v3, v4
	v_sub_nc_u32_e32 v1, v1, v6
	v_lshrrev_b32_e32 v4, s49, v4
	v_mul_lo_u32 v6, v1, s52
	v_mul_lo_u32 v8, v1, s53
	v_mul_hi_u32 v5, s51, v4
	v_add_nc_u32_e32 v5, v4, v5
	v_lshrrev_b32_e32 v5, s60, v5
	v_mul_hi_u32 v7, s62, v5
	v_mul_lo_u32 v9, v5, s50
	v_add_nc_u32_e32 v1, v5, v7
	v_mul_lo_u32 v7, v4, s47
	v_sub_nc_u32_e32 v4, v4, v9
	v_lshrrev_b32_e32 v1, s63, v1
	v_mul_lo_u32 v9, v4, s56
	v_mul_lo_u32 v4, v4, s57
	v_sub_nc_u32_e32 v3, v3, v7
	v_mul_lo_u32 v11, v1, s61
	v_mul_lo_u32 v7, v3, s54
	;; [unrolled: 1-line block ×3, first 2 shown]
	v_sub_nc_u32_e32 v5, v5, v11
	v_add3_u32 v0, v6, v0, v7
	v_mul_lo_u32 v11, v5, s58
	v_mul_lo_u32 v5, v5, s59
	v_add3_u32 v2, v8, v2, v3
	v_add3_u32 v0, v9, v0, v11
	v_add3_u32 v2, v4, v2, v5
	s_cbranch_scc1 .LBB7_6
	s_branch .LBB7_10
.LBB7_7:
                                        ; implicit-def: $vgpr0
                                        ; implicit-def: $vgpr2
	s_branch .LBB7_14
.LBB7_8:
	v_mov_b32_e32 v0, 0
	v_mov_b32_e32 v2, 0
	s_branch .LBB7_13
.LBB7_9:
	v_mov_b32_e32 v0, 0
	v_mov_b32_e32 v2, 0
	;; [unrolled: 1-line block ×3, first 2 shown]
.LBB7_10:
	s_and_b32 s37, s37, 3
	s_cmp_eq_u32 s37, 0
	s_cbranch_scc1 .LBB7_13
; %bb.11:
	s_lshl_b32 s0, s36, 3
	s_mul_i32 s22, s36, 12
	s_add_u32 s0, s2, s0
	s_addc_u32 s1, s3, 0
	s_add_u32 s0, s0, 0xc4
	s_addc_u32 s1, s1, 0
	;; [unrolled: 2-line block ×3, first 2 shown]
	.p2align	6
.LBB7_12:                               ; =>This Inner Loop Header: Depth=1
	s_clause 0x1
	s_load_dwordx2 s[40:41], s[22:23], 0x4
	s_load_dword s36, s[22:23], 0xc
	s_load_dwordx2 s[42:43], s[0:1], 0x0
	s_add_u32 s22, s22, 12
	s_addc_u32 s23, s23, 0
	s_add_u32 s0, s0, 8
	s_addc_u32 s1, s1, 0
	s_add_i32 s37, s37, -1
	s_cmp_lg_u32 s37, 0
	s_waitcnt lgkmcnt(0)
	v_mul_hi_u32 v3, s41, v1
	v_add_nc_u32_e32 v3, v1, v3
	v_lshrrev_b32_e32 v4, s36, v3
	v_mul_lo_u32 v3, v4, s40
	v_sub_nc_u32_e32 v3, v1, v3
	v_mad_u64_u32 v[0:1], null, v3, s42, v[0:1]
	v_mad_u64_u32 v[2:3], null, v3, s43, v[2:3]
	v_mov_b32_e32 v1, v4
	s_cbranch_scc1 .LBB7_12
.LBB7_13:
	s_cbranch_execnz .LBB7_16
.LBB7_14:
	s_waitcnt lgkmcnt(0)
	v_mul_hi_u32 v0, s17, v10
	s_andn2_b32 vcc_lo, exec_lo, s31
	v_add_nc_u32_e32 v0, v10, v0
	v_lshrrev_b32_e32 v1, s18, v0
	v_mul_lo_u32 v0, v1, s16
	v_sub_nc_u32_e32 v2, v10, v0
	v_mul_lo_u32 v0, v2, s12
	v_mul_lo_u32 v2, v2, s13
	s_cbranch_vccnz .LBB7_16
; %bb.15:
	v_mul_hi_u32 v3, s6, v1
	v_add_nc_u32_e32 v3, v1, v3
	v_lshrrev_b32_e32 v3, s7, v3
	v_mul_lo_u32 v3, v3, s19
	v_sub_nc_u32_e32 v3, v1, v3
	v_mad_u64_u32 v[0:1], null, v3, s14, v[0:1]
	v_mad_u64_u32 v[2:3], null, v3, s15, v[2:3]
.LBB7_16:
	s_waitcnt lgkmcnt(0)
	v_add_co_u32 v1, s0, s10, v2
	v_add_co_ci_u32_e64 v2, null, s11, 0, s0
	s_and_b32 s0, 0xffff, s30
	s_cmp_lt_i32 s0, 11
	s_cbranch_scc1 .LBB7_23
; %bb.17:
	s_cmp_gt_i32 s0, 25
	s_cbranch_scc0 .LBB7_32
; %bb.18:
	s_cmp_gt_i32 s0, 28
	s_cbranch_scc0 .LBB7_35
	;; [unrolled: 3-line block ×4, first 2 shown]
; %bb.21:
	s_cmp_eq_u32 s0, 46
	s_mov_b32 s23, 0
	s_cbranch_scc0 .LBB7_41
; %bb.22:
	global_load_dword v3, v[1:2], off
	s_mov_b32 s22, -1
	s_mov_b32 s1, 0
	s_waitcnt vmcnt(0)
	v_lshlrev_b32_e32 v3, 16, v3
	v_cvt_f64_f32_e32 v[5:6], v3
	s_branch .LBB7_43
.LBB7_23:
	s_mov_b32 s1, 0
	s_mov_b32 s22, 0
                                        ; implicit-def: $vgpr5_vgpr6
	s_cbranch_execnz .LBB7_216
.LBB7_24:
	s_andn2_b32 vcc_lo, exec_lo, s22
	s_cbranch_vccnz .LBB7_263
.LBB7_25:
	s_waitcnt vmcnt(0)
	v_and_b32_e32 v2, 0x7fffffff, v6
	v_mov_b32_e32 v1, v5
	s_mov_b32 s22, 0xbd3237f4
	s_mov_b32 s36, 0xb5e68a13
	;; [unrolled: 1-line block ×4, first 2 shown]
	v_div_scale_f64 v[3:4], null, v[1:2], v[1:2], 1.0
	v_div_scale_f64 v[13:14], vcc_lo, 1.0, v[1:2], 1.0
	v_rcp_f64_e32 v[7:8], v[3:4]
	v_fma_f64 v[11:12], -v[3:4], v[7:8], 1.0
	v_fma_f64 v[7:8], v[7:8], v[11:12], v[7:8]
	v_fma_f64 v[11:12], -v[3:4], v[7:8], 1.0
	v_fma_f64 v[7:8], v[7:8], v[11:12], v[7:8]
	v_mul_f64 v[11:12], v[13:14], v[7:8]
	v_fma_f64 v[3:4], -v[3:4], v[11:12], v[13:14]
	v_div_fmas_f64 v[3:4], v[3:4], v[7:8], v[11:12]
	v_cmp_gt_f64_e64 vcc_lo, |v[5:6]|, 1.0
	v_div_fixup_f64 v[3:4], v[3:4], |v[5:6]|, 1.0
	v_cndmask_b32_e32 v2, v2, v4, vcc_lo
	v_cndmask_b32_e32 v1, v5, v3, vcc_lo
	v_mul_f64 v[3:4], v[1:2], v[1:2]
	v_fma_f64 v[7:8], v[3:4], s[36:37], s[22:23]
	s_mov_b32 s22, 0x69efb384
	s_mov_b32 s23, 0x3f4b2bb0
	;; [unrolled: 1-line block ×4, first 2 shown]
	v_fma_f64 v[7:8], v[3:4], v[7:8], s[22:23]
	s_mov_b32 s22, 0xaf56de9b
	s_mov_b32 s23, 0xbf67952d
	v_fma_f64 v[7:8], v[3:4], v[7:8], s[22:23]
	s_mov_b32 s22, 0xa595c56f
	s_mov_b32 s23, 0x3f7d6d43
	;; [unrolled: 3-line block ×18, first 2 shown]
	v_mul_f64 v[3:4], v[3:4], v[7:8]
	v_fma_f64 v[1:2], v[1:2], v[3:4], v[1:2]
	v_fma_f64 v[3:4], s[36:37], s[22:23], -v[1:2]
	s_and_b32 s22, s29, 0xff
	s_cmp_lt_i32 s22, 11
	v_cndmask_b32_e32 v2, v2, v4, vcc_lo
	v_add_co_u32 v4, s0, s8, v0
	v_add_co_ci_u32_e64 v5, null, s9, 0, s0
	v_cndmask_b32_e32 v0, v1, v3, vcc_lo
	v_bfi_b32 v1, 0x7fffffff, v2, v6
	s_cbranch_scc1 .LBB7_33
; %bb.26:
	s_and_b32 s23, 0xffff, s22
	s_cmp_gt_i32 s23, 25
	s_cbranch_scc0 .LBB7_36
; %bb.27:
	s_cmp_gt_i32 s23, 28
	s_cbranch_scc0 .LBB7_38
; %bb.28:
	s_cmp_gt_i32 s23, 43
	s_cbranch_scc0 .LBB7_40
; %bb.29:
	s_cmp_gt_i32 s23, 45
	s_cbranch_scc0 .LBB7_46
; %bb.30:
	s_mov_b32 s37, 0
	s_mov_b32 s0, -1
	s_cmp_eq_u32 s23, 46
	s_mov_b32 s36, 0
	s_cbranch_scc0 .LBB7_47
; %bb.31:
	v_cvt_f32_f64_e32 v2, v[0:1]
	s_mov_b32 s36, -1
	s_mov_b32 s0, 0
	v_bfe_u32 v3, v2, 16, 1
	v_cmp_o_f32_e32 vcc_lo, v2, v2
	v_add3_u32 v2, v2, v3, 0x7fff
	v_mov_b32_e32 v3, 0x7fc0
	v_cndmask_b32_sdwa v2, v3, v2, vcc_lo dst_sel:DWORD dst_unused:UNUSED_PAD src0_sel:DWORD src1_sel:WORD_1
	global_store_dword v[4:5], v2, off
	s_branch .LBB7_47
.LBB7_32:
	s_mov_b32 s1, 0
	s_mov_b32 s22, 0
                                        ; implicit-def: $vgpr5_vgpr6
	s_cbranch_execnz .LBB7_183
	s_branch .LBB7_215
.LBB7_33:
	s_mov_b32 s0, 0
	s_mov_b32 s36, 0
	s_cbranch_execnz .LBB7_116
.LBB7_34:
	s_andn2_b32 vcc_lo, exec_lo, s36
	s_cbranch_vccz .LBB7_154
	s_branch .LBB7_264
.LBB7_35:
	s_mov_b32 s23, -1
	s_mov_b32 s1, 0
	s_mov_b32 s22, 0
                                        ; implicit-def: $vgpr5_vgpr6
	s_branch .LBB7_162
.LBB7_36:
	s_mov_b32 s37, -1
	s_mov_b32 s0, 0
	s_mov_b32 s36, 0
	s_branch .LBB7_74
.LBB7_37:
	s_mov_b32 s23, -1
	s_mov_b32 s1, 0
	s_mov_b32 s22, 0
                                        ; implicit-def: $vgpr5_vgpr6
	s_branch .LBB7_157
.LBB7_38:
	s_mov_b32 s37, -1
	s_mov_b32 s0, 0
	s_mov_b32 s36, 0
	s_branch .LBB7_57
.LBB7_39:
	s_mov_b32 s23, -1
	s_mov_b32 s1, 0
	s_branch .LBB7_42
.LBB7_40:
	s_mov_b32 s37, -1
	s_mov_b32 s0, 0
	s_mov_b32 s36, 0
	s_branch .LBB7_53
.LBB7_41:
	s_mov_b32 s1, -1
.LBB7_42:
	s_mov_b32 s22, 0
                                        ; implicit-def: $vgpr5_vgpr6
.LBB7_43:
	s_and_b32 vcc_lo, exec_lo, s23
	s_cbranch_vccz .LBB7_156
; %bb.44:
	s_cmp_eq_u32 s0, 44
	s_cbranch_scc0 .LBB7_155
; %bb.45:
	global_load_ubyte v5, v[1:2], off
	s_mov_b32 s1, 0
	s_mov_b32 s22, -1
	s_waitcnt vmcnt(0)
	v_lshlrev_b32_e32 v3, 23, v5
	v_cmp_ne_u32_e32 vcc_lo, 0xff, v5
	v_cvt_f64_f32_e32 v[3:4], v3
	v_cndmask_b32_e32 v3, 0x20000000, v3, vcc_lo
	v_cndmask_b32_e32 v4, 0x7ff80000, v4, vcc_lo
	v_cmp_ne_u32_e32 vcc_lo, 0, v5
	v_cndmask_b32_e32 v6, 0x38000000, v4, vcc_lo
	v_cndmask_b32_e32 v5, 0, v3, vcc_lo
	s_branch .LBB7_156
.LBB7_46:
	s_mov_b32 s37, -1
	s_mov_b32 s0, 0
	s_mov_b32 s36, 0
.LBB7_47:
	s_and_b32 vcc_lo, exec_lo, s37
	s_cbranch_vccz .LBB7_52
; %bb.48:
	s_cmp_eq_u32 s23, 44
	s_mov_b32 s0, -1
	s_cbranch_scc0 .LBB7_52
; %bb.49:
	v_cvt_f32_f64_e32 v2, v[0:1]
	v_mov_b32_e32 v3, 0xff
	s_mov_b32 s36, exec_lo
	v_bfe_u32 v6, v2, 23, 8
	v_cmpx_ne_u32_e32 0xff, v6
	s_cbranch_execz .LBB7_51
; %bb.50:
	v_and_b32_e32 v3, 0x400000, v2
	v_and_or_b32 v6, 0x3fffff, v2, v6
	v_lshrrev_b32_e32 v2, 23, v2
	v_cmp_ne_u32_e32 vcc_lo, 0, v3
	v_cmp_ne_u32_e64 s0, 0, v6
	s_and_b32 s0, vcc_lo, s0
	v_cndmask_b32_e64 v3, 0, 1, s0
	v_add_nc_u32_e32 v3, v2, v3
.LBB7_51:
	s_or_b32 exec_lo, exec_lo, s36
	s_mov_b32 s36, -1
	s_mov_b32 s0, 0
	global_store_byte v[4:5], v3, off
.LBB7_52:
	s_mov_b32 s37, 0
.LBB7_53:
	s_and_b32 vcc_lo, exec_lo, s37
	s_cbranch_vccz .LBB7_56
; %bb.54:
	s_cmp_eq_u32 s23, 29
	s_mov_b32 s0, -1
	s_cbranch_scc0 .LBB7_56
; %bb.55:
	v_trunc_f64_e32 v[2:3], v[0:1]
	s_mov_b32 s36, -1
	s_mov_b32 s0, 0
	s_mov_b32 s37, 0
	v_ldexp_f64 v[6:7], v[2:3], 0xffffffe0
	v_floor_f64_e32 v[6:7], v[6:7]
	v_fma_f64 v[2:3], 0xc1f00000, v[6:7], v[2:3]
	v_cvt_u32_f64_e32 v7, v[6:7]
	v_cvt_u32_f64_e32 v6, v[2:3]
	global_store_dwordx2 v[4:5], v[6:7], off
	s_branch .LBB7_57
.LBB7_56:
	s_mov_b32 s37, 0
.LBB7_57:
	s_and_b32 vcc_lo, exec_lo, s37
	s_cbranch_vccz .LBB7_73
; %bb.58:
	s_cmp_lt_i32 s23, 27
	s_mov_b32 s36, -1
	s_cbranch_scc1 .LBB7_64
; %bb.59:
	v_cvt_u32_f64_e32 v2, v[0:1]
	s_cmp_gt_i32 s23, 27
	s_cbranch_scc0 .LBB7_61
; %bb.60:
	s_mov_b32 s36, 0
	global_store_dword v[4:5], v2, off
.LBB7_61:
	s_andn2_b32 vcc_lo, exec_lo, s36
	s_cbranch_vccnz .LBB7_63
; %bb.62:
	global_store_short v[4:5], v2, off
.LBB7_63:
	s_mov_b32 s36, 0
.LBB7_64:
	s_andn2_b32 vcc_lo, exec_lo, s36
	s_cbranch_vccnz .LBB7_72
; %bb.65:
	v_cvt_f32_f64_e32 v2, v[0:1]
	v_mov_b32_e32 v6, 0x80
	s_mov_b32 s36, exec_lo
	v_and_b32_e32 v3, 0x7fffffff, v2
	v_cmpx_gt_u32_e32 0x43800000, v3
	s_cbranch_execz .LBB7_71
; %bb.66:
	v_cmp_lt_u32_e32 vcc_lo, 0x3bffffff, v3
	s_mov_b32 s37, 0
                                        ; implicit-def: $vgpr3
	s_and_saveexec_b32 s40, vcc_lo
	s_xor_b32 s40, exec_lo, s40
	s_cbranch_execz .LBB7_307
; %bb.67:
	v_bfe_u32 v3, v2, 20, 1
	s_mov_b32 s37, exec_lo
	v_add3_u32 v3, v2, v3, 0x487ffff
	v_lshrrev_b32_e32 v3, 20, v3
	s_andn2_saveexec_b32 s40, s40
	s_cbranch_execnz .LBB7_308
.LBB7_68:
	s_or_b32 exec_lo, exec_lo, s40
	v_mov_b32_e32 v6, 0
	s_and_saveexec_b32 s40, s37
.LBB7_69:
	v_lshrrev_b32_e32 v2, 24, v2
	v_and_or_b32 v6, 0x80, v2, v3
.LBB7_70:
	s_or_b32 exec_lo, exec_lo, s40
.LBB7_71:
	s_or_b32 exec_lo, exec_lo, s36
	global_store_byte v[4:5], v6, off
.LBB7_72:
	s_mov_b32 s36, -1
.LBB7_73:
	s_mov_b32 s37, 0
.LBB7_74:
	s_and_b32 vcc_lo, exec_lo, s37
	s_cbranch_vccz .LBB7_115
; %bb.75:
	s_cmp_gt_i32 s23, 22
	s_mov_b32 s37, -1
	s_cbranch_scc0 .LBB7_107
; %bb.76:
	s_cmp_lt_i32 s23, 24
	s_mov_b32 s36, -1
	s_cbranch_scc1 .LBB7_96
; %bb.77:
	s_cmp_gt_i32 s23, 24
	s_cbranch_scc0 .LBB7_85
; %bb.78:
	v_cvt_f32_f64_e32 v2, v[0:1]
	v_mov_b32_e32 v6, 0x80
	s_mov_b32 s36, exec_lo
	v_and_b32_e32 v3, 0x7fffffff, v2
	v_cmpx_gt_u32_e32 0x47800000, v3
	s_cbranch_execz .LBB7_84
; %bb.79:
	v_cmp_lt_u32_e32 vcc_lo, 0x37ffffff, v3
	s_mov_b32 s37, 0
                                        ; implicit-def: $vgpr3
	s_and_saveexec_b32 s40, vcc_lo
	s_xor_b32 s40, exec_lo, s40
	s_cbranch_execz .LBB7_311
; %bb.80:
	v_bfe_u32 v3, v2, 21, 1
	s_mov_b32 s37, exec_lo
	v_add3_u32 v3, v2, v3, 0x88fffff
	v_lshrrev_b32_e32 v3, 21, v3
	s_andn2_saveexec_b32 s40, s40
	s_cbranch_execnz .LBB7_312
.LBB7_81:
	s_or_b32 exec_lo, exec_lo, s40
	v_mov_b32_e32 v6, 0
	s_and_saveexec_b32 s40, s37
.LBB7_82:
	v_lshrrev_b32_e32 v2, 24, v2
	v_and_or_b32 v6, 0x80, v2, v3
.LBB7_83:
	s_or_b32 exec_lo, exec_lo, s40
.LBB7_84:
	s_or_b32 exec_lo, exec_lo, s36
	s_mov_b32 s36, 0
	global_store_byte v[4:5], v6, off
.LBB7_85:
	s_and_b32 vcc_lo, exec_lo, s36
	s_cbranch_vccz .LBB7_95
; %bb.86:
	v_cvt_f32_f64_e32 v2, v[0:1]
	s_mov_b32 s36, exec_lo
                                        ; implicit-def: $vgpr3
	v_and_b32_e32 v6, 0x7fffffff, v2
	v_cmpx_gt_u32_e32 0x43f00000, v6
	s_xor_b32 s36, exec_lo, s36
	s_cbranch_execz .LBB7_92
; %bb.87:
	s_mov_b32 s37, exec_lo
                                        ; implicit-def: $vgpr3
	v_cmpx_lt_u32_e32 0x3c7fffff, v6
	s_xor_b32 s37, exec_lo, s37
; %bb.88:
	v_bfe_u32 v3, v2, 20, 1
	v_add3_u32 v3, v2, v3, 0x407ffff
	v_and_b32_e32 v6, 0xff00000, v3
	v_lshrrev_b32_e32 v3, 20, v3
	v_cmp_ne_u32_e32 vcc_lo, 0x7f00000, v6
	v_cndmask_b32_e32 v3, 0x7e, v3, vcc_lo
; %bb.89:
	s_andn2_saveexec_b32 s37, s37
; %bb.90:
	v_add_f32_e64 v3, 0x46800000, |v2|
; %bb.91:
	s_or_b32 exec_lo, exec_lo, s37
                                        ; implicit-def: $vgpr6
.LBB7_92:
	s_andn2_saveexec_b32 s36, s36
; %bb.93:
	v_mov_b32_e32 v3, 0x7f
	v_cmp_lt_u32_e32 vcc_lo, 0x7f800000, v6
	v_cndmask_b32_e32 v3, 0x7e, v3, vcc_lo
; %bb.94:
	s_or_b32 exec_lo, exec_lo, s36
	v_lshrrev_b32_e32 v2, 24, v2
	v_and_or_b32 v2, 0x80, v2, v3
	global_store_byte v[4:5], v2, off
.LBB7_95:
	s_mov_b32 s36, 0
.LBB7_96:
	s_andn2_b32 vcc_lo, exec_lo, s36
	s_cbranch_vccnz .LBB7_106
; %bb.97:
	v_cvt_f32_f64_e32 v2, v[0:1]
	s_mov_b32 s36, exec_lo
                                        ; implicit-def: $vgpr3
	v_and_b32_e32 v6, 0x7fffffff, v2
	v_cmpx_gt_u32_e32 0x47800000, v6
	s_xor_b32 s36, exec_lo, s36
	s_cbranch_execz .LBB7_103
; %bb.98:
	s_mov_b32 s37, exec_lo
                                        ; implicit-def: $vgpr3
	v_cmpx_lt_u32_e32 0x387fffff, v6
	s_xor_b32 s37, exec_lo, s37
; %bb.99:
	v_bfe_u32 v3, v2, 21, 1
	v_add3_u32 v3, v2, v3, 0x80fffff
	v_lshrrev_b32_e32 v3, 21, v3
; %bb.100:
	s_andn2_saveexec_b32 s37, s37
; %bb.101:
	v_add_f32_e64 v3, 0x43000000, |v2|
; %bb.102:
	s_or_b32 exec_lo, exec_lo, s37
                                        ; implicit-def: $vgpr6
.LBB7_103:
	s_andn2_saveexec_b32 s36, s36
; %bb.104:
	v_mov_b32_e32 v3, 0x7f
	v_cmp_lt_u32_e32 vcc_lo, 0x7f800000, v6
	v_cndmask_b32_e32 v3, 0x7c, v3, vcc_lo
; %bb.105:
	s_or_b32 exec_lo, exec_lo, s36
	v_lshrrev_b32_e32 v2, 24, v2
	v_and_or_b32 v2, 0x80, v2, v3
	global_store_byte v[4:5], v2, off
.LBB7_106:
	s_mov_b32 s37, 0
	s_mov_b32 s36, -1
.LBB7_107:
	s_andn2_b32 vcc_lo, exec_lo, s37
	s_cbranch_vccnz .LBB7_115
; %bb.108:
	s_cmp_gt_i32 s23, 14
	s_mov_b32 s37, -1
	s_cbranch_scc0 .LBB7_112
; %bb.109:
	s_cmp_eq_u32 s23, 15
	s_mov_b32 s0, -1
	s_cbranch_scc0 .LBB7_111
; %bb.110:
	v_cvt_f32_f64_e32 v2, v[0:1]
	s_mov_b32 s36, -1
	s_mov_b32 s0, 0
	v_bfe_u32 v3, v2, 16, 1
	v_cmp_o_f32_e32 vcc_lo, v2, v2
	v_add3_u32 v2, v2, v3, 0x7fff
	v_mov_b32_e32 v3, 0x7fc0
	v_cndmask_b32_sdwa v2, v3, v2, vcc_lo dst_sel:DWORD dst_unused:UNUSED_PAD src0_sel:DWORD src1_sel:WORD_1
	global_store_short v[4:5], v2, off
.LBB7_111:
	s_mov_b32 s37, 0
.LBB7_112:
	s_and_b32 vcc_lo, exec_lo, s37
	s_cbranch_vccz .LBB7_115
; %bb.113:
	s_cmp_eq_u32 s23, 11
	s_mov_b32 s0, -1
	s_cbranch_scc0 .LBB7_115
; %bb.114:
	v_cmp_neq_f64_e32 vcc_lo, 0, v[0:1]
	s_mov_b32 s36, -1
	s_mov_b32 s0, 0
	v_cndmask_b32_e64 v2, 0, 1, vcc_lo
	global_store_byte v[4:5], v2, off
.LBB7_115:
	s_branch .LBB7_34
.LBB7_116:
	s_and_b32 s22, 0xffff, s22
	s_mov_b32 s23, -1
	s_cmp_lt_i32 s22, 5
	s_cbranch_scc1 .LBB7_137
; %bb.117:
	s_cmp_lt_i32 s22, 8
	s_cbranch_scc1 .LBB7_127
; %bb.118:
	;; [unrolled: 3-line block ×3, first 2 shown]
	s_cmp_gt_i32 s22, 9
	s_cbranch_scc0 .LBB7_121
; %bb.120:
	v_mov_b32_e32 v2, 0
	s_mov_b32 s23, 0
	v_mov_b32_e32 v3, v2
	global_store_dwordx4 v[4:5], v[0:3], off
.LBB7_121:
	s_andn2_b32 vcc_lo, exec_lo, s23
	s_cbranch_vccnz .LBB7_123
; %bb.122:
	v_cvt_f32_f64_e32 v2, v[0:1]
	v_mov_b32_e32 v3, 0
	global_store_dwordx2 v[4:5], v[2:3], off
.LBB7_123:
	s_mov_b32 s23, 0
.LBB7_124:
	s_andn2_b32 vcc_lo, exec_lo, s23
	s_cbranch_vccnz .LBB7_126
; %bb.125:
	v_and_or_b32 v2, 0x1ff, v1, v0
	v_lshrrev_b32_e32 v3, 8, v1
	v_bfe_u32 v6, v1, 20, 11
	v_cmp_ne_u32_e32 vcc_lo, 0, v2
	v_sub_nc_u32_e32 v7, 0x3f1, v6
	v_add_nc_u32_e32 v6, 0xfffffc10, v6
	v_cndmask_b32_e64 v2, 0, 1, vcc_lo
	v_and_or_b32 v2, 0xffe, v3, v2
	v_med3_i32 v3, v7, 0, 13
	v_or_b32_e32 v7, 0x1000, v2
	v_lshrrev_b32_e32 v8, v3, v7
	v_lshlrev_b32_e32 v3, v3, v8
	v_cmp_ne_u32_e32 vcc_lo, v3, v7
	v_lshl_or_b32 v7, v6, 12, v2
	v_cndmask_b32_e64 v3, 0, 1, vcc_lo
	v_cmp_gt_i32_e32 vcc_lo, 1, v6
	v_or_b32_e32 v3, v8, v3
	v_cndmask_b32_e32 v3, v7, v3, vcc_lo
	v_and_b32_e32 v7, 7, v3
	v_lshrrev_b32_e32 v3, 2, v3
	v_cmp_lt_i32_e32 vcc_lo, 5, v7
	v_cndmask_b32_e64 v8, 0, 1, vcc_lo
	v_cmp_eq_u32_e32 vcc_lo, 3, v7
	v_cndmask_b32_e64 v7, 0, 1, vcc_lo
	v_cmp_ne_u32_e32 vcc_lo, 0, v2
	v_or_b32_e32 v7, v7, v8
	v_mov_b32_e32 v8, 0x7e00
	v_add_nc_u32_e32 v3, v3, v7
	v_cndmask_b32_e32 v2, 0x7c00, v8, vcc_lo
	v_cmp_gt_i32_e32 vcc_lo, 31, v6
	v_cndmask_b32_e32 v3, 0x7c00, v3, vcc_lo
	v_cmp_eq_u32_e32 vcc_lo, 0x40f, v6
	v_cndmask_b32_e32 v2, v3, v2, vcc_lo
	v_lshrrev_b32_e32 v3, 16, v1
	v_and_or_b32 v2, 0x8000, v3, v2
	v_and_b32_e32 v2, 0xffff, v2
	global_store_dword v[4:5], v2, off
.LBB7_126:
	s_mov_b32 s23, 0
.LBB7_127:
	s_andn2_b32 vcc_lo, exec_lo, s23
	s_cbranch_vccnz .LBB7_136
; %bb.128:
	s_cmp_lt_i32 s22, 6
	s_mov_b32 s23, -1
	s_cbranch_scc1 .LBB7_134
; %bb.129:
	s_cmp_gt_i32 s22, 6
	s_cbranch_scc0 .LBB7_131
; %bb.130:
	s_mov_b32 s23, 0
	global_store_dwordx2 v[4:5], v[0:1], off
.LBB7_131:
	s_andn2_b32 vcc_lo, exec_lo, s23
	s_cbranch_vccnz .LBB7_133
; %bb.132:
	v_cvt_f32_f64_e32 v2, v[0:1]
	global_store_dword v[4:5], v2, off
.LBB7_133:
	s_mov_b32 s23, 0
.LBB7_134:
	s_andn2_b32 vcc_lo, exec_lo, s23
	s_cbranch_vccnz .LBB7_136
; %bb.135:
	v_and_or_b32 v2, 0x1ff, v1, v0
	v_lshrrev_b32_e32 v3, 8, v1
	v_bfe_u32 v6, v1, 20, 11
	v_cmp_ne_u32_e32 vcc_lo, 0, v2
	v_sub_nc_u32_e32 v7, 0x3f1, v6
	v_add_nc_u32_e32 v6, 0xfffffc10, v6
	v_cndmask_b32_e64 v2, 0, 1, vcc_lo
	v_and_or_b32 v2, 0xffe, v3, v2
	v_med3_i32 v3, v7, 0, 13
	v_or_b32_e32 v7, 0x1000, v2
	v_lshrrev_b32_e32 v8, v3, v7
	v_lshlrev_b32_e32 v3, v3, v8
	v_cmp_ne_u32_e32 vcc_lo, v3, v7
	v_lshl_or_b32 v7, v6, 12, v2
	v_cndmask_b32_e64 v3, 0, 1, vcc_lo
	v_cmp_gt_i32_e32 vcc_lo, 1, v6
	v_or_b32_e32 v3, v8, v3
	v_cndmask_b32_e32 v3, v7, v3, vcc_lo
	v_and_b32_e32 v7, 7, v3
	v_lshrrev_b32_e32 v3, 2, v3
	v_cmp_lt_i32_e32 vcc_lo, 5, v7
	v_cndmask_b32_e64 v8, 0, 1, vcc_lo
	v_cmp_eq_u32_e32 vcc_lo, 3, v7
	v_cndmask_b32_e64 v7, 0, 1, vcc_lo
	v_cmp_ne_u32_e32 vcc_lo, 0, v2
	v_or_b32_e32 v7, v7, v8
	v_mov_b32_e32 v8, 0x7e00
	v_add_nc_u32_e32 v3, v3, v7
	v_cndmask_b32_e32 v2, 0x7c00, v8, vcc_lo
	v_cmp_gt_i32_e32 vcc_lo, 31, v6
	v_cndmask_b32_e32 v3, 0x7c00, v3, vcc_lo
	v_cmp_eq_u32_e32 vcc_lo, 0x40f, v6
	v_cndmask_b32_e32 v2, v3, v2, vcc_lo
	v_lshrrev_b32_e32 v3, 16, v1
	v_and_or_b32 v2, 0x8000, v3, v2
	global_store_short v[4:5], v2, off
.LBB7_136:
	s_mov_b32 s23, 0
.LBB7_137:
	s_andn2_b32 vcc_lo, exec_lo, s23
	s_cbranch_vccnz .LBB7_153
; %bb.138:
	s_cmp_lt_i32 s22, 2
	s_mov_b32 s23, -1
	s_cbranch_scc1 .LBB7_148
; %bb.139:
	s_cmp_lt_i32 s22, 3
	s_cbranch_scc1 .LBB7_145
; %bb.140:
	s_cmp_gt_i32 s22, 3
	s_cbranch_scc0 .LBB7_142
; %bb.141:
	v_trunc_f64_e32 v[2:3], v[0:1]
	s_mov_b32 s23, 0
	v_ldexp_f64 v[6:7], v[2:3], 0xffffffe0
	v_floor_f64_e32 v[6:7], v[6:7]
	v_fma_f64 v[2:3], 0xc1f00000, v[6:7], v[2:3]
	v_cvt_i32_f64_e32 v7, v[6:7]
	v_cvt_u32_f64_e32 v6, v[2:3]
	global_store_dwordx2 v[4:5], v[6:7], off
.LBB7_142:
	s_andn2_b32 vcc_lo, exec_lo, s23
	s_cbranch_vccnz .LBB7_144
; %bb.143:
	v_cvt_i32_f64_e32 v2, v[0:1]
	global_store_dword v[4:5], v2, off
.LBB7_144:
	s_mov_b32 s23, 0
.LBB7_145:
	s_andn2_b32 vcc_lo, exec_lo, s23
	s_cbranch_vccnz .LBB7_147
; %bb.146:
	v_cvt_i32_f64_e32 v2, v[0:1]
	global_store_short v[4:5], v2, off
.LBB7_147:
	s_mov_b32 s23, 0
.LBB7_148:
	s_andn2_b32 vcc_lo, exec_lo, s23
	s_cbranch_vccnz .LBB7_153
; %bb.149:
	s_cmp_gt_i32 s22, 0
	s_mov_b32 s22, -1
	s_cbranch_scc0 .LBB7_151
; %bb.150:
	v_cvt_i32_f64_e32 v2, v[0:1]
	s_mov_b32 s22, 0
	global_store_byte v[4:5], v2, off
.LBB7_151:
	s_andn2_b32 vcc_lo, exec_lo, s22
	s_cbranch_vccnz .LBB7_153
; %bb.152:
	v_trunc_f64_e32 v[0:1], v[0:1]
	v_ldexp_f64 v[2:3], v[0:1], 0xffffffe0
	v_floor_f64_e32 v[2:3], v[2:3]
	v_fma_f64 v[0:1], 0xc1f00000, v[2:3], v[0:1]
	v_cvt_u32_f64_e32 v0, v[0:1]
	global_store_byte v[4:5], v0, off
.LBB7_153:
.LBB7_154:
	v_add_nc_u32_e32 v10, 0x80, v10
	s_mov_b32 s22, -1
	s_branch .LBB7_265
.LBB7_155:
	s_mov_b32 s1, -1
                                        ; implicit-def: $vgpr5_vgpr6
.LBB7_156:
	s_mov_b32 s23, 0
.LBB7_157:
	s_and_b32 vcc_lo, exec_lo, s23
	s_cbranch_vccz .LBB7_161
; %bb.158:
	s_cmp_eq_u32 s0, 29
	s_cbranch_scc0 .LBB7_160
; %bb.159:
	global_load_dwordx2 v[3:4], v[1:2], off
	s_mov_b32 s22, -1
	s_mov_b32 s1, 0
	s_mov_b32 s23, 0
	s_waitcnt vmcnt(0)
	v_cvt_f64_u32_e32 v[4:5], v4
	v_cvt_f64_u32_e32 v[6:7], v3
	v_ldexp_f64 v[4:5], v[4:5], 32
	v_add_f64 v[5:6], v[4:5], v[6:7]
	s_branch .LBB7_162
.LBB7_160:
	s_mov_b32 s1, -1
                                        ; implicit-def: $vgpr5_vgpr6
.LBB7_161:
	s_mov_b32 s23, 0
.LBB7_162:
	s_and_b32 vcc_lo, exec_lo, s23
	s_cbranch_vccz .LBB7_182
; %bb.163:
	s_cmp_lt_i32 s0, 27
	s_cbranch_scc1 .LBB7_166
; %bb.164:
	s_cmp_gt_i32 s0, 27
	s_cbranch_scc0 .LBB7_167
; %bb.165:
	global_load_dword v3, v[1:2], off
	s_mov_b32 s22, 0
	s_waitcnt vmcnt(0)
	v_cvt_f64_u32_e32 v[5:6], v3
	s_branch .LBB7_168
.LBB7_166:
	s_mov_b32 s22, -1
                                        ; implicit-def: $vgpr5_vgpr6
	s_branch .LBB7_171
.LBB7_167:
	s_mov_b32 s22, -1
                                        ; implicit-def: $vgpr5_vgpr6
.LBB7_168:
	s_andn2_b32 vcc_lo, exec_lo, s22
	s_cbranch_vccnz .LBB7_170
; %bb.169:
	global_load_ushort v3, v[1:2], off
	s_waitcnt vmcnt(0)
	v_cvt_f64_u32_e32 v[5:6], v3
.LBB7_170:
	s_mov_b32 s22, 0
.LBB7_171:
	s_andn2_b32 vcc_lo, exec_lo, s22
	s_cbranch_vccnz .LBB7_181
; %bb.172:
	global_load_ubyte v3, v[1:2], off
	s_mov_b32 s22, 0
	s_mov_b32 s23, exec_lo
	s_waitcnt vmcnt(0)
	v_cmpx_lt_i16_e32 0x7f, v3
	s_xor_b32 s23, exec_lo, s23
	s_cbranch_execz .LBB7_176
; %bb.173:
	s_mov_b32 s22, -1
	s_mov_b32 s36, exec_lo
	v_cmpx_eq_u16_e32 0x80, v3
; %bb.174:
	s_xor_b32 s22, exec_lo, -1
; %bb.175:
	s_or_b32 exec_lo, exec_lo, s36
	s_and_b32 s22, s22, exec_lo
.LBB7_176:
	s_or_saveexec_b32 s23, s23
	v_bfrev_b32_e32 v5, 4
	v_mov_b32_e32 v6, 0x7ff80000
	s_xor_b32 exec_lo, exec_lo, s23
; %bb.177:
	v_cmp_ne_u16_e32 vcc_lo, 0, v3
	v_mov_b32_e32 v5, 0
	v_mov_b32_e32 v6, 0
	s_andn2_b32 s22, s22, exec_lo
	s_and_b32 s36, vcc_lo, exec_lo
	s_or_b32 s22, s22, s36
; %bb.178:
	s_or_b32 exec_lo, exec_lo, s23
	s_and_saveexec_b32 s23, s22
	s_cbranch_execz .LBB7_180
; %bb.179:
	v_and_b32_e32 v4, 0xffff, v3
	v_lshlrev_b32_e32 v3, 24, v3
	v_and_b32_e32 v5, 7, v4
	v_bfe_u32 v8, v4, 3, 4
	v_and_b32_e32 v3, 0x80000000, v3
	v_ffbh_u32_e32 v6, v5
	v_cmp_eq_u32_e32 vcc_lo, 0, v8
	v_min_u32_e32 v6, 32, v6
	v_subrev_nc_u32_e32 v7, 28, v6
	v_sub_nc_u32_e32 v6, 29, v6
	v_lshlrev_b32_e32 v4, v7, v4
	v_cndmask_b32_e32 v6, v8, v6, vcc_lo
	v_and_b32_e32 v4, 7, v4
	v_cndmask_b32_e32 v4, v5, v4, vcc_lo
	v_lshl_add_u32 v5, v6, 23, 0x3b800000
	v_lshlrev_b32_e32 v4, 20, v4
	v_or3_b32 v3, v3, v5, v4
	v_cvt_f64_f32_e32 v[5:6], v3
.LBB7_180:
	s_or_b32 exec_lo, exec_lo, s23
.LBB7_181:
	s_mov_b32 s22, -1
.LBB7_182:
	s_branch .LBB7_215
.LBB7_183:
	s_cmp_gt_i32 s0, 22
	s_cbranch_scc0 .LBB7_195
; %bb.184:
	s_cmp_lt_i32 s0, 24
	s_cbranch_scc1 .LBB7_196
; %bb.185:
	s_cmp_gt_i32 s0, 24
	s_cbranch_scc0 .LBB7_197
; %bb.186:
	global_load_ubyte v3, v[1:2], off
	s_mov_b32 s22, 0
	s_mov_b32 s23, exec_lo
	s_waitcnt vmcnt(0)
	v_cmpx_lt_i16_e32 0x7f, v3
	s_xor_b32 s23, exec_lo, s23
	s_cbranch_execz .LBB7_190
; %bb.187:
	s_mov_b32 s22, -1
	s_mov_b32 s36, exec_lo
	v_cmpx_eq_u16_e32 0x80, v3
; %bb.188:
	s_xor_b32 s22, exec_lo, -1
; %bb.189:
	s_or_b32 exec_lo, exec_lo, s36
	s_and_b32 s22, s22, exec_lo
.LBB7_190:
	s_or_saveexec_b32 s23, s23
	v_bfrev_b32_e32 v5, 4
	v_mov_b32_e32 v6, 0x7ff80000
	s_xor_b32 exec_lo, exec_lo, s23
; %bb.191:
	v_cmp_ne_u16_e32 vcc_lo, 0, v3
	v_mov_b32_e32 v5, 0
	v_mov_b32_e32 v6, 0
	s_andn2_b32 s22, s22, exec_lo
	s_and_b32 s36, vcc_lo, exec_lo
	s_or_b32 s22, s22, s36
; %bb.192:
	s_or_b32 exec_lo, exec_lo, s23
	s_and_saveexec_b32 s23, s22
	s_cbranch_execz .LBB7_194
; %bb.193:
	v_and_b32_e32 v4, 0xffff, v3
	v_lshlrev_b32_e32 v3, 24, v3
	v_and_b32_e32 v5, 3, v4
	v_bfe_u32 v8, v4, 2, 5
	v_and_b32_e32 v3, 0x80000000, v3
	v_ffbh_u32_e32 v6, v5
	v_cmp_eq_u32_e32 vcc_lo, 0, v8
	v_min_u32_e32 v6, 32, v6
	v_subrev_nc_u32_e32 v7, 29, v6
	v_sub_nc_u32_e32 v6, 30, v6
	v_lshlrev_b32_e32 v4, v7, v4
	v_cndmask_b32_e32 v6, v8, v6, vcc_lo
	v_and_b32_e32 v4, 3, v4
	v_cndmask_b32_e32 v4, v5, v4, vcc_lo
	v_lshl_add_u32 v5, v6, 23, 0x37800000
	v_lshlrev_b32_e32 v4, 21, v4
	v_or3_b32 v3, v3, v5, v4
	v_cvt_f64_f32_e32 v[5:6], v3
.LBB7_194:
	s_or_b32 exec_lo, exec_lo, s23
	s_mov_b32 s22, 0
	s_branch .LBB7_198
.LBB7_195:
	s_mov_b32 s23, -1
                                        ; implicit-def: $vgpr5_vgpr6
	s_branch .LBB7_204
.LBB7_196:
	s_mov_b32 s22, -1
                                        ; implicit-def: $vgpr5_vgpr6
	s_branch .LBB7_201
.LBB7_197:
	s_mov_b32 s22, -1
                                        ; implicit-def: $vgpr5_vgpr6
.LBB7_198:
	s_and_b32 vcc_lo, exec_lo, s22
	s_cbranch_vccz .LBB7_200
; %bb.199:
	global_load_ubyte v3, v[1:2], off
	s_waitcnt vmcnt(0)
	v_lshlrev_b32_e32 v3, 24, v3
	v_and_b32_e32 v4, 0x7f000000, v3
	v_ffbh_u32_e32 v5, v4
	v_add_nc_u32_e32 v7, 0x1000000, v4
	v_cmp_ne_u32_e32 vcc_lo, 0, v4
	v_min_u32_e32 v5, 32, v5
	v_sub_nc_u32_e64 v5, v5, 4 clamp
	v_lshlrev_b32_e32 v6, v5, v4
	v_lshlrev_b32_e32 v5, 23, v5
	v_lshrrev_b32_e32 v6, 4, v6
	v_sub_nc_u32_e32 v5, v6, v5
	v_ashrrev_i32_e32 v6, 8, v7
	v_add_nc_u32_e32 v5, 0x3c000000, v5
	v_and_or_b32 v5, 0x7f800000, v6, v5
	v_cndmask_b32_e32 v4, 0, v5, vcc_lo
	v_and_or_b32 v3, 0x80000000, v3, v4
	v_cvt_f64_f32_e32 v[5:6], v3
.LBB7_200:
	s_mov_b32 s22, 0
.LBB7_201:
	s_andn2_b32 vcc_lo, exec_lo, s22
	s_cbranch_vccnz .LBB7_203
; %bb.202:
	global_load_ubyte v3, v[1:2], off
	s_waitcnt vmcnt(0)
	v_lshlrev_b32_e32 v4, 25, v3
	v_lshlrev_b16 v3, 8, v3
	v_lshrrev_b32_e32 v5, 4, v4
	v_and_or_b32 v6, 0x7f00, v3, 0.5
	v_cmp_gt_u32_e32 vcc_lo, 0x8000000, v4
	v_bfe_i32 v3, v3, 0, 16
	v_or_b32_e32 v5, 0x70000000, v5
	v_add_f32_e32 v6, -0.5, v6
	v_mul_f32_e32 v5, 0x7800000, v5
	v_cndmask_b32_e32 v4, v5, v6, vcc_lo
	v_and_or_b32 v3, 0x80000000, v3, v4
	v_cvt_f64_f32_e32 v[5:6], v3
.LBB7_203:
	s_mov_b32 s23, 0
	s_mov_b32 s22, -1
.LBB7_204:
	s_andn2_b32 vcc_lo, exec_lo, s23
	s_cbranch_vccnz .LBB7_215
; %bb.205:
	s_cmp_gt_i32 s0, 14
	s_cbranch_scc0 .LBB7_208
; %bb.206:
	s_cmp_eq_u32 s0, 15
	s_cbranch_scc0 .LBB7_209
; %bb.207:
	global_load_ushort v3, v[1:2], off
	s_mov_b32 s22, -1
	s_mov_b32 s1, 0
	s_waitcnt vmcnt(0)
	v_lshlrev_b32_e32 v3, 16, v3
	v_cvt_f64_f32_e32 v[5:6], v3
	s_branch .LBB7_210
.LBB7_208:
	s_mov_b32 s23, -1
                                        ; implicit-def: $vgpr5_vgpr6
	s_branch .LBB7_211
.LBB7_209:
	s_mov_b32 s1, -1
                                        ; implicit-def: $vgpr5_vgpr6
.LBB7_210:
	s_mov_b32 s23, 0
.LBB7_211:
	s_and_b32 vcc_lo, exec_lo, s23
	s_cbranch_vccz .LBB7_215
; %bb.212:
	s_cmp_eq_u32 s0, 11
	s_cbranch_scc0 .LBB7_214
; %bb.213:
	global_load_ubyte v3, v[1:2], off
	v_mov_b32_e32 v5, 0
	s_mov_b32 s1, 0
	s_mov_b32 s22, -1
	s_waitcnt vmcnt(0)
	v_cmp_ne_u16_e32 vcc_lo, 0, v3
	v_cndmask_b32_e64 v6, 0, 0x3ff00000, vcc_lo
	s_branch .LBB7_215
.LBB7_214:
	s_mov_b32 s1, -1
                                        ; implicit-def: $vgpr5_vgpr6
.LBB7_215:
	s_branch .LBB7_24
.LBB7_216:
	s_cmp_lt_i32 s0, 5
	s_cbranch_scc1 .LBB7_221
; %bb.217:
	s_cmp_lt_i32 s0, 8
	s_cbranch_scc1 .LBB7_222
; %bb.218:
	;; [unrolled: 3-line block ×3, first 2 shown]
	s_cmp_gt_i32 s0, 9
	s_cbranch_scc0 .LBB7_224
; %bb.220:
	global_load_dwordx2 v[5:6], v[1:2], off
	s_mov_b32 s22, 0
	s_branch .LBB7_225
.LBB7_221:
                                        ; implicit-def: $vgpr5_vgpr6
	s_branch .LBB7_243
.LBB7_222:
	s_mov_b32 s22, -1
                                        ; implicit-def: $vgpr5_vgpr6
	s_branch .LBB7_231
.LBB7_223:
	s_mov_b32 s22, -1
                                        ; implicit-def: $vgpr5_vgpr6
	s_branch .LBB7_228
.LBB7_224:
	s_mov_b32 s22, -1
                                        ; implicit-def: $vgpr5_vgpr6
.LBB7_225:
	s_andn2_b32 vcc_lo, exec_lo, s22
	s_cbranch_vccnz .LBB7_227
; %bb.226:
	global_load_dword v3, v[1:2], off
	s_waitcnt vmcnt(0)
	v_cvt_f64_f32_e32 v[5:6], v3
.LBB7_227:
	s_mov_b32 s22, 0
.LBB7_228:
	s_andn2_b32 vcc_lo, exec_lo, s22
	s_cbranch_vccnz .LBB7_230
; %bb.229:
	global_load_dword v3, v[1:2], off
	s_waitcnt vmcnt(0)
	v_cvt_f32_f16_e32 v3, v3
	v_cvt_f64_f32_e32 v[5:6], v3
.LBB7_230:
	s_mov_b32 s22, 0
.LBB7_231:
	s_andn2_b32 vcc_lo, exec_lo, s22
	s_cbranch_vccnz .LBB7_242
; %bb.232:
	s_cmp_lt_i32 s0, 6
	s_cbranch_scc1 .LBB7_235
; %bb.233:
	s_cmp_gt_i32 s0, 6
	s_cbranch_scc0 .LBB7_236
; %bb.234:
	global_load_dwordx2 v[5:6], v[1:2], off
	s_mov_b32 s22, 0
	s_branch .LBB7_237
.LBB7_235:
	s_mov_b32 s22, -1
                                        ; implicit-def: $vgpr5_vgpr6
	s_branch .LBB7_240
.LBB7_236:
	s_mov_b32 s22, -1
                                        ; implicit-def: $vgpr5_vgpr6
.LBB7_237:
	s_andn2_b32 vcc_lo, exec_lo, s22
	s_cbranch_vccnz .LBB7_239
; %bb.238:
	global_load_dword v3, v[1:2], off
	s_waitcnt vmcnt(0)
	v_cvt_f64_f32_e32 v[5:6], v3
.LBB7_239:
	s_mov_b32 s22, 0
.LBB7_240:
	s_andn2_b32 vcc_lo, exec_lo, s22
	s_cbranch_vccnz .LBB7_242
; %bb.241:
	global_load_ushort v3, v[1:2], off
	s_waitcnt vmcnt(0)
	v_cvt_f32_f16_e32 v3, v3
	v_cvt_f64_f32_e32 v[5:6], v3
.LBB7_242:
	s_cbranch_execnz .LBB7_262
.LBB7_243:
	s_cmp_lt_i32 s0, 2
	s_cbranch_scc1 .LBB7_247
; %bb.244:
	s_cmp_lt_i32 s0, 3
	s_cbranch_scc1 .LBB7_248
; %bb.245:
	s_cmp_gt_i32 s0, 3
	s_cbranch_scc0 .LBB7_249
; %bb.246:
	global_load_dwordx2 v[3:4], v[1:2], off
	s_mov_b32 s22, 0
	s_waitcnt vmcnt(0)
	v_cvt_f64_i32_e32 v[4:5], v4
	v_cvt_f64_u32_e32 v[6:7], v3
	v_ldexp_f64 v[4:5], v[4:5], 32
	v_add_f64 v[5:6], v[4:5], v[6:7]
	s_branch .LBB7_250
.LBB7_247:
	s_mov_b32 s22, -1
                                        ; implicit-def: $vgpr5_vgpr6
	s_branch .LBB7_256
.LBB7_248:
	s_mov_b32 s22, -1
                                        ; implicit-def: $vgpr5_vgpr6
	s_branch .LBB7_253
.LBB7_249:
	s_mov_b32 s22, -1
                                        ; implicit-def: $vgpr5_vgpr6
.LBB7_250:
	s_andn2_b32 vcc_lo, exec_lo, s22
	s_cbranch_vccnz .LBB7_252
; %bb.251:
	global_load_dword v3, v[1:2], off
	s_waitcnt vmcnt(0)
	v_cvt_f64_i32_e32 v[5:6], v3
.LBB7_252:
	s_mov_b32 s22, 0
.LBB7_253:
	s_andn2_b32 vcc_lo, exec_lo, s22
	s_cbranch_vccnz .LBB7_255
; %bb.254:
	global_load_sshort v3, v[1:2], off
	s_waitcnt vmcnt(0)
	v_cvt_f64_i32_e32 v[5:6], v3
.LBB7_255:
	s_mov_b32 s22, 0
.LBB7_256:
	s_andn2_b32 vcc_lo, exec_lo, s22
	s_cbranch_vccnz .LBB7_262
; %bb.257:
	s_cmp_gt_i32 s0, 0
	s_mov_b32 s0, 0
	s_cbranch_scc0 .LBB7_259
; %bb.258:
	global_load_sbyte v3, v[1:2], off
	s_waitcnt vmcnt(0)
	v_cvt_f64_i32_e32 v[5:6], v3
	s_branch .LBB7_260
.LBB7_259:
	s_mov_b32 s0, -1
                                        ; implicit-def: $vgpr5_vgpr6
.LBB7_260:
	s_andn2_b32 vcc_lo, exec_lo, s0
	s_cbranch_vccnz .LBB7_262
; %bb.261:
	global_load_ubyte v1, v[1:2], off
	s_waitcnt vmcnt(0)
	v_cvt_f64_u32_e32 v[5:6], v1
.LBB7_262:
	s_branch .LBB7_25
.LBB7_263:
	s_mov_b32 s0, 0
.LBB7_264:
	s_mov_b32 s22, 0
                                        ; implicit-def: $vgpr10
.LBB7_265:
	s_and_b32 s36, s0, exec_lo
	s_and_b32 s37, s1, exec_lo
	s_orn2_b32 s1, s22, exec_lo
.LBB7_266:
	s_or_b32 exec_lo, exec_lo, s38
	s_mov_b32 s22, 0
	s_mov_b32 s0, 0
                                        ; implicit-def: $vgpr0_vgpr1
                                        ; implicit-def: $vgpr2
                                        ; implicit-def: $vgpr6_vgpr7
	s_and_saveexec_b32 s38, s1
	s_cbranch_execz .LBB7_273
; %bb.267:
	s_mov_b32 s0, -1
	s_mov_b32 s39, s37
	s_mov_b32 s40, s36
	s_mov_b32 s41, exec_lo
	v_cmpx_gt_i32_e64 s33, v10
	s_cbranch_execz .LBB7_543
; %bb.268:
	s_andn2_b32 vcc_lo, exec_lo, s27
	s_cbranch_vccnz .LBB7_276
; %bb.269:
	s_andn2_b32 vcc_lo, exec_lo, s34
	s_cbranch_vccnz .LBB7_277
; %bb.270:
	s_add_i32 s40, s35, 1
	s_cmp_eq_u32 s25, 2
	s_cbranch_scc1 .LBB7_278
; %bb.271:
	v_mov_b32_e32 v2, 0
	v_mov_b32_e32 v0, 0
	;; [unrolled: 1-line block ×3, first 2 shown]
	s_and_b32 s39, s40, 28
	s_mov_b32 s42, 0
	s_mov_b64 s[0:1], s[2:3]
	s_mov_b64 s[22:23], s[20:21]
.LBB7_272:                              ; =>This Inner Loop Header: Depth=1
	s_clause 0x1
	s_load_dwordx8 s[44:51], s[0:1], 0x4
	s_load_dwordx4 s[60:63], s[0:1], 0x24
	s_load_dwordx8 s[52:59], s[22:23], 0x0
	s_add_u32 s0, s0, 48
	s_addc_u32 s1, s1, 0
	s_add_i32 s42, s42, 4
	s_add_u32 s22, s22, 32
	s_addc_u32 s23, s23, 0
	s_cmp_eq_u32 s39, s42
	s_waitcnt lgkmcnt(0)
	v_mul_hi_u32 v3, s45, v1
	v_add_nc_u32_e32 v3, v1, v3
	v_lshrrev_b32_e32 v3, s46, v3
	v_mul_hi_u32 v4, s48, v3
	s_waitcnt vmcnt(0)
	v_mul_lo_u32 v6, v3, s44
	v_add_nc_u32_e32 v4, v3, v4
	v_sub_nc_u32_e32 v1, v1, v6
	v_lshrrev_b32_e32 v4, s49, v4
	v_mul_lo_u32 v6, v1, s52
	v_mul_lo_u32 v8, v1, s53
	v_mul_hi_u32 v5, s51, v4
	v_add_nc_u32_e32 v5, v4, v5
	v_lshrrev_b32_e32 v5, s60, v5
	v_mul_hi_u32 v7, s62, v5
	v_mul_lo_u32 v9, v5, s50
	v_add_nc_u32_e32 v1, v5, v7
	v_mul_lo_u32 v7, v4, s47
	v_sub_nc_u32_e32 v4, v4, v9
	v_lshrrev_b32_e32 v1, s63, v1
	v_mul_lo_u32 v9, v4, s56
	v_mul_lo_u32 v4, v4, s57
	v_sub_nc_u32_e32 v3, v3, v7
	v_mul_lo_u32 v11, v1, s61
	v_mul_lo_u32 v7, v3, s54
	;; [unrolled: 1-line block ×3, first 2 shown]
	v_sub_nc_u32_e32 v5, v5, v11
	v_add3_u32 v0, v6, v0, v7
	v_mul_lo_u32 v11, v5, s58
	v_mul_lo_u32 v5, v5, s59
	v_add3_u32 v2, v8, v2, v3
	v_add3_u32 v0, v9, v0, v11
	;; [unrolled: 1-line block ×3, first 2 shown]
	s_cbranch_scc0 .LBB7_272
	s_branch .LBB7_279
.LBB7_273:
	s_or_b32 exec_lo, exec_lo, s38
	s_mov_b32 s1, 0
	s_waitcnt lgkmcnt(0)
	s_and_saveexec_b32 s6, s37
	s_cbranch_execnz .LBB7_921
.LBB7_274:
	s_or_b32 exec_lo, exec_lo, s6
	s_and_saveexec_b32 s6, s39
	s_xor_b32 s6, exec_lo, s6
	s_cbranch_execz .LBB7_922
.LBB7_275:
	global_load_ubyte v3, v[0:1], off
	s_waitcnt vmcnt(1)
	v_mov_b32_e32 v6, 0
	s_or_b32 s0, s0, exec_lo
	s_waitcnt vmcnt(0)
	v_cmp_ne_u16_e32 vcc_lo, 0, v3
	v_cndmask_b32_e64 v7, 0, 0x3ff00000, vcc_lo
	s_or_b32 exec_lo, exec_lo, s6
	s_and_saveexec_b32 s6, s22
	s_cbranch_execz .LBB7_968
	s_branch .LBB7_923
.LBB7_276:
                                        ; implicit-def: $vgpr0
                                        ; implicit-def: $vgpr2
	s_andn2_b32 vcc_lo, exec_lo, s0
	s_cbranch_vccz .LBB7_283
	s_branch .LBB7_285
.LBB7_277:
	v_mov_b32_e32 v0, 0
	v_mov_b32_e32 v2, 0
	s_branch .LBB7_282
.LBB7_278:
	v_mov_b32_e32 v0, 0
	v_mov_b32_e32 v2, 0
	;; [unrolled: 1-line block ×3, first 2 shown]
	s_mov_b32 s39, 0
.LBB7_279:
	s_and_b32 s40, s40, 3
	s_cmp_eq_u32 s40, 0
	s_cbranch_scc1 .LBB7_282
; %bb.280:
	s_lshl_b32 s0, s39, 3
	s_mul_i32 s22, s39, 12
	s_add_u32 s0, s2, s0
	s_addc_u32 s1, s3, 0
	s_add_u32 s0, s0, 0xc4
	s_addc_u32 s1, s1, 0
	;; [unrolled: 2-line block ×3, first 2 shown]
	.p2align	6
.LBB7_281:                              ; =>This Inner Loop Header: Depth=1
	s_clause 0x1
	s_load_dwordx2 s[42:43], s[22:23], 0x4
	s_load_dword s39, s[22:23], 0xc
	s_load_dwordx2 s[44:45], s[0:1], 0x0
	s_add_u32 s22, s22, 12
	s_addc_u32 s23, s23, 0
	s_add_u32 s0, s0, 8
	s_addc_u32 s1, s1, 0
	s_add_i32 s40, s40, -1
	s_cmp_lg_u32 s40, 0
	s_waitcnt lgkmcnt(0)
	v_mul_hi_u32 v3, s43, v1
	v_add_nc_u32_e32 v3, v1, v3
	v_lshrrev_b32_e32 v4, s39, v3
	v_mul_lo_u32 v3, v4, s42
	v_sub_nc_u32_e32 v3, v1, v3
	v_mad_u64_u32 v[0:1], null, v3, s44, v[0:1]
	v_mad_u64_u32 v[2:3], null, v3, s45, v[2:3]
	v_mov_b32_e32 v1, v4
	s_cbranch_scc1 .LBB7_281
.LBB7_282:
	s_cbranch_execnz .LBB7_285
.LBB7_283:
	s_waitcnt lgkmcnt(0)
	v_mul_hi_u32 v0, s17, v10
	s_andn2_b32 vcc_lo, exec_lo, s31
	v_add_nc_u32_e32 v0, v10, v0
	v_lshrrev_b32_e32 v1, s18, v0
	v_mul_lo_u32 v0, v1, s16
	v_sub_nc_u32_e32 v2, v10, v0
	v_mul_lo_u32 v0, v2, s12
	v_mul_lo_u32 v2, v2, s13
	s_cbranch_vccnz .LBB7_285
; %bb.284:
	v_mul_hi_u32 v3, s6, v1
	v_add_nc_u32_e32 v3, v1, v3
	v_lshrrev_b32_e32 v3, s7, v3
	v_mul_lo_u32 v3, v3, s19
	v_sub_nc_u32_e32 v3, v1, v3
	v_mad_u64_u32 v[0:1], null, v3, s14, v[0:1]
	v_mad_u64_u32 v[2:3], null, v3, s15, v[2:3]
.LBB7_285:
	s_waitcnt lgkmcnt(0)
	v_add_co_u32 v1, s0, s10, v2
	v_add_co_ci_u32_e64 v2, null, s11, 0, s0
	s_and_b32 s0, 0xffff, s30
	s_cmp_lt_i32 s0, 11
	s_cbranch_scc1 .LBB7_292
; %bb.286:
	s_cmp_gt_i32 s0, 25
	s_cbranch_scc0 .LBB7_301
; %bb.287:
	s_cmp_gt_i32 s0, 28
	s_cbranch_scc0 .LBB7_303
	;; [unrolled: 3-line block ×4, first 2 shown]
; %bb.290:
	s_cmp_eq_u32 s0, 46
	s_mov_b32 s23, 0
	s_cbranch_scc0 .LBB7_313
; %bb.291:
	global_load_dword v3, v[1:2], off
	s_mov_b32 s22, -1
	s_mov_b32 s1, 0
	s_waitcnt vmcnt(0)
	v_lshlrev_b32_e32 v3, 16, v3
	v_cvt_f64_f32_e32 v[5:6], v3
	s_branch .LBB7_315
.LBB7_292:
	s_mov_b32 s22, 0
	s_mov_b32 s1, s37
                                        ; implicit-def: $vgpr5_vgpr6
	s_cbranch_execnz .LBB7_492
.LBB7_293:
	s_andn2_b32 vcc_lo, exec_lo, s22
	s_cbranch_vccnz .LBB7_540
.LBB7_294:
	s_waitcnt vmcnt(0)
	v_and_b32_e32 v2, 0x7fffffff, v6
	v_mov_b32_e32 v1, v5
	s_mov_b32 s22, 0xbd3237f4
	s_mov_b32 s42, 0xb5e68a13
	;; [unrolled: 1-line block ×4, first 2 shown]
	v_div_scale_f64 v[3:4], null, v[1:2], v[1:2], 1.0
	v_div_scale_f64 v[13:14], vcc_lo, 1.0, v[1:2], 1.0
	v_rcp_f64_e32 v[7:8], v[3:4]
	v_fma_f64 v[11:12], -v[3:4], v[7:8], 1.0
	v_fma_f64 v[7:8], v[7:8], v[11:12], v[7:8]
	v_fma_f64 v[11:12], -v[3:4], v[7:8], 1.0
	v_fma_f64 v[7:8], v[7:8], v[11:12], v[7:8]
	v_mul_f64 v[11:12], v[13:14], v[7:8]
	v_fma_f64 v[3:4], -v[3:4], v[11:12], v[13:14]
	v_div_fmas_f64 v[3:4], v[3:4], v[7:8], v[11:12]
	v_cmp_gt_f64_e64 vcc_lo, |v[5:6]|, 1.0
	v_div_fixup_f64 v[3:4], v[3:4], |v[5:6]|, 1.0
	v_cndmask_b32_e32 v2, v2, v4, vcc_lo
	v_cndmask_b32_e32 v1, v5, v3, vcc_lo
	v_mul_f64 v[3:4], v[1:2], v[1:2]
	v_fma_f64 v[7:8], v[3:4], s[42:43], s[22:23]
	s_mov_b32 s22, 0x69efb384
	s_mov_b32 s23, 0x3f4b2bb0
	;; [unrolled: 1-line block ×4, first 2 shown]
	v_fma_f64 v[7:8], v[3:4], v[7:8], s[22:23]
	s_mov_b32 s22, 0xaf56de9b
	s_mov_b32 s23, 0xbf67952d
	v_fma_f64 v[7:8], v[3:4], v[7:8], s[22:23]
	s_mov_b32 s22, 0xa595c56f
	s_mov_b32 s23, 0x3f7d6d43
	;; [unrolled: 3-line block ×18, first 2 shown]
	v_mul_f64 v[3:4], v[3:4], v[7:8]
	v_fma_f64 v[1:2], v[1:2], v[3:4], v[1:2]
	v_fma_f64 v[3:4], s[42:43], s[22:23], -v[1:2]
	s_and_b32 s22, s29, 0xff
	s_cmp_lt_i32 s22, 11
	v_cndmask_b32_e32 v2, v2, v4, vcc_lo
	v_add_co_u32 v4, s0, s8, v0
	v_add_co_ci_u32_e64 v5, null, s9, 0, s0
	v_cndmask_b32_e32 v0, v1, v3, vcc_lo
	v_bfi_b32 v1, 0x7fffffff, v2, v6
	s_cbranch_scc1 .LBB7_302
; %bb.295:
	s_and_b32 s23, 0xffff, s22
	s_cmp_gt_i32 s23, 25
	s_cbranch_scc0 .LBB7_304
; %bb.296:
	s_cmp_gt_i32 s23, 28
	s_cbranch_scc0 .LBB7_306
; %bb.297:
	;; [unrolled: 3-line block ×4, first 2 shown]
	s_mov_b32 s40, 0
	s_mov_b32 s0, -1
	s_cmp_eq_u32 s23, 46
	s_mov_b32 s39, 0
	s_cbranch_scc0 .LBB7_319
; %bb.300:
	v_cvt_f32_f64_e32 v2, v[0:1]
	s_mov_b32 s39, -1
	s_mov_b32 s0, 0
	v_bfe_u32 v3, v2, 16, 1
	v_cmp_o_f32_e32 vcc_lo, v2, v2
	v_add3_u32 v2, v2, v3, 0x7fff
	v_mov_b32_e32 v3, 0x7fc0
	v_cndmask_b32_sdwa v2, v3, v2, vcc_lo dst_sel:DWORD dst_unused:UNUSED_PAD src0_sel:DWORD src1_sel:WORD_1
	global_store_dword v[4:5], v2, off
	s_branch .LBB7_319
.LBB7_301:
	s_mov_b32 s23, -1
	s_mov_b32 s22, 0
	s_mov_b32 s1, s37
                                        ; implicit-def: $vgpr5_vgpr6
	s_branch .LBB7_458
.LBB7_302:
	s_mov_b32 s23, -1
	s_mov_b32 s39, 0
	s_mov_b32 s0, s36
	s_branch .LBB7_388
.LBB7_303:
	s_mov_b32 s23, -1
	s_mov_b32 s22, 0
	s_mov_b32 s1, s37
                                        ; implicit-def: $vgpr5_vgpr6
	s_branch .LBB7_437
.LBB7_304:
	s_mov_b32 s40, -1
	s_mov_b32 s39, 0
	s_mov_b32 s0, s36
	s_branch .LBB7_346
.LBB7_305:
	s_mov_b32 s23, -1
	s_mov_b32 s22, 0
	s_mov_b32 s1, s37
                                        ; implicit-def: $vgpr5_vgpr6
	s_branch .LBB7_432
.LBB7_306:
	s_mov_b32 s40, -1
	s_mov_b32 s39, 0
	s_mov_b32 s0, s36
	s_branch .LBB7_329
.LBB7_307:
	s_andn2_saveexec_b32 s40, s40
	s_cbranch_execz .LBB7_68
.LBB7_308:
	v_add_f32_e64 v3, 0x46000000, |v2|
	s_andn2_b32 s37, s37, exec_lo
	v_and_b32_e32 v3, 0xff, v3
	v_cmp_ne_u32_e32 vcc_lo, 0, v3
	s_and_b32 s41, vcc_lo, exec_lo
	s_or_b32 s37, s37, s41
	s_or_b32 exec_lo, exec_lo, s40
	v_mov_b32_e32 v6, 0
	s_and_saveexec_b32 s40, s37
	s_cbranch_execnz .LBB7_69
	s_branch .LBB7_70
.LBB7_309:
	s_mov_b32 s23, -1
	s_mov_b32 s22, 0
	s_mov_b32 s1, s37
	s_branch .LBB7_314
.LBB7_310:
	s_mov_b32 s40, -1
	s_mov_b32 s39, 0
	s_mov_b32 s0, s36
	s_branch .LBB7_325
.LBB7_311:
	s_andn2_saveexec_b32 s40, s40
	s_cbranch_execz .LBB7_81
.LBB7_312:
	v_add_f32_e64 v3, 0x42800000, |v2|
	s_andn2_b32 s37, s37, exec_lo
	v_and_b32_e32 v3, 0xff, v3
	v_cmp_ne_u32_e32 vcc_lo, 0, v3
	s_and_b32 s41, vcc_lo, exec_lo
	s_or_b32 s37, s37, s41
	s_or_b32 exec_lo, exec_lo, s40
	v_mov_b32_e32 v6, 0
	s_and_saveexec_b32 s40, s37
	s_cbranch_execnz .LBB7_82
	s_branch .LBB7_83
.LBB7_313:
	s_mov_b32 s1, -1
	s_mov_b32 s22, 0
.LBB7_314:
                                        ; implicit-def: $vgpr5_vgpr6
.LBB7_315:
	s_and_b32 vcc_lo, exec_lo, s23
	s_cbranch_vccz .LBB7_431
; %bb.316:
	s_cmp_eq_u32 s0, 44
	s_cbranch_scc0 .LBB7_430
; %bb.317:
	global_load_ubyte v5, v[1:2], off
	s_mov_b32 s1, 0
	s_mov_b32 s22, -1
	s_waitcnt vmcnt(0)
	v_lshlrev_b32_e32 v3, 23, v5
	v_cmp_ne_u32_e32 vcc_lo, 0xff, v5
	v_cvt_f64_f32_e32 v[3:4], v3
	v_cndmask_b32_e32 v3, 0x20000000, v3, vcc_lo
	v_cndmask_b32_e32 v4, 0x7ff80000, v4, vcc_lo
	v_cmp_ne_u32_e32 vcc_lo, 0, v5
	v_cndmask_b32_e32 v6, 0x38000000, v4, vcc_lo
	v_cndmask_b32_e32 v5, 0, v3, vcc_lo
	s_branch .LBB7_431
.LBB7_318:
	s_mov_b32 s40, -1
	s_mov_b32 s39, 0
	s_mov_b32 s0, s36
.LBB7_319:
	s_and_b32 vcc_lo, exec_lo, s40
	s_cbranch_vccz .LBB7_324
; %bb.320:
	s_cmp_eq_u32 s23, 44
	s_mov_b32 s0, -1
	s_cbranch_scc0 .LBB7_324
; %bb.321:
	v_cvt_f32_f64_e32 v2, v[0:1]
	v_mov_b32_e32 v3, 0xff
	s_mov_b32 s39, exec_lo
	v_bfe_u32 v6, v2, 23, 8
	v_cmpx_ne_u32_e32 0xff, v6
	s_cbranch_execz .LBB7_323
; %bb.322:
	v_and_b32_e32 v3, 0x400000, v2
	v_and_or_b32 v6, 0x3fffff, v2, v6
	v_lshrrev_b32_e32 v2, 23, v2
	v_cmp_ne_u32_e32 vcc_lo, 0, v3
	v_cmp_ne_u32_e64 s0, 0, v6
	s_and_b32 s0, vcc_lo, s0
	v_cndmask_b32_e64 v3, 0, 1, s0
	v_add_nc_u32_e32 v3, v2, v3
.LBB7_323:
	s_or_b32 exec_lo, exec_lo, s39
	s_mov_b32 s39, -1
	s_mov_b32 s0, 0
	global_store_byte v[4:5], v3, off
.LBB7_324:
	s_mov_b32 s40, 0
.LBB7_325:
	s_and_b32 vcc_lo, exec_lo, s40
	s_cbranch_vccz .LBB7_328
; %bb.326:
	s_cmp_eq_u32 s23, 29
	s_mov_b32 s0, -1
	s_cbranch_scc0 .LBB7_328
; %bb.327:
	v_trunc_f64_e32 v[2:3], v[0:1]
	s_mov_b32 s39, -1
	s_mov_b32 s0, 0
	s_mov_b32 s40, 0
	v_ldexp_f64 v[6:7], v[2:3], 0xffffffe0
	v_floor_f64_e32 v[6:7], v[6:7]
	v_fma_f64 v[2:3], 0xc1f00000, v[6:7], v[2:3]
	v_cvt_u32_f64_e32 v7, v[6:7]
	v_cvt_u32_f64_e32 v6, v[2:3]
	global_store_dwordx2 v[4:5], v[6:7], off
	s_branch .LBB7_329
.LBB7_328:
	s_mov_b32 s40, 0
.LBB7_329:
	s_and_b32 vcc_lo, exec_lo, s40
	s_cbranch_vccz .LBB7_345
; %bb.330:
	s_cmp_lt_i32 s23, 27
	s_mov_b32 s39, -1
	s_cbranch_scc1 .LBB7_336
; %bb.331:
	v_cvt_u32_f64_e32 v2, v[0:1]
	s_cmp_gt_i32 s23, 27
	s_cbranch_scc0 .LBB7_333
; %bb.332:
	s_mov_b32 s39, 0
	global_store_dword v[4:5], v2, off
.LBB7_333:
	s_andn2_b32 vcc_lo, exec_lo, s39
	s_cbranch_vccnz .LBB7_335
; %bb.334:
	global_store_short v[4:5], v2, off
.LBB7_335:
	s_mov_b32 s39, 0
.LBB7_336:
	s_andn2_b32 vcc_lo, exec_lo, s39
	s_cbranch_vccnz .LBB7_344
; %bb.337:
	v_cvt_f32_f64_e32 v2, v[0:1]
	v_mov_b32_e32 v6, 0x80
	s_mov_b32 s39, exec_lo
	v_and_b32_e32 v3, 0x7fffffff, v2
	v_cmpx_gt_u32_e32 0x43800000, v3
	s_cbranch_execz .LBB7_343
; %bb.338:
	v_cmp_lt_u32_e32 vcc_lo, 0x3bffffff, v3
	s_mov_b32 s40, 0
                                        ; implicit-def: $vgpr3
	s_and_saveexec_b32 s42, vcc_lo
	s_xor_b32 s42, exec_lo, s42
	s_cbranch_execz .LBB7_571
; %bb.339:
	v_bfe_u32 v3, v2, 20, 1
	s_mov_b32 s40, exec_lo
	v_add3_u32 v3, v2, v3, 0x487ffff
	v_lshrrev_b32_e32 v3, 20, v3
	s_andn2_saveexec_b32 s42, s42
	s_cbranch_execnz .LBB7_572
.LBB7_340:
	s_or_b32 exec_lo, exec_lo, s42
	v_mov_b32_e32 v6, 0
	s_and_saveexec_b32 s42, s40
.LBB7_341:
	v_lshrrev_b32_e32 v2, 24, v2
	v_and_or_b32 v6, 0x80, v2, v3
.LBB7_342:
	s_or_b32 exec_lo, exec_lo, s42
.LBB7_343:
	s_or_b32 exec_lo, exec_lo, s39
	global_store_byte v[4:5], v6, off
.LBB7_344:
	s_mov_b32 s39, -1
.LBB7_345:
	s_mov_b32 s40, 0
.LBB7_346:
	s_and_b32 vcc_lo, exec_lo, s40
	s_cbranch_vccz .LBB7_387
; %bb.347:
	s_cmp_gt_i32 s23, 22
	s_mov_b32 s40, -1
	s_cbranch_scc0 .LBB7_379
; %bb.348:
	s_cmp_lt_i32 s23, 24
	s_mov_b32 s39, -1
	s_cbranch_scc1 .LBB7_368
; %bb.349:
	s_cmp_gt_i32 s23, 24
	s_cbranch_scc0 .LBB7_357
; %bb.350:
	v_cvt_f32_f64_e32 v2, v[0:1]
	v_mov_b32_e32 v6, 0x80
	s_mov_b32 s39, exec_lo
	v_and_b32_e32 v3, 0x7fffffff, v2
	v_cmpx_gt_u32_e32 0x47800000, v3
	s_cbranch_execz .LBB7_356
; %bb.351:
	v_cmp_lt_u32_e32 vcc_lo, 0x37ffffff, v3
	s_mov_b32 s40, 0
                                        ; implicit-def: $vgpr3
	s_and_saveexec_b32 s42, vcc_lo
	s_xor_b32 s42, exec_lo, s42
	s_cbranch_execz .LBB7_574
; %bb.352:
	v_bfe_u32 v3, v2, 21, 1
	s_mov_b32 s40, exec_lo
	v_add3_u32 v3, v2, v3, 0x88fffff
	v_lshrrev_b32_e32 v3, 21, v3
	s_andn2_saveexec_b32 s42, s42
	s_cbranch_execnz .LBB7_575
.LBB7_353:
	s_or_b32 exec_lo, exec_lo, s42
	v_mov_b32_e32 v6, 0
	s_and_saveexec_b32 s42, s40
.LBB7_354:
	v_lshrrev_b32_e32 v2, 24, v2
	v_and_or_b32 v6, 0x80, v2, v3
.LBB7_355:
	s_or_b32 exec_lo, exec_lo, s42
.LBB7_356:
	s_or_b32 exec_lo, exec_lo, s39
	s_mov_b32 s39, 0
	global_store_byte v[4:5], v6, off
.LBB7_357:
	s_and_b32 vcc_lo, exec_lo, s39
	s_cbranch_vccz .LBB7_367
; %bb.358:
	v_cvt_f32_f64_e32 v2, v[0:1]
	s_mov_b32 s39, exec_lo
                                        ; implicit-def: $vgpr3
	v_and_b32_e32 v6, 0x7fffffff, v2
	v_cmpx_gt_u32_e32 0x43f00000, v6
	s_xor_b32 s39, exec_lo, s39
	s_cbranch_execz .LBB7_364
; %bb.359:
	s_mov_b32 s40, exec_lo
                                        ; implicit-def: $vgpr3
	v_cmpx_lt_u32_e32 0x3c7fffff, v6
	s_xor_b32 s40, exec_lo, s40
; %bb.360:
	v_bfe_u32 v3, v2, 20, 1
	v_add3_u32 v3, v2, v3, 0x407ffff
	v_and_b32_e32 v6, 0xff00000, v3
	v_lshrrev_b32_e32 v3, 20, v3
	v_cmp_ne_u32_e32 vcc_lo, 0x7f00000, v6
	v_cndmask_b32_e32 v3, 0x7e, v3, vcc_lo
; %bb.361:
	s_andn2_saveexec_b32 s40, s40
; %bb.362:
	v_add_f32_e64 v3, 0x46800000, |v2|
; %bb.363:
	s_or_b32 exec_lo, exec_lo, s40
                                        ; implicit-def: $vgpr6
.LBB7_364:
	s_andn2_saveexec_b32 s39, s39
; %bb.365:
	v_mov_b32_e32 v3, 0x7f
	v_cmp_lt_u32_e32 vcc_lo, 0x7f800000, v6
	v_cndmask_b32_e32 v3, 0x7e, v3, vcc_lo
; %bb.366:
	s_or_b32 exec_lo, exec_lo, s39
	v_lshrrev_b32_e32 v2, 24, v2
	v_and_or_b32 v2, 0x80, v2, v3
	global_store_byte v[4:5], v2, off
.LBB7_367:
	s_mov_b32 s39, 0
.LBB7_368:
	s_andn2_b32 vcc_lo, exec_lo, s39
	s_cbranch_vccnz .LBB7_378
; %bb.369:
	v_cvt_f32_f64_e32 v2, v[0:1]
	s_mov_b32 s39, exec_lo
                                        ; implicit-def: $vgpr3
	v_and_b32_e32 v6, 0x7fffffff, v2
	v_cmpx_gt_u32_e32 0x47800000, v6
	s_xor_b32 s39, exec_lo, s39
	s_cbranch_execz .LBB7_375
; %bb.370:
	s_mov_b32 s40, exec_lo
                                        ; implicit-def: $vgpr3
	v_cmpx_lt_u32_e32 0x387fffff, v6
	s_xor_b32 s40, exec_lo, s40
; %bb.371:
	v_bfe_u32 v3, v2, 21, 1
	v_add3_u32 v3, v2, v3, 0x80fffff
	v_lshrrev_b32_e32 v3, 21, v3
; %bb.372:
	s_andn2_saveexec_b32 s40, s40
; %bb.373:
	v_add_f32_e64 v3, 0x43000000, |v2|
; %bb.374:
	s_or_b32 exec_lo, exec_lo, s40
                                        ; implicit-def: $vgpr6
.LBB7_375:
	s_andn2_saveexec_b32 s39, s39
; %bb.376:
	v_mov_b32_e32 v3, 0x7f
	v_cmp_lt_u32_e32 vcc_lo, 0x7f800000, v6
	v_cndmask_b32_e32 v3, 0x7c, v3, vcc_lo
; %bb.377:
	s_or_b32 exec_lo, exec_lo, s39
	v_lshrrev_b32_e32 v2, 24, v2
	v_and_or_b32 v2, 0x80, v2, v3
	global_store_byte v[4:5], v2, off
.LBB7_378:
	s_mov_b32 s40, 0
	s_mov_b32 s39, -1
.LBB7_379:
	s_andn2_b32 vcc_lo, exec_lo, s40
	s_cbranch_vccnz .LBB7_387
; %bb.380:
	s_cmp_gt_i32 s23, 14
	s_mov_b32 s40, -1
	s_cbranch_scc0 .LBB7_384
; %bb.381:
	s_cmp_eq_u32 s23, 15
	s_mov_b32 s0, -1
	s_cbranch_scc0 .LBB7_383
; %bb.382:
	v_cvt_f32_f64_e32 v2, v[0:1]
	s_mov_b32 s39, -1
	s_mov_b32 s0, 0
	v_bfe_u32 v3, v2, 16, 1
	v_cmp_o_f32_e32 vcc_lo, v2, v2
	v_add3_u32 v2, v2, v3, 0x7fff
	v_mov_b32_e32 v3, 0x7fc0
	v_cndmask_b32_sdwa v2, v3, v2, vcc_lo dst_sel:DWORD dst_unused:UNUSED_PAD src0_sel:DWORD src1_sel:WORD_1
	global_store_short v[4:5], v2, off
.LBB7_383:
	s_mov_b32 s40, 0
.LBB7_384:
	s_and_b32 vcc_lo, exec_lo, s40
	s_cbranch_vccz .LBB7_387
; %bb.385:
	s_cmp_eq_u32 s23, 11
	s_mov_b32 s0, -1
	s_cbranch_scc0 .LBB7_387
; %bb.386:
	v_cmp_neq_f64_e32 vcc_lo, 0, v[0:1]
	s_mov_b32 s39, -1
	s_mov_b32 s0, 0
	v_cndmask_b32_e64 v2, 0, 1, vcc_lo
	global_store_byte v[4:5], v2, off
.LBB7_387:
	s_mov_b32 s23, 0
.LBB7_388:
	s_and_b32 vcc_lo, exec_lo, s23
	s_cbranch_vccz .LBB7_427
; %bb.389:
	s_and_b32 s22, 0xffff, s22
	s_mov_b32 s23, -1
	s_cmp_lt_i32 s22, 5
	s_cbranch_scc1 .LBB7_410
; %bb.390:
	s_cmp_lt_i32 s22, 8
	s_cbranch_scc1 .LBB7_400
; %bb.391:
	;; [unrolled: 3-line block ×3, first 2 shown]
	s_cmp_gt_i32 s22, 9
	s_cbranch_scc0 .LBB7_394
; %bb.393:
	v_mov_b32_e32 v2, 0
	s_mov_b32 s23, 0
	v_mov_b32_e32 v3, v2
	global_store_dwordx4 v[4:5], v[0:3], off
.LBB7_394:
	s_andn2_b32 vcc_lo, exec_lo, s23
	s_cbranch_vccnz .LBB7_396
; %bb.395:
	v_cvt_f32_f64_e32 v2, v[0:1]
	v_mov_b32_e32 v3, 0
	global_store_dwordx2 v[4:5], v[2:3], off
.LBB7_396:
	s_mov_b32 s23, 0
.LBB7_397:
	s_andn2_b32 vcc_lo, exec_lo, s23
	s_cbranch_vccnz .LBB7_399
; %bb.398:
	v_and_or_b32 v2, 0x1ff, v1, v0
	v_lshrrev_b32_e32 v3, 8, v1
	v_bfe_u32 v6, v1, 20, 11
	v_cmp_ne_u32_e32 vcc_lo, 0, v2
	v_sub_nc_u32_e32 v7, 0x3f1, v6
	v_add_nc_u32_e32 v6, 0xfffffc10, v6
	v_cndmask_b32_e64 v2, 0, 1, vcc_lo
	v_and_or_b32 v2, 0xffe, v3, v2
	v_med3_i32 v3, v7, 0, 13
	v_or_b32_e32 v7, 0x1000, v2
	v_lshrrev_b32_e32 v8, v3, v7
	v_lshlrev_b32_e32 v3, v3, v8
	v_cmp_ne_u32_e32 vcc_lo, v3, v7
	v_lshl_or_b32 v7, v6, 12, v2
	v_cndmask_b32_e64 v3, 0, 1, vcc_lo
	v_cmp_gt_i32_e32 vcc_lo, 1, v6
	v_or_b32_e32 v3, v8, v3
	v_cndmask_b32_e32 v3, v7, v3, vcc_lo
	v_and_b32_e32 v7, 7, v3
	v_lshrrev_b32_e32 v3, 2, v3
	v_cmp_lt_i32_e32 vcc_lo, 5, v7
	v_cndmask_b32_e64 v8, 0, 1, vcc_lo
	v_cmp_eq_u32_e32 vcc_lo, 3, v7
	v_cndmask_b32_e64 v7, 0, 1, vcc_lo
	v_cmp_ne_u32_e32 vcc_lo, 0, v2
	v_or_b32_e32 v7, v7, v8
	v_mov_b32_e32 v8, 0x7e00
	v_add_nc_u32_e32 v3, v3, v7
	v_cndmask_b32_e32 v2, 0x7c00, v8, vcc_lo
	v_cmp_gt_i32_e32 vcc_lo, 31, v6
	v_cndmask_b32_e32 v3, 0x7c00, v3, vcc_lo
	v_cmp_eq_u32_e32 vcc_lo, 0x40f, v6
	v_cndmask_b32_e32 v2, v3, v2, vcc_lo
	v_lshrrev_b32_e32 v3, 16, v1
	v_and_or_b32 v2, 0x8000, v3, v2
	v_and_b32_e32 v2, 0xffff, v2
	global_store_dword v[4:5], v2, off
.LBB7_399:
	s_mov_b32 s23, 0
.LBB7_400:
	s_andn2_b32 vcc_lo, exec_lo, s23
	s_cbranch_vccnz .LBB7_409
; %bb.401:
	s_cmp_lt_i32 s22, 6
	s_mov_b32 s23, -1
	s_cbranch_scc1 .LBB7_407
; %bb.402:
	s_cmp_gt_i32 s22, 6
	s_cbranch_scc0 .LBB7_404
; %bb.403:
	s_mov_b32 s23, 0
	global_store_dwordx2 v[4:5], v[0:1], off
.LBB7_404:
	s_andn2_b32 vcc_lo, exec_lo, s23
	s_cbranch_vccnz .LBB7_406
; %bb.405:
	v_cvt_f32_f64_e32 v2, v[0:1]
	global_store_dword v[4:5], v2, off
.LBB7_406:
	s_mov_b32 s23, 0
.LBB7_407:
	s_andn2_b32 vcc_lo, exec_lo, s23
	s_cbranch_vccnz .LBB7_409
; %bb.408:
	v_and_or_b32 v2, 0x1ff, v1, v0
	v_lshrrev_b32_e32 v3, 8, v1
	v_bfe_u32 v6, v1, 20, 11
	v_cmp_ne_u32_e32 vcc_lo, 0, v2
	v_sub_nc_u32_e32 v7, 0x3f1, v6
	v_add_nc_u32_e32 v6, 0xfffffc10, v6
	v_cndmask_b32_e64 v2, 0, 1, vcc_lo
	v_and_or_b32 v2, 0xffe, v3, v2
	v_med3_i32 v3, v7, 0, 13
	v_or_b32_e32 v7, 0x1000, v2
	v_lshrrev_b32_e32 v8, v3, v7
	v_lshlrev_b32_e32 v3, v3, v8
	v_cmp_ne_u32_e32 vcc_lo, v3, v7
	v_lshl_or_b32 v7, v6, 12, v2
	v_cndmask_b32_e64 v3, 0, 1, vcc_lo
	v_cmp_gt_i32_e32 vcc_lo, 1, v6
	v_or_b32_e32 v3, v8, v3
	v_cndmask_b32_e32 v3, v7, v3, vcc_lo
	v_and_b32_e32 v7, 7, v3
	v_lshrrev_b32_e32 v3, 2, v3
	v_cmp_lt_i32_e32 vcc_lo, 5, v7
	v_cndmask_b32_e64 v8, 0, 1, vcc_lo
	v_cmp_eq_u32_e32 vcc_lo, 3, v7
	v_cndmask_b32_e64 v7, 0, 1, vcc_lo
	v_cmp_ne_u32_e32 vcc_lo, 0, v2
	v_or_b32_e32 v7, v7, v8
	v_mov_b32_e32 v8, 0x7e00
	v_add_nc_u32_e32 v3, v3, v7
	v_cndmask_b32_e32 v2, 0x7c00, v8, vcc_lo
	v_cmp_gt_i32_e32 vcc_lo, 31, v6
	v_cndmask_b32_e32 v3, 0x7c00, v3, vcc_lo
	v_cmp_eq_u32_e32 vcc_lo, 0x40f, v6
	v_cndmask_b32_e32 v2, v3, v2, vcc_lo
	v_lshrrev_b32_e32 v3, 16, v1
	v_and_or_b32 v2, 0x8000, v3, v2
	global_store_short v[4:5], v2, off
.LBB7_409:
	s_mov_b32 s23, 0
.LBB7_410:
	s_andn2_b32 vcc_lo, exec_lo, s23
	s_cbranch_vccnz .LBB7_426
; %bb.411:
	s_cmp_lt_i32 s22, 2
	s_mov_b32 s23, -1
	s_cbranch_scc1 .LBB7_421
; %bb.412:
	s_cmp_lt_i32 s22, 3
	s_cbranch_scc1 .LBB7_418
; %bb.413:
	s_cmp_gt_i32 s22, 3
	s_cbranch_scc0 .LBB7_415
; %bb.414:
	v_trunc_f64_e32 v[2:3], v[0:1]
	s_mov_b32 s23, 0
	v_ldexp_f64 v[6:7], v[2:3], 0xffffffe0
	v_floor_f64_e32 v[6:7], v[6:7]
	v_fma_f64 v[2:3], 0xc1f00000, v[6:7], v[2:3]
	v_cvt_i32_f64_e32 v7, v[6:7]
	v_cvt_u32_f64_e32 v6, v[2:3]
	global_store_dwordx2 v[4:5], v[6:7], off
.LBB7_415:
	s_andn2_b32 vcc_lo, exec_lo, s23
	s_cbranch_vccnz .LBB7_417
; %bb.416:
	v_cvt_i32_f64_e32 v2, v[0:1]
	global_store_dword v[4:5], v2, off
.LBB7_417:
	s_mov_b32 s23, 0
.LBB7_418:
	s_andn2_b32 vcc_lo, exec_lo, s23
	s_cbranch_vccnz .LBB7_420
; %bb.419:
	v_cvt_i32_f64_e32 v2, v[0:1]
	global_store_short v[4:5], v2, off
.LBB7_420:
	s_mov_b32 s23, 0
.LBB7_421:
	s_andn2_b32 vcc_lo, exec_lo, s23
	s_cbranch_vccnz .LBB7_426
; %bb.422:
	s_cmp_gt_i32 s22, 0
	s_mov_b32 s22, -1
	s_cbranch_scc0 .LBB7_424
; %bb.423:
	v_cvt_i32_f64_e32 v2, v[0:1]
	s_mov_b32 s22, 0
	global_store_byte v[4:5], v2, off
.LBB7_424:
	s_andn2_b32 vcc_lo, exec_lo, s22
	s_cbranch_vccnz .LBB7_426
; %bb.425:
	v_trunc_f64_e32 v[0:1], v[0:1]
	v_ldexp_f64 v[2:3], v[0:1], 0xffffffe0
	v_floor_f64_e32 v[2:3], v[2:3]
	v_fma_f64 v[0:1], 0xc1f00000, v[2:3], v[0:1]
	v_cvt_u32_f64_e32 v0, v[0:1]
	global_store_byte v[4:5], v0, off
.LBB7_426:
	s_mov_b32 s39, -1
.LBB7_427:
	s_andn2_b32 vcc_lo, exec_lo, s39
	s_cbranch_vccnz .LBB7_429
; %bb.428:
	v_add_nc_u32_e32 v10, 0x80, v10
	s_mov_b32 s22, -1
	s_branch .LBB7_542
.LBB7_429:
	s_mov_b32 s22, 0
	s_branch .LBB7_541
.LBB7_430:
	s_mov_b32 s1, -1
                                        ; implicit-def: $vgpr5_vgpr6
.LBB7_431:
	s_mov_b32 s23, 0
.LBB7_432:
	s_and_b32 vcc_lo, exec_lo, s23
	s_cbranch_vccz .LBB7_436
; %bb.433:
	s_cmp_eq_u32 s0, 29
	s_cbranch_scc0 .LBB7_435
; %bb.434:
	global_load_dwordx2 v[3:4], v[1:2], off
	s_mov_b32 s22, -1
	s_mov_b32 s1, 0
	s_mov_b32 s23, 0
	s_waitcnt vmcnt(0)
	v_cvt_f64_u32_e32 v[4:5], v4
	v_cvt_f64_u32_e32 v[6:7], v3
	v_ldexp_f64 v[4:5], v[4:5], 32
	v_add_f64 v[5:6], v[4:5], v[6:7]
	s_branch .LBB7_437
.LBB7_435:
	s_mov_b32 s1, -1
                                        ; implicit-def: $vgpr5_vgpr6
.LBB7_436:
	s_mov_b32 s23, 0
.LBB7_437:
	s_and_b32 vcc_lo, exec_lo, s23
	s_cbranch_vccz .LBB7_457
; %bb.438:
	s_cmp_lt_i32 s0, 27
	s_cbranch_scc1 .LBB7_441
; %bb.439:
	s_cmp_gt_i32 s0, 27
	s_cbranch_scc0 .LBB7_442
; %bb.440:
	global_load_dword v3, v[1:2], off
	s_mov_b32 s22, 0
	s_waitcnt vmcnt(0)
	v_cvt_f64_u32_e32 v[5:6], v3
	s_branch .LBB7_443
.LBB7_441:
	s_mov_b32 s22, -1
                                        ; implicit-def: $vgpr5_vgpr6
	s_branch .LBB7_446
.LBB7_442:
	s_mov_b32 s22, -1
                                        ; implicit-def: $vgpr5_vgpr6
.LBB7_443:
	s_andn2_b32 vcc_lo, exec_lo, s22
	s_cbranch_vccnz .LBB7_445
; %bb.444:
	global_load_ushort v3, v[1:2], off
	s_waitcnt vmcnt(0)
	v_cvt_f64_u32_e32 v[5:6], v3
.LBB7_445:
	s_mov_b32 s22, 0
.LBB7_446:
	s_andn2_b32 vcc_lo, exec_lo, s22
	s_cbranch_vccnz .LBB7_456
; %bb.447:
	global_load_ubyte v3, v[1:2], off
	s_mov_b32 s22, 0
	s_mov_b32 s23, exec_lo
	s_waitcnt vmcnt(0)
	v_cmpx_lt_i16_e32 0x7f, v3
	s_xor_b32 s23, exec_lo, s23
	s_cbranch_execz .LBB7_451
; %bb.448:
	s_mov_b32 s22, -1
	s_mov_b32 s39, exec_lo
	v_cmpx_eq_u16_e32 0x80, v3
; %bb.449:
	s_xor_b32 s22, exec_lo, -1
; %bb.450:
	s_or_b32 exec_lo, exec_lo, s39
	s_and_b32 s22, s22, exec_lo
.LBB7_451:
	s_or_saveexec_b32 s23, s23
	v_bfrev_b32_e32 v5, 4
	v_mov_b32_e32 v6, 0x7ff80000
	s_xor_b32 exec_lo, exec_lo, s23
; %bb.452:
	v_cmp_ne_u16_e32 vcc_lo, 0, v3
	v_mov_b32_e32 v5, 0
	v_mov_b32_e32 v6, 0
	s_andn2_b32 s22, s22, exec_lo
	s_and_b32 s39, vcc_lo, exec_lo
	s_or_b32 s22, s22, s39
; %bb.453:
	s_or_b32 exec_lo, exec_lo, s23
	s_and_saveexec_b32 s23, s22
	s_cbranch_execz .LBB7_455
; %bb.454:
	v_and_b32_e32 v4, 0xffff, v3
	v_lshlrev_b32_e32 v3, 24, v3
	v_and_b32_e32 v5, 7, v4
	v_bfe_u32 v8, v4, 3, 4
	v_and_b32_e32 v3, 0x80000000, v3
	v_ffbh_u32_e32 v6, v5
	v_cmp_eq_u32_e32 vcc_lo, 0, v8
	v_min_u32_e32 v6, 32, v6
	v_subrev_nc_u32_e32 v7, 28, v6
	v_sub_nc_u32_e32 v6, 29, v6
	v_lshlrev_b32_e32 v4, v7, v4
	v_cndmask_b32_e32 v6, v8, v6, vcc_lo
	v_and_b32_e32 v4, 7, v4
	v_cndmask_b32_e32 v4, v5, v4, vcc_lo
	v_lshl_add_u32 v5, v6, 23, 0x3b800000
	v_lshlrev_b32_e32 v4, 20, v4
	v_or3_b32 v3, v3, v5, v4
	v_cvt_f64_f32_e32 v[5:6], v3
.LBB7_455:
	s_or_b32 exec_lo, exec_lo, s23
.LBB7_456:
	s_mov_b32 s22, -1
.LBB7_457:
	s_mov_b32 s23, 0
.LBB7_458:
	s_and_b32 vcc_lo, exec_lo, s23
	s_cbranch_vccz .LBB7_491
; %bb.459:
	s_cmp_gt_i32 s0, 22
	s_cbranch_scc0 .LBB7_471
; %bb.460:
	s_cmp_lt_i32 s0, 24
	s_cbranch_scc1 .LBB7_472
; %bb.461:
	s_cmp_gt_i32 s0, 24
	s_cbranch_scc0 .LBB7_473
; %bb.462:
	global_load_ubyte v3, v[1:2], off
	s_mov_b32 s22, 0
	s_mov_b32 s23, exec_lo
	s_waitcnt vmcnt(0)
	v_cmpx_lt_i16_e32 0x7f, v3
	s_xor_b32 s23, exec_lo, s23
	s_cbranch_execz .LBB7_466
; %bb.463:
	s_mov_b32 s22, -1
	s_mov_b32 s39, exec_lo
	v_cmpx_eq_u16_e32 0x80, v3
; %bb.464:
	s_xor_b32 s22, exec_lo, -1
; %bb.465:
	s_or_b32 exec_lo, exec_lo, s39
	s_and_b32 s22, s22, exec_lo
.LBB7_466:
	s_or_saveexec_b32 s23, s23
	v_bfrev_b32_e32 v5, 4
	v_mov_b32_e32 v6, 0x7ff80000
	s_xor_b32 exec_lo, exec_lo, s23
; %bb.467:
	v_cmp_ne_u16_e32 vcc_lo, 0, v3
	v_mov_b32_e32 v5, 0
	v_mov_b32_e32 v6, 0
	s_andn2_b32 s22, s22, exec_lo
	s_and_b32 s39, vcc_lo, exec_lo
	s_or_b32 s22, s22, s39
; %bb.468:
	s_or_b32 exec_lo, exec_lo, s23
	s_and_saveexec_b32 s23, s22
	s_cbranch_execz .LBB7_470
; %bb.469:
	v_and_b32_e32 v4, 0xffff, v3
	v_lshlrev_b32_e32 v3, 24, v3
	v_and_b32_e32 v5, 3, v4
	v_bfe_u32 v8, v4, 2, 5
	v_and_b32_e32 v3, 0x80000000, v3
	v_ffbh_u32_e32 v6, v5
	v_cmp_eq_u32_e32 vcc_lo, 0, v8
	v_min_u32_e32 v6, 32, v6
	v_subrev_nc_u32_e32 v7, 29, v6
	v_sub_nc_u32_e32 v6, 30, v6
	v_lshlrev_b32_e32 v4, v7, v4
	v_cndmask_b32_e32 v6, v8, v6, vcc_lo
	v_and_b32_e32 v4, 3, v4
	v_cndmask_b32_e32 v4, v5, v4, vcc_lo
	v_lshl_add_u32 v5, v6, 23, 0x37800000
	v_lshlrev_b32_e32 v4, 21, v4
	v_or3_b32 v3, v3, v5, v4
	v_cvt_f64_f32_e32 v[5:6], v3
.LBB7_470:
	s_or_b32 exec_lo, exec_lo, s23
	s_mov_b32 s22, 0
	s_branch .LBB7_474
.LBB7_471:
	s_mov_b32 s23, -1
                                        ; implicit-def: $vgpr5_vgpr6
	s_branch .LBB7_480
.LBB7_472:
	s_mov_b32 s22, -1
                                        ; implicit-def: $vgpr5_vgpr6
	s_branch .LBB7_477
.LBB7_473:
	s_mov_b32 s22, -1
                                        ; implicit-def: $vgpr5_vgpr6
.LBB7_474:
	s_and_b32 vcc_lo, exec_lo, s22
	s_cbranch_vccz .LBB7_476
; %bb.475:
	global_load_ubyte v3, v[1:2], off
	s_waitcnt vmcnt(0)
	v_lshlrev_b32_e32 v3, 24, v3
	v_and_b32_e32 v4, 0x7f000000, v3
	v_ffbh_u32_e32 v5, v4
	v_add_nc_u32_e32 v7, 0x1000000, v4
	v_cmp_ne_u32_e32 vcc_lo, 0, v4
	v_min_u32_e32 v5, 32, v5
	v_sub_nc_u32_e64 v5, v5, 4 clamp
	v_lshlrev_b32_e32 v6, v5, v4
	v_lshlrev_b32_e32 v5, 23, v5
	v_lshrrev_b32_e32 v6, 4, v6
	v_sub_nc_u32_e32 v5, v6, v5
	v_ashrrev_i32_e32 v6, 8, v7
	v_add_nc_u32_e32 v5, 0x3c000000, v5
	v_and_or_b32 v5, 0x7f800000, v6, v5
	v_cndmask_b32_e32 v4, 0, v5, vcc_lo
	v_and_or_b32 v3, 0x80000000, v3, v4
	v_cvt_f64_f32_e32 v[5:6], v3
.LBB7_476:
	s_mov_b32 s22, 0
.LBB7_477:
	s_andn2_b32 vcc_lo, exec_lo, s22
	s_cbranch_vccnz .LBB7_479
; %bb.478:
	global_load_ubyte v3, v[1:2], off
	s_waitcnt vmcnt(0)
	v_lshlrev_b32_e32 v4, 25, v3
	v_lshlrev_b16 v3, 8, v3
	v_lshrrev_b32_e32 v5, 4, v4
	v_and_or_b32 v6, 0x7f00, v3, 0.5
	v_cmp_gt_u32_e32 vcc_lo, 0x8000000, v4
	v_bfe_i32 v3, v3, 0, 16
	v_or_b32_e32 v5, 0x70000000, v5
	v_add_f32_e32 v6, -0.5, v6
	v_mul_f32_e32 v5, 0x7800000, v5
	v_cndmask_b32_e32 v4, v5, v6, vcc_lo
	v_and_or_b32 v3, 0x80000000, v3, v4
	v_cvt_f64_f32_e32 v[5:6], v3
.LBB7_479:
	s_mov_b32 s23, 0
	s_mov_b32 s22, -1
.LBB7_480:
	s_andn2_b32 vcc_lo, exec_lo, s23
	s_cbranch_vccnz .LBB7_491
; %bb.481:
	s_cmp_gt_i32 s0, 14
	s_cbranch_scc0 .LBB7_484
; %bb.482:
	s_cmp_eq_u32 s0, 15
	s_cbranch_scc0 .LBB7_485
; %bb.483:
	global_load_ushort v3, v[1:2], off
	s_mov_b32 s22, -1
	s_mov_b32 s1, 0
	s_waitcnt vmcnt(0)
	v_lshlrev_b32_e32 v3, 16, v3
	v_cvt_f64_f32_e32 v[5:6], v3
	s_branch .LBB7_486
.LBB7_484:
	s_mov_b32 s23, -1
                                        ; implicit-def: $vgpr5_vgpr6
	s_branch .LBB7_487
.LBB7_485:
	s_mov_b32 s1, -1
                                        ; implicit-def: $vgpr5_vgpr6
.LBB7_486:
	s_mov_b32 s23, 0
.LBB7_487:
	s_and_b32 vcc_lo, exec_lo, s23
	s_cbranch_vccz .LBB7_491
; %bb.488:
	s_cmp_eq_u32 s0, 11
	s_cbranch_scc0 .LBB7_490
; %bb.489:
	global_load_ubyte v3, v[1:2], off
	s_waitcnt vmcnt(1)
	v_mov_b32_e32 v5, 0
	s_mov_b32 s1, 0
	s_mov_b32 s22, -1
	s_waitcnt vmcnt(0)
	v_cmp_ne_u16_e32 vcc_lo, 0, v3
	v_cndmask_b32_e64 v6, 0, 0x3ff00000, vcc_lo
	s_branch .LBB7_491
.LBB7_490:
	s_mov_b32 s1, -1
                                        ; implicit-def: $vgpr5_vgpr6
.LBB7_491:
	s_branch .LBB7_293
.LBB7_492:
	s_cmp_lt_i32 s0, 5
	s_cbranch_scc1 .LBB7_497
; %bb.493:
	s_cmp_lt_i32 s0, 8
	s_cbranch_scc1 .LBB7_498
; %bb.494:
	;; [unrolled: 3-line block ×3, first 2 shown]
	s_cmp_gt_i32 s0, 9
	s_cbranch_scc0 .LBB7_500
; %bb.496:
	global_load_dwordx2 v[5:6], v[1:2], off
	s_mov_b32 s22, 0
	s_branch .LBB7_501
.LBB7_497:
	s_mov_b32 s22, -1
                                        ; implicit-def: $vgpr5_vgpr6
	s_branch .LBB7_519
.LBB7_498:
	s_mov_b32 s22, -1
                                        ; implicit-def: $vgpr5_vgpr6
	s_branch .LBB7_507
.LBB7_499:
	s_mov_b32 s22, -1
                                        ; implicit-def: $vgpr5_vgpr6
	s_branch .LBB7_504
.LBB7_500:
	s_mov_b32 s22, -1
                                        ; implicit-def: $vgpr5_vgpr6
.LBB7_501:
	s_andn2_b32 vcc_lo, exec_lo, s22
	s_cbranch_vccnz .LBB7_503
; %bb.502:
	global_load_dword v3, v[1:2], off
	s_waitcnt vmcnt(0)
	v_cvt_f64_f32_e32 v[5:6], v3
.LBB7_503:
	s_mov_b32 s22, 0
.LBB7_504:
	s_andn2_b32 vcc_lo, exec_lo, s22
	s_cbranch_vccnz .LBB7_506
; %bb.505:
	global_load_dword v3, v[1:2], off
	s_waitcnt vmcnt(0)
	v_cvt_f32_f16_e32 v3, v3
	v_cvt_f64_f32_e32 v[5:6], v3
.LBB7_506:
	s_mov_b32 s22, 0
.LBB7_507:
	s_andn2_b32 vcc_lo, exec_lo, s22
	s_cbranch_vccnz .LBB7_518
; %bb.508:
	s_cmp_lt_i32 s0, 6
	s_cbranch_scc1 .LBB7_511
; %bb.509:
	s_cmp_gt_i32 s0, 6
	s_cbranch_scc0 .LBB7_512
; %bb.510:
	global_load_dwordx2 v[5:6], v[1:2], off
	s_mov_b32 s22, 0
	s_branch .LBB7_513
.LBB7_511:
	s_mov_b32 s22, -1
                                        ; implicit-def: $vgpr5_vgpr6
	s_branch .LBB7_516
.LBB7_512:
	s_mov_b32 s22, -1
                                        ; implicit-def: $vgpr5_vgpr6
.LBB7_513:
	s_andn2_b32 vcc_lo, exec_lo, s22
	s_cbranch_vccnz .LBB7_515
; %bb.514:
	global_load_dword v3, v[1:2], off
	s_waitcnt vmcnt(0)
	v_cvt_f64_f32_e32 v[5:6], v3
.LBB7_515:
	s_mov_b32 s22, 0
.LBB7_516:
	s_andn2_b32 vcc_lo, exec_lo, s22
	s_cbranch_vccnz .LBB7_518
; %bb.517:
	global_load_ushort v3, v[1:2], off
	s_waitcnt vmcnt(0)
	v_cvt_f32_f16_e32 v3, v3
	v_cvt_f64_f32_e32 v[5:6], v3
.LBB7_518:
	s_mov_b32 s22, 0
.LBB7_519:
	s_andn2_b32 vcc_lo, exec_lo, s22
	s_cbranch_vccnz .LBB7_539
; %bb.520:
	s_cmp_lt_i32 s0, 2
	s_cbranch_scc1 .LBB7_524
; %bb.521:
	s_cmp_lt_i32 s0, 3
	s_cbranch_scc1 .LBB7_525
; %bb.522:
	s_cmp_gt_i32 s0, 3
	s_cbranch_scc0 .LBB7_526
; %bb.523:
	global_load_dwordx2 v[3:4], v[1:2], off
	s_mov_b32 s22, 0
	s_waitcnt vmcnt(0)
	v_cvt_f64_i32_e32 v[4:5], v4
	v_cvt_f64_u32_e32 v[6:7], v3
	v_ldexp_f64 v[4:5], v[4:5], 32
	v_add_f64 v[5:6], v[4:5], v[6:7]
	s_branch .LBB7_527
.LBB7_524:
	s_mov_b32 s22, -1
                                        ; implicit-def: $vgpr5_vgpr6
	s_branch .LBB7_533
.LBB7_525:
	s_mov_b32 s22, -1
                                        ; implicit-def: $vgpr5_vgpr6
	s_branch .LBB7_530
.LBB7_526:
	s_mov_b32 s22, -1
                                        ; implicit-def: $vgpr5_vgpr6
.LBB7_527:
	s_andn2_b32 vcc_lo, exec_lo, s22
	s_cbranch_vccnz .LBB7_529
; %bb.528:
	global_load_dword v3, v[1:2], off
	s_waitcnt vmcnt(0)
	v_cvt_f64_i32_e32 v[5:6], v3
.LBB7_529:
	s_mov_b32 s22, 0
.LBB7_530:
	s_andn2_b32 vcc_lo, exec_lo, s22
	s_cbranch_vccnz .LBB7_532
; %bb.531:
	global_load_sshort v3, v[1:2], off
	s_waitcnt vmcnt(0)
	v_cvt_f64_i32_e32 v[5:6], v3
.LBB7_532:
	s_mov_b32 s22, 0
.LBB7_533:
	s_andn2_b32 vcc_lo, exec_lo, s22
	s_cbranch_vccnz .LBB7_539
; %bb.534:
	s_cmp_gt_i32 s0, 0
	s_mov_b32 s0, 0
	s_cbranch_scc0 .LBB7_536
; %bb.535:
	global_load_sbyte v3, v[1:2], off
	s_waitcnt vmcnt(0)
	v_cvt_f64_i32_e32 v[5:6], v3
	s_branch .LBB7_537
.LBB7_536:
	s_mov_b32 s0, -1
                                        ; implicit-def: $vgpr5_vgpr6
.LBB7_537:
	s_andn2_b32 vcc_lo, exec_lo, s0
	s_cbranch_vccnz .LBB7_539
; %bb.538:
	global_load_ubyte v1, v[1:2], off
	s_waitcnt vmcnt(0)
	v_cvt_f64_u32_e32 v[5:6], v1
.LBB7_539:
	s_branch .LBB7_294
.LBB7_540:
	s_mov_b32 s22, 0
	s_mov_b32 s0, s36
.LBB7_541:
                                        ; implicit-def: $vgpr10
.LBB7_542:
	s_andn2_b32 s23, s36, exec_lo
	s_and_b32 s0, s0, exec_lo
	s_andn2_b32 s39, s37, exec_lo
	s_and_b32 s1, s1, exec_lo
	s_or_b32 s40, s23, s0
	s_or_b32 s39, s39, s1
	s_orn2_b32 s0, s22, exec_lo
.LBB7_543:
	s_or_b32 exec_lo, exec_lo, s41
	s_mov_b32 s1, 0
	s_mov_b32 s23, 0
	s_mov_b32 s42, 0
                                        ; implicit-def: $vgpr0_vgpr1
                                        ; implicit-def: $vgpr2
                                        ; implicit-def: $vgpr6_vgpr7
	s_and_saveexec_b32 s41, s0
	s_cbranch_execz .LBB7_920
; %bb.544:
	s_mov_b32 s44, -1
	s_mov_b32 s22, s39
	s_mov_b32 s23, s40
	s_mov_b32 s42, exec_lo
	v_cmpx_gt_i32_e64 s33, v10
	s_cbranch_execz .LBB7_819
; %bb.545:
	s_andn2_b32 vcc_lo, exec_lo, s27
	s_cbranch_vccnz .LBB7_550
; %bb.546:
	s_andn2_b32 vcc_lo, exec_lo, s34
	s_cbranch_vccnz .LBB7_551
; %bb.547:
	s_add_i32 s44, s35, 1
	s_cmp_eq_u32 s25, 2
	s_cbranch_scc1 .LBB7_552
; %bb.548:
	v_mov_b32_e32 v2, 0
	v_mov_b32_e32 v0, 0
	;; [unrolled: 1-line block ×3, first 2 shown]
	s_and_b32 s43, s44, 28
	s_mov_b32 s45, 0
	s_mov_b64 s[0:1], s[2:3]
	s_mov_b64 s[22:23], s[20:21]
.LBB7_549:                              ; =>This Inner Loop Header: Depth=1
	s_clause 0x1
	s_load_dwordx8 s[48:55], s[0:1], 0x4
	s_load_dwordx4 s[64:67], s[0:1], 0x24
	s_load_dwordx8 s[56:63], s[22:23], 0x0
	s_add_u32 s0, s0, 48
	s_addc_u32 s1, s1, 0
	s_add_i32 s45, s45, 4
	s_add_u32 s22, s22, 32
	s_addc_u32 s23, s23, 0
	s_cmp_eq_u32 s43, s45
	s_waitcnt lgkmcnt(0)
	v_mul_hi_u32 v3, s49, v1
	v_add_nc_u32_e32 v3, v1, v3
	v_lshrrev_b32_e32 v3, s50, v3
	v_mul_hi_u32 v4, s52, v3
	s_waitcnt vmcnt(0)
	v_mul_lo_u32 v6, v3, s48
	v_add_nc_u32_e32 v4, v3, v4
	v_sub_nc_u32_e32 v1, v1, v6
	v_lshrrev_b32_e32 v4, s53, v4
	v_mul_lo_u32 v6, v1, s56
	v_mul_lo_u32 v8, v1, s57
	v_mul_hi_u32 v5, s55, v4
	v_add_nc_u32_e32 v5, v4, v5
	v_lshrrev_b32_e32 v5, s64, v5
	v_mul_hi_u32 v7, s66, v5
	v_mul_lo_u32 v9, v5, s54
	v_add_nc_u32_e32 v1, v5, v7
	v_mul_lo_u32 v7, v4, s51
	v_sub_nc_u32_e32 v4, v4, v9
	v_lshrrev_b32_e32 v1, s67, v1
	v_mul_lo_u32 v9, v4, s60
	v_mul_lo_u32 v4, v4, s61
	v_sub_nc_u32_e32 v3, v3, v7
	v_mul_lo_u32 v11, v1, s65
	v_mul_lo_u32 v7, v3, s58
	;; [unrolled: 1-line block ×3, first 2 shown]
	v_sub_nc_u32_e32 v5, v5, v11
	v_add3_u32 v0, v6, v0, v7
	v_mul_lo_u32 v11, v5, s62
	v_mul_lo_u32 v5, v5, s63
	v_add3_u32 v2, v8, v2, v3
	v_add3_u32 v0, v9, v0, v11
	v_add3_u32 v2, v4, v2, v5
	s_cbranch_scc0 .LBB7_549
	s_branch .LBB7_553
.LBB7_550:
	s_mov_b32 s0, -1
                                        ; implicit-def: $vgpr0
                                        ; implicit-def: $vgpr2
	s_branch .LBB7_557
.LBB7_551:
	v_mov_b32_e32 v0, 0
	v_mov_b32_e32 v2, 0
	s_branch .LBB7_556
.LBB7_552:
	v_mov_b32_e32 v0, 0
	v_mov_b32_e32 v2, 0
	;; [unrolled: 1-line block ×3, first 2 shown]
	s_mov_b32 s43, 0
.LBB7_553:
	s_and_b32 s44, s44, 3
	s_cmp_eq_u32 s44, 0
	s_cbranch_scc1 .LBB7_556
; %bb.554:
	s_lshl_b32 s0, s43, 3
	s_mul_i32 s22, s43, 12
	s_add_u32 s0, s2, s0
	s_addc_u32 s1, s3, 0
	s_add_u32 s0, s0, 0xc4
	s_addc_u32 s1, s1, 0
	;; [unrolled: 2-line block ×3, first 2 shown]
	.p2align	6
.LBB7_555:                              ; =>This Inner Loop Header: Depth=1
	s_clause 0x1
	s_load_dwordx2 s[46:47], s[22:23], 0x4
	s_load_dword s43, s[22:23], 0xc
	s_load_dwordx2 s[48:49], s[0:1], 0x0
	s_add_u32 s22, s22, 12
	s_addc_u32 s23, s23, 0
	s_add_u32 s0, s0, 8
	s_addc_u32 s1, s1, 0
	s_add_i32 s44, s44, -1
	s_cmp_lg_u32 s44, 0
	s_waitcnt lgkmcnt(0)
	v_mul_hi_u32 v3, s47, v1
	v_add_nc_u32_e32 v3, v1, v3
	v_lshrrev_b32_e32 v4, s43, v3
	v_mul_lo_u32 v3, v4, s46
	v_sub_nc_u32_e32 v3, v1, v3
	v_mad_u64_u32 v[0:1], null, v3, s48, v[0:1]
	v_mad_u64_u32 v[2:3], null, v3, s49, v[2:3]
	v_mov_b32_e32 v1, v4
	s_cbranch_scc1 .LBB7_555
.LBB7_556:
	s_mov_b32 s0, 0
.LBB7_557:
	s_andn2_b32 vcc_lo, exec_lo, s0
	s_cbranch_vccnz .LBB7_560
; %bb.558:
	s_waitcnt lgkmcnt(0)
	v_mul_hi_u32 v0, s17, v10
	s_andn2_b32 vcc_lo, exec_lo, s31
	v_add_nc_u32_e32 v0, v10, v0
	v_lshrrev_b32_e32 v1, s18, v0
	v_mul_lo_u32 v0, v1, s16
	v_sub_nc_u32_e32 v2, v10, v0
	v_mul_lo_u32 v0, v2, s12
	v_mul_lo_u32 v2, v2, s13
	s_cbranch_vccnz .LBB7_560
; %bb.559:
	v_mul_hi_u32 v3, s6, v1
	v_add_nc_u32_e32 v3, v1, v3
	v_lshrrev_b32_e32 v3, s7, v3
	v_mul_lo_u32 v3, v3, s19
	v_sub_nc_u32_e32 v3, v1, v3
	v_mad_u64_u32 v[0:1], null, v3, s14, v[0:1]
	v_mad_u64_u32 v[2:3], null, v3, s15, v[2:3]
.LBB7_560:
	s_waitcnt lgkmcnt(0)
	v_add_co_u32 v1, s0, s10, v2
	v_add_co_ci_u32_e64 v2, null, s11, 0, s0
	s_and_b32 s0, 0xffff, s30
	s_cmp_lt_i32 s0, 11
	s_cbranch_scc1 .LBB7_567
; %bb.561:
	s_cmp_gt_i32 s0, 25
	s_cbranch_scc0 .LBB7_568
; %bb.562:
	s_cmp_gt_i32 s0, 28
	s_cbranch_scc0 .LBB7_569
	;; [unrolled: 3-line block ×4, first 2 shown]
; %bb.565:
	s_cmp_eq_u32 s0, 46
	s_mov_b32 s23, 0
	s_cbranch_scc0 .LBB7_576
; %bb.566:
	global_load_dword v3, v[1:2], off
	s_mov_b32 s22, -1
	s_mov_b32 s1, 0
	s_waitcnt vmcnt(0)
	v_lshlrev_b32_e32 v3, 16, v3
	v_cvt_f64_f32_e32 v[5:6], v3
	s_branch .LBB7_578
.LBB7_567:
	s_mov_b32 s23, -1
	s_mov_b32 s22, 0
	s_mov_b32 s1, s39
                                        ; implicit-def: $vgpr5_vgpr6
	s_branch .LBB7_643
.LBB7_568:
	s_mov_b32 s23, -1
	s_mov_b32 s22, 0
	s_mov_b32 s1, s39
                                        ; implicit-def: $vgpr5_vgpr6
	s_branch .LBB7_609
.LBB7_569:
	s_mov_b32 s23, -1
	s_mov_b32 s22, 0
	s_mov_b32 s1, s39
                                        ; implicit-def: $vgpr5_vgpr6
	s_branch .LBB7_588
.LBB7_570:
	s_mov_b32 s23, -1
	s_mov_b32 s22, 0
	s_mov_b32 s1, s39
                                        ; implicit-def: $vgpr5_vgpr6
	s_branch .LBB7_583
.LBB7_571:
	s_andn2_saveexec_b32 s42, s42
	s_cbranch_execz .LBB7_340
.LBB7_572:
	v_add_f32_e64 v3, 0x46000000, |v2|
	s_andn2_b32 s40, s40, exec_lo
	v_and_b32_e32 v3, 0xff, v3
	v_cmp_ne_u32_e32 vcc_lo, 0, v3
	s_and_b32 s43, vcc_lo, exec_lo
	s_or_b32 s40, s40, s43
	s_or_b32 exec_lo, exec_lo, s42
	v_mov_b32_e32 v6, 0
	s_and_saveexec_b32 s42, s40
	s_cbranch_execnz .LBB7_341
	s_branch .LBB7_342
.LBB7_573:
	s_mov_b32 s23, -1
	s_mov_b32 s22, 0
	s_mov_b32 s1, s39
	s_branch .LBB7_577
.LBB7_574:
	s_andn2_saveexec_b32 s42, s42
	s_cbranch_execz .LBB7_353
.LBB7_575:
	v_add_f32_e64 v3, 0x42800000, |v2|
	s_andn2_b32 s40, s40, exec_lo
	v_and_b32_e32 v3, 0xff, v3
	v_cmp_ne_u32_e32 vcc_lo, 0, v3
	s_and_b32 s43, vcc_lo, exec_lo
	s_or_b32 s40, s40, s43
	s_or_b32 exec_lo, exec_lo, s42
	v_mov_b32_e32 v6, 0
	s_and_saveexec_b32 s42, s40
	s_cbranch_execnz .LBB7_354
	s_branch .LBB7_355
.LBB7_576:
	s_mov_b32 s1, -1
	s_mov_b32 s22, 0
.LBB7_577:
                                        ; implicit-def: $vgpr5_vgpr6
.LBB7_578:
	s_and_b32 vcc_lo, exec_lo, s23
	s_cbranch_vccz .LBB7_582
; %bb.579:
	s_cmp_eq_u32 s0, 44
	s_cbranch_scc0 .LBB7_581
; %bb.580:
	global_load_ubyte v5, v[1:2], off
	s_mov_b32 s1, 0
	s_mov_b32 s22, -1
	s_waitcnt vmcnt(0)
	v_lshlrev_b32_e32 v3, 23, v5
	v_cmp_ne_u32_e32 vcc_lo, 0xff, v5
	v_cvt_f64_f32_e32 v[3:4], v3
	v_cndmask_b32_e32 v3, 0x20000000, v3, vcc_lo
	v_cndmask_b32_e32 v4, 0x7ff80000, v4, vcc_lo
	v_cmp_ne_u32_e32 vcc_lo, 0, v5
	v_cndmask_b32_e32 v6, 0x38000000, v4, vcc_lo
	v_cndmask_b32_e32 v5, 0, v3, vcc_lo
	s_branch .LBB7_582
.LBB7_581:
	s_mov_b32 s1, -1
                                        ; implicit-def: $vgpr5_vgpr6
.LBB7_582:
	s_mov_b32 s23, 0
.LBB7_583:
	s_and_b32 vcc_lo, exec_lo, s23
	s_cbranch_vccz .LBB7_587
; %bb.584:
	s_cmp_eq_u32 s0, 29
	s_cbranch_scc0 .LBB7_586
; %bb.585:
	global_load_dwordx2 v[3:4], v[1:2], off
	s_mov_b32 s22, -1
	s_mov_b32 s1, 0
	s_mov_b32 s23, 0
	s_waitcnt vmcnt(0)
	v_cvt_f64_u32_e32 v[4:5], v4
	v_cvt_f64_u32_e32 v[6:7], v3
	v_ldexp_f64 v[4:5], v[4:5], 32
	v_add_f64 v[5:6], v[4:5], v[6:7]
	s_branch .LBB7_588
.LBB7_586:
	s_mov_b32 s1, -1
                                        ; implicit-def: $vgpr5_vgpr6
.LBB7_587:
	s_mov_b32 s23, 0
.LBB7_588:
	s_and_b32 vcc_lo, exec_lo, s23
	s_cbranch_vccz .LBB7_608
; %bb.589:
	s_cmp_lt_i32 s0, 27
	s_cbranch_scc1 .LBB7_592
; %bb.590:
	s_cmp_gt_i32 s0, 27
	s_cbranch_scc0 .LBB7_593
; %bb.591:
	global_load_dword v3, v[1:2], off
	s_mov_b32 s22, 0
	s_waitcnt vmcnt(0)
	v_cvt_f64_u32_e32 v[5:6], v3
	s_branch .LBB7_594
.LBB7_592:
	s_mov_b32 s22, -1
                                        ; implicit-def: $vgpr5_vgpr6
	s_branch .LBB7_597
.LBB7_593:
	s_mov_b32 s22, -1
                                        ; implicit-def: $vgpr5_vgpr6
.LBB7_594:
	s_andn2_b32 vcc_lo, exec_lo, s22
	s_cbranch_vccnz .LBB7_596
; %bb.595:
	global_load_ushort v3, v[1:2], off
	s_waitcnt vmcnt(0)
	v_cvt_f64_u32_e32 v[5:6], v3
.LBB7_596:
	s_mov_b32 s22, 0
.LBB7_597:
	s_andn2_b32 vcc_lo, exec_lo, s22
	s_cbranch_vccnz .LBB7_607
; %bb.598:
	global_load_ubyte v3, v[1:2], off
	s_mov_b32 s22, 0
	s_mov_b32 s23, exec_lo
	s_waitcnt vmcnt(0)
	v_cmpx_lt_i16_e32 0x7f, v3
	s_xor_b32 s23, exec_lo, s23
	s_cbranch_execz .LBB7_602
; %bb.599:
	s_mov_b32 s22, -1
	s_mov_b32 s43, exec_lo
	v_cmpx_eq_u16_e32 0x80, v3
; %bb.600:
	s_xor_b32 s22, exec_lo, -1
; %bb.601:
	s_or_b32 exec_lo, exec_lo, s43
	s_and_b32 s22, s22, exec_lo
.LBB7_602:
	s_or_saveexec_b32 s23, s23
	v_bfrev_b32_e32 v5, 4
	v_mov_b32_e32 v6, 0x7ff80000
	s_xor_b32 exec_lo, exec_lo, s23
; %bb.603:
	v_cmp_ne_u16_e32 vcc_lo, 0, v3
	v_mov_b32_e32 v5, 0
	v_mov_b32_e32 v6, 0
	s_andn2_b32 s22, s22, exec_lo
	s_and_b32 s43, vcc_lo, exec_lo
	s_or_b32 s22, s22, s43
; %bb.604:
	s_or_b32 exec_lo, exec_lo, s23
	s_and_saveexec_b32 s23, s22
	s_cbranch_execz .LBB7_606
; %bb.605:
	v_and_b32_e32 v4, 0xffff, v3
	v_lshlrev_b32_e32 v3, 24, v3
	v_and_b32_e32 v5, 7, v4
	v_bfe_u32 v8, v4, 3, 4
	v_and_b32_e32 v3, 0x80000000, v3
	v_ffbh_u32_e32 v6, v5
	v_cmp_eq_u32_e32 vcc_lo, 0, v8
	v_min_u32_e32 v6, 32, v6
	v_subrev_nc_u32_e32 v7, 28, v6
	v_sub_nc_u32_e32 v6, 29, v6
	v_lshlrev_b32_e32 v4, v7, v4
	v_cndmask_b32_e32 v6, v8, v6, vcc_lo
	v_and_b32_e32 v4, 7, v4
	v_cndmask_b32_e32 v4, v5, v4, vcc_lo
	v_lshl_add_u32 v5, v6, 23, 0x3b800000
	v_lshlrev_b32_e32 v4, 20, v4
	v_or3_b32 v3, v3, v5, v4
	v_cvt_f64_f32_e32 v[5:6], v3
.LBB7_606:
	s_or_b32 exec_lo, exec_lo, s23
.LBB7_607:
	s_mov_b32 s22, -1
.LBB7_608:
	s_mov_b32 s23, 0
.LBB7_609:
	s_and_b32 vcc_lo, exec_lo, s23
	s_cbranch_vccz .LBB7_642
; %bb.610:
	s_cmp_gt_i32 s0, 22
	s_cbranch_scc0 .LBB7_622
; %bb.611:
	s_cmp_lt_i32 s0, 24
	s_cbranch_scc1 .LBB7_623
; %bb.612:
	s_cmp_gt_i32 s0, 24
	s_cbranch_scc0 .LBB7_624
; %bb.613:
	global_load_ubyte v3, v[1:2], off
	s_mov_b32 s22, 0
	s_mov_b32 s23, exec_lo
	s_waitcnt vmcnt(0)
	v_cmpx_lt_i16_e32 0x7f, v3
	s_xor_b32 s23, exec_lo, s23
	s_cbranch_execz .LBB7_617
; %bb.614:
	s_mov_b32 s22, -1
	s_mov_b32 s43, exec_lo
	v_cmpx_eq_u16_e32 0x80, v3
; %bb.615:
	s_xor_b32 s22, exec_lo, -1
; %bb.616:
	s_or_b32 exec_lo, exec_lo, s43
	s_and_b32 s22, s22, exec_lo
.LBB7_617:
	s_or_saveexec_b32 s23, s23
	v_bfrev_b32_e32 v5, 4
	v_mov_b32_e32 v6, 0x7ff80000
	s_xor_b32 exec_lo, exec_lo, s23
; %bb.618:
	v_cmp_ne_u16_e32 vcc_lo, 0, v3
	v_mov_b32_e32 v5, 0
	v_mov_b32_e32 v6, 0
	s_andn2_b32 s22, s22, exec_lo
	s_and_b32 s43, vcc_lo, exec_lo
	s_or_b32 s22, s22, s43
; %bb.619:
	s_or_b32 exec_lo, exec_lo, s23
	s_and_saveexec_b32 s23, s22
	s_cbranch_execz .LBB7_621
; %bb.620:
	v_and_b32_e32 v4, 0xffff, v3
	v_lshlrev_b32_e32 v3, 24, v3
	v_and_b32_e32 v5, 3, v4
	v_bfe_u32 v8, v4, 2, 5
	v_and_b32_e32 v3, 0x80000000, v3
	v_ffbh_u32_e32 v6, v5
	v_cmp_eq_u32_e32 vcc_lo, 0, v8
	v_min_u32_e32 v6, 32, v6
	v_subrev_nc_u32_e32 v7, 29, v6
	v_sub_nc_u32_e32 v6, 30, v6
	v_lshlrev_b32_e32 v4, v7, v4
	v_cndmask_b32_e32 v6, v8, v6, vcc_lo
	v_and_b32_e32 v4, 3, v4
	v_cndmask_b32_e32 v4, v5, v4, vcc_lo
	v_lshl_add_u32 v5, v6, 23, 0x37800000
	v_lshlrev_b32_e32 v4, 21, v4
	v_or3_b32 v3, v3, v5, v4
	v_cvt_f64_f32_e32 v[5:6], v3
.LBB7_621:
	s_or_b32 exec_lo, exec_lo, s23
	s_mov_b32 s22, 0
	s_branch .LBB7_625
.LBB7_622:
	s_mov_b32 s23, -1
                                        ; implicit-def: $vgpr5_vgpr6
	s_branch .LBB7_631
.LBB7_623:
	s_mov_b32 s22, -1
                                        ; implicit-def: $vgpr5_vgpr6
	s_branch .LBB7_628
.LBB7_624:
	s_mov_b32 s22, -1
                                        ; implicit-def: $vgpr5_vgpr6
.LBB7_625:
	s_and_b32 vcc_lo, exec_lo, s22
	s_cbranch_vccz .LBB7_627
; %bb.626:
	global_load_ubyte v3, v[1:2], off
	s_waitcnt vmcnt(0)
	v_lshlrev_b32_e32 v3, 24, v3
	v_and_b32_e32 v4, 0x7f000000, v3
	v_ffbh_u32_e32 v5, v4
	v_add_nc_u32_e32 v7, 0x1000000, v4
	v_cmp_ne_u32_e32 vcc_lo, 0, v4
	v_min_u32_e32 v5, 32, v5
	v_sub_nc_u32_e64 v5, v5, 4 clamp
	v_lshlrev_b32_e32 v6, v5, v4
	v_lshlrev_b32_e32 v5, 23, v5
	v_lshrrev_b32_e32 v6, 4, v6
	v_sub_nc_u32_e32 v5, v6, v5
	v_ashrrev_i32_e32 v6, 8, v7
	v_add_nc_u32_e32 v5, 0x3c000000, v5
	v_and_or_b32 v5, 0x7f800000, v6, v5
	v_cndmask_b32_e32 v4, 0, v5, vcc_lo
	v_and_or_b32 v3, 0x80000000, v3, v4
	v_cvt_f64_f32_e32 v[5:6], v3
.LBB7_627:
	s_mov_b32 s22, 0
.LBB7_628:
	s_andn2_b32 vcc_lo, exec_lo, s22
	s_cbranch_vccnz .LBB7_630
; %bb.629:
	global_load_ubyte v3, v[1:2], off
	s_waitcnt vmcnt(0)
	v_lshlrev_b32_e32 v4, 25, v3
	v_lshlrev_b16 v3, 8, v3
	v_lshrrev_b32_e32 v5, 4, v4
	v_and_or_b32 v6, 0x7f00, v3, 0.5
	v_cmp_gt_u32_e32 vcc_lo, 0x8000000, v4
	v_bfe_i32 v3, v3, 0, 16
	v_or_b32_e32 v5, 0x70000000, v5
	v_add_f32_e32 v6, -0.5, v6
	v_mul_f32_e32 v5, 0x7800000, v5
	v_cndmask_b32_e32 v4, v5, v6, vcc_lo
	v_and_or_b32 v3, 0x80000000, v3, v4
	v_cvt_f64_f32_e32 v[5:6], v3
.LBB7_630:
	s_mov_b32 s23, 0
	s_mov_b32 s22, -1
.LBB7_631:
	s_andn2_b32 vcc_lo, exec_lo, s23
	s_cbranch_vccnz .LBB7_642
; %bb.632:
	s_cmp_gt_i32 s0, 14
	s_cbranch_scc0 .LBB7_635
; %bb.633:
	s_cmp_eq_u32 s0, 15
	s_cbranch_scc0 .LBB7_636
; %bb.634:
	global_load_ushort v3, v[1:2], off
	s_mov_b32 s22, -1
	s_mov_b32 s1, 0
	s_waitcnt vmcnt(0)
	v_lshlrev_b32_e32 v3, 16, v3
	v_cvt_f64_f32_e32 v[5:6], v3
	s_branch .LBB7_637
.LBB7_635:
	s_mov_b32 s23, -1
                                        ; implicit-def: $vgpr5_vgpr6
	s_branch .LBB7_638
.LBB7_636:
	s_mov_b32 s1, -1
                                        ; implicit-def: $vgpr5_vgpr6
.LBB7_637:
	s_mov_b32 s23, 0
.LBB7_638:
	s_and_b32 vcc_lo, exec_lo, s23
	s_cbranch_vccz .LBB7_642
; %bb.639:
	s_cmp_eq_u32 s0, 11
	s_cbranch_scc0 .LBB7_641
; %bb.640:
	global_load_ubyte v3, v[1:2], off
	s_waitcnt vmcnt(1)
	v_mov_b32_e32 v5, 0
	s_mov_b32 s1, 0
	s_mov_b32 s22, -1
	s_waitcnt vmcnt(0)
	v_cmp_ne_u16_e32 vcc_lo, 0, v3
	v_cndmask_b32_e64 v6, 0, 0x3ff00000, vcc_lo
	s_branch .LBB7_642
.LBB7_641:
	s_mov_b32 s1, -1
                                        ; implicit-def: $vgpr5_vgpr6
.LBB7_642:
	s_mov_b32 s23, 0
.LBB7_643:
	s_and_b32 vcc_lo, exec_lo, s23
	s_cbranch_vccz .LBB7_692
; %bb.644:
	s_cmp_lt_i32 s0, 5
	s_cbranch_scc1 .LBB7_649
; %bb.645:
	s_cmp_lt_i32 s0, 8
	s_cbranch_scc1 .LBB7_650
	;; [unrolled: 3-line block ×3, first 2 shown]
; %bb.647:
	s_cmp_gt_i32 s0, 9
	s_cbranch_scc0 .LBB7_652
; %bb.648:
	global_load_dwordx2 v[5:6], v[1:2], off
	s_mov_b32 s22, 0
	s_branch .LBB7_653
.LBB7_649:
	s_mov_b32 s22, -1
                                        ; implicit-def: $vgpr5_vgpr6
	s_branch .LBB7_671
.LBB7_650:
	s_mov_b32 s22, -1
                                        ; implicit-def: $vgpr5_vgpr6
	s_branch .LBB7_659
.LBB7_651:
	s_mov_b32 s22, -1
                                        ; implicit-def: $vgpr5_vgpr6
	s_branch .LBB7_656
.LBB7_652:
	s_mov_b32 s22, -1
                                        ; implicit-def: $vgpr5_vgpr6
.LBB7_653:
	s_andn2_b32 vcc_lo, exec_lo, s22
	s_cbranch_vccnz .LBB7_655
; %bb.654:
	global_load_dword v3, v[1:2], off
	s_waitcnt vmcnt(0)
	v_cvt_f64_f32_e32 v[5:6], v3
.LBB7_655:
	s_mov_b32 s22, 0
.LBB7_656:
	s_andn2_b32 vcc_lo, exec_lo, s22
	s_cbranch_vccnz .LBB7_658
; %bb.657:
	global_load_dword v3, v[1:2], off
	s_waitcnt vmcnt(0)
	v_cvt_f32_f16_e32 v3, v3
	v_cvt_f64_f32_e32 v[5:6], v3
.LBB7_658:
	s_mov_b32 s22, 0
.LBB7_659:
	s_andn2_b32 vcc_lo, exec_lo, s22
	s_cbranch_vccnz .LBB7_670
; %bb.660:
	s_cmp_lt_i32 s0, 6
	s_cbranch_scc1 .LBB7_663
; %bb.661:
	s_cmp_gt_i32 s0, 6
	s_cbranch_scc0 .LBB7_664
; %bb.662:
	global_load_dwordx2 v[5:6], v[1:2], off
	s_mov_b32 s22, 0
	s_branch .LBB7_665
.LBB7_663:
	s_mov_b32 s22, -1
                                        ; implicit-def: $vgpr5_vgpr6
	s_branch .LBB7_668
.LBB7_664:
	s_mov_b32 s22, -1
                                        ; implicit-def: $vgpr5_vgpr6
.LBB7_665:
	s_andn2_b32 vcc_lo, exec_lo, s22
	s_cbranch_vccnz .LBB7_667
; %bb.666:
	global_load_dword v3, v[1:2], off
	s_waitcnt vmcnt(0)
	v_cvt_f64_f32_e32 v[5:6], v3
.LBB7_667:
	s_mov_b32 s22, 0
.LBB7_668:
	s_andn2_b32 vcc_lo, exec_lo, s22
	s_cbranch_vccnz .LBB7_670
; %bb.669:
	global_load_ushort v3, v[1:2], off
	s_waitcnt vmcnt(0)
	v_cvt_f32_f16_e32 v3, v3
	v_cvt_f64_f32_e32 v[5:6], v3
.LBB7_670:
	s_mov_b32 s22, 0
.LBB7_671:
	s_andn2_b32 vcc_lo, exec_lo, s22
	s_cbranch_vccnz .LBB7_691
; %bb.672:
	s_cmp_lt_i32 s0, 2
	s_cbranch_scc1 .LBB7_676
; %bb.673:
	s_cmp_lt_i32 s0, 3
	s_cbranch_scc1 .LBB7_677
; %bb.674:
	s_cmp_gt_i32 s0, 3
	s_cbranch_scc0 .LBB7_678
; %bb.675:
	global_load_dwordx2 v[3:4], v[1:2], off
	s_mov_b32 s22, 0
	s_waitcnt vmcnt(0)
	v_cvt_f64_i32_e32 v[4:5], v4
	v_cvt_f64_u32_e32 v[6:7], v3
	v_ldexp_f64 v[4:5], v[4:5], 32
	v_add_f64 v[5:6], v[4:5], v[6:7]
	s_branch .LBB7_679
.LBB7_676:
	s_mov_b32 s22, -1
                                        ; implicit-def: $vgpr5_vgpr6
	s_branch .LBB7_685
.LBB7_677:
	s_mov_b32 s22, -1
                                        ; implicit-def: $vgpr5_vgpr6
	s_branch .LBB7_682
.LBB7_678:
	s_mov_b32 s22, -1
                                        ; implicit-def: $vgpr5_vgpr6
.LBB7_679:
	s_andn2_b32 vcc_lo, exec_lo, s22
	s_cbranch_vccnz .LBB7_681
; %bb.680:
	global_load_dword v3, v[1:2], off
	s_waitcnt vmcnt(0)
	v_cvt_f64_i32_e32 v[5:6], v3
.LBB7_681:
	s_mov_b32 s22, 0
.LBB7_682:
	s_andn2_b32 vcc_lo, exec_lo, s22
	s_cbranch_vccnz .LBB7_684
; %bb.683:
	global_load_sshort v3, v[1:2], off
	s_waitcnt vmcnt(0)
	v_cvt_f64_i32_e32 v[5:6], v3
.LBB7_684:
	s_mov_b32 s22, 0
.LBB7_685:
	s_andn2_b32 vcc_lo, exec_lo, s22
	s_cbranch_vccnz .LBB7_691
; %bb.686:
	s_cmp_gt_i32 s0, 0
	s_mov_b32 s0, 0
	s_cbranch_scc0 .LBB7_688
; %bb.687:
	global_load_sbyte v3, v[1:2], off
	s_waitcnt vmcnt(0)
	v_cvt_f64_i32_e32 v[5:6], v3
	s_branch .LBB7_689
.LBB7_688:
	s_mov_b32 s0, -1
                                        ; implicit-def: $vgpr5_vgpr6
.LBB7_689:
	s_andn2_b32 vcc_lo, exec_lo, s0
	s_cbranch_vccnz .LBB7_691
; %bb.690:
	global_load_ubyte v1, v[1:2], off
	s_waitcnt vmcnt(0)
	v_cvt_f64_u32_e32 v[5:6], v1
.LBB7_691:
	s_mov_b32 s22, -1
.LBB7_692:
	s_andn2_b32 vcc_lo, exec_lo, s22
	s_cbranch_vccnz .LBB7_700
; %bb.693:
	s_waitcnt vmcnt(0)
	v_and_b32_e32 v2, 0x7fffffff, v6
	v_mov_b32_e32 v1, v5
	s_mov_b32 s22, 0xbd3237f4
	s_mov_b32 s44, 0xb5e68a13
	;; [unrolled: 1-line block ×4, first 2 shown]
	v_div_scale_f64 v[3:4], null, v[1:2], v[1:2], 1.0
	v_div_scale_f64 v[13:14], vcc_lo, 1.0, v[1:2], 1.0
	v_rcp_f64_e32 v[7:8], v[3:4]
	v_fma_f64 v[11:12], -v[3:4], v[7:8], 1.0
	v_fma_f64 v[7:8], v[7:8], v[11:12], v[7:8]
	v_fma_f64 v[11:12], -v[3:4], v[7:8], 1.0
	v_fma_f64 v[7:8], v[7:8], v[11:12], v[7:8]
	v_mul_f64 v[11:12], v[13:14], v[7:8]
	v_fma_f64 v[3:4], -v[3:4], v[11:12], v[13:14]
	v_div_fmas_f64 v[3:4], v[3:4], v[7:8], v[11:12]
	v_cmp_gt_f64_e64 vcc_lo, |v[5:6]|, 1.0
	v_div_fixup_f64 v[3:4], v[3:4], |v[5:6]|, 1.0
	v_cndmask_b32_e32 v2, v2, v4, vcc_lo
	v_cndmask_b32_e32 v1, v5, v3, vcc_lo
	v_mul_f64 v[3:4], v[1:2], v[1:2]
	v_fma_f64 v[7:8], v[3:4], s[44:45], s[22:23]
	s_mov_b32 s22, 0x69efb384
	s_mov_b32 s23, 0x3f4b2bb0
	;; [unrolled: 1-line block ×4, first 2 shown]
	v_fma_f64 v[7:8], v[3:4], v[7:8], s[22:23]
	s_mov_b32 s22, 0xaf56de9b
	s_mov_b32 s23, 0xbf67952d
	v_fma_f64 v[7:8], v[3:4], v[7:8], s[22:23]
	s_mov_b32 s22, 0xa595c56f
	s_mov_b32 s23, 0x3f7d6d43
	;; [unrolled: 3-line block ×18, first 2 shown]
	v_mul_f64 v[3:4], v[3:4], v[7:8]
	v_fma_f64 v[1:2], v[1:2], v[3:4], v[1:2]
	v_fma_f64 v[3:4], s[44:45], s[22:23], -v[1:2]
	s_and_b32 s22, s29, 0xff
	s_cmp_lt_i32 s22, 11
	v_cndmask_b32_e32 v2, v2, v4, vcc_lo
	v_add_co_u32 v4, s0, s8, v0
	v_add_co_ci_u32_e64 v5, null, s9, 0, s0
	v_cndmask_b32_e32 v0, v1, v3, vcc_lo
	v_bfi_b32 v1, 0x7fffffff, v2, v6
	s_cbranch_scc1 .LBB7_701
; %bb.694:
	s_and_b32 s23, 0xffff, s22
	s_cmp_gt_i32 s23, 25
	s_cbranch_scc0 .LBB7_702
; %bb.695:
	s_cmp_gt_i32 s23, 28
	s_cbranch_scc0 .LBB7_703
; %bb.696:
	;; [unrolled: 3-line block ×4, first 2 shown]
	s_mov_b32 s44, 0
	s_mov_b32 s0, -1
	s_cmp_eq_u32 s23, 46
	s_mov_b32 s43, 0
	s_cbranch_scc0 .LBB7_706
; %bb.699:
	v_cvt_f32_f64_e32 v2, v[0:1]
	s_mov_b32 s43, -1
	s_mov_b32 s0, 0
	v_bfe_u32 v3, v2, 16, 1
	v_cmp_o_f32_e32 vcc_lo, v2, v2
	v_add3_u32 v2, v2, v3, 0x7fff
	v_mov_b32_e32 v3, 0x7fc0
	v_cndmask_b32_sdwa v2, v3, v2, vcc_lo dst_sel:DWORD dst_unused:UNUSED_PAD src0_sel:DWORD src1_sel:WORD_1
	global_store_dword v[4:5], v2, off
	s_branch .LBB7_706
.LBB7_700:
	s_mov_b32 s43, 0
	s_mov_b32 s0, s40
	s_branch .LBB7_817
.LBB7_701:
	s_mov_b32 s23, -1
	s_mov_b32 s43, 0
	s_mov_b32 s0, s40
	s_branch .LBB7_775
.LBB7_702:
	s_mov_b32 s44, -1
	s_mov_b32 s43, 0
	s_mov_b32 s0, s40
	s_branch .LBB7_733
.LBB7_703:
	s_mov_b32 s44, -1
	s_mov_b32 s43, 0
	s_mov_b32 s0, s40
	s_branch .LBB7_716
.LBB7_704:
	s_mov_b32 s44, -1
	s_mov_b32 s43, 0
	s_mov_b32 s0, s40
	s_branch .LBB7_712
.LBB7_705:
	s_mov_b32 s44, -1
	s_mov_b32 s43, 0
	s_mov_b32 s0, s40
.LBB7_706:
	s_and_b32 vcc_lo, exec_lo, s44
	s_cbranch_vccz .LBB7_711
; %bb.707:
	s_cmp_eq_u32 s23, 44
	s_mov_b32 s0, -1
	s_cbranch_scc0 .LBB7_711
; %bb.708:
	v_cvt_f32_f64_e32 v2, v[0:1]
	v_mov_b32_e32 v3, 0xff
	s_mov_b32 s43, exec_lo
	v_bfe_u32 v6, v2, 23, 8
	v_cmpx_ne_u32_e32 0xff, v6
	s_cbranch_execz .LBB7_710
; %bb.709:
	v_and_b32_e32 v3, 0x400000, v2
	v_and_or_b32 v6, 0x3fffff, v2, v6
	v_lshrrev_b32_e32 v2, 23, v2
	v_cmp_ne_u32_e32 vcc_lo, 0, v3
	v_cmp_ne_u32_e64 s0, 0, v6
	s_and_b32 s0, vcc_lo, s0
	v_cndmask_b32_e64 v3, 0, 1, s0
	v_add_nc_u32_e32 v3, v2, v3
.LBB7_710:
	s_or_b32 exec_lo, exec_lo, s43
	s_mov_b32 s43, -1
	s_mov_b32 s0, 0
	global_store_byte v[4:5], v3, off
.LBB7_711:
	s_mov_b32 s44, 0
.LBB7_712:
	s_and_b32 vcc_lo, exec_lo, s44
	s_cbranch_vccz .LBB7_715
; %bb.713:
	s_cmp_eq_u32 s23, 29
	s_mov_b32 s0, -1
	s_cbranch_scc0 .LBB7_715
; %bb.714:
	v_trunc_f64_e32 v[2:3], v[0:1]
	s_mov_b32 s43, -1
	s_mov_b32 s0, 0
	s_mov_b32 s44, 0
	v_ldexp_f64 v[6:7], v[2:3], 0xffffffe0
	v_floor_f64_e32 v[6:7], v[6:7]
	v_fma_f64 v[2:3], 0xc1f00000, v[6:7], v[2:3]
	v_cvt_u32_f64_e32 v7, v[6:7]
	v_cvt_u32_f64_e32 v6, v[2:3]
	global_store_dwordx2 v[4:5], v[6:7], off
	s_branch .LBB7_716
.LBB7_715:
	s_mov_b32 s44, 0
.LBB7_716:
	s_and_b32 vcc_lo, exec_lo, s44
	s_cbranch_vccz .LBB7_732
; %bb.717:
	s_cmp_lt_i32 s23, 27
	s_mov_b32 s43, -1
	s_cbranch_scc1 .LBB7_723
; %bb.718:
	v_cvt_u32_f64_e32 v2, v[0:1]
	s_cmp_gt_i32 s23, 27
	s_cbranch_scc0 .LBB7_720
; %bb.719:
	s_mov_b32 s43, 0
	global_store_dword v[4:5], v2, off
.LBB7_720:
	s_andn2_b32 vcc_lo, exec_lo, s43
	s_cbranch_vccnz .LBB7_722
; %bb.721:
	global_store_short v[4:5], v2, off
.LBB7_722:
	s_mov_b32 s43, 0
.LBB7_723:
	s_andn2_b32 vcc_lo, exec_lo, s43
	s_cbranch_vccnz .LBB7_731
; %bb.724:
	v_cvt_f32_f64_e32 v2, v[0:1]
	v_mov_b32_e32 v6, 0x80
	s_mov_b32 s43, exec_lo
	v_and_b32_e32 v3, 0x7fffffff, v2
	v_cmpx_gt_u32_e32 0x43800000, v3
	s_cbranch_execz .LBB7_730
; %bb.725:
	v_cmp_lt_u32_e32 vcc_lo, 0x3bffffff, v3
	s_mov_b32 s44, 0
                                        ; implicit-def: $vgpr3
	s_and_saveexec_b32 s45, vcc_lo
	s_xor_b32 s45, exec_lo, s45
	s_cbranch_execz .LBB7_847
; %bb.726:
	v_bfe_u32 v3, v2, 20, 1
	s_mov_b32 s44, exec_lo
	v_add3_u32 v3, v2, v3, 0x487ffff
	v_lshrrev_b32_e32 v3, 20, v3
	s_andn2_saveexec_b32 s45, s45
	s_cbranch_execnz .LBB7_848
.LBB7_727:
	s_or_b32 exec_lo, exec_lo, s45
	v_mov_b32_e32 v6, 0
	s_and_saveexec_b32 s45, s44
.LBB7_728:
	v_lshrrev_b32_e32 v2, 24, v2
	v_and_or_b32 v6, 0x80, v2, v3
.LBB7_729:
	s_or_b32 exec_lo, exec_lo, s45
.LBB7_730:
	s_or_b32 exec_lo, exec_lo, s43
	global_store_byte v[4:5], v6, off
.LBB7_731:
	s_mov_b32 s43, -1
.LBB7_732:
	s_mov_b32 s44, 0
.LBB7_733:
	s_and_b32 vcc_lo, exec_lo, s44
	s_cbranch_vccz .LBB7_774
; %bb.734:
	s_cmp_gt_i32 s23, 22
	s_mov_b32 s44, -1
	s_cbranch_scc0 .LBB7_766
; %bb.735:
	s_cmp_lt_i32 s23, 24
	s_mov_b32 s43, -1
	s_cbranch_scc1 .LBB7_755
; %bb.736:
	s_cmp_gt_i32 s23, 24
	s_cbranch_scc0 .LBB7_744
; %bb.737:
	v_cvt_f32_f64_e32 v2, v[0:1]
	v_mov_b32_e32 v6, 0x80
	s_mov_b32 s43, exec_lo
	v_and_b32_e32 v3, 0x7fffffff, v2
	v_cmpx_gt_u32_e32 0x47800000, v3
	s_cbranch_execz .LBB7_743
; %bb.738:
	v_cmp_lt_u32_e32 vcc_lo, 0x37ffffff, v3
	s_mov_b32 s44, 0
                                        ; implicit-def: $vgpr3
	s_and_saveexec_b32 s45, vcc_lo
	s_xor_b32 s45, exec_lo, s45
	s_cbranch_execz .LBB7_850
; %bb.739:
	v_bfe_u32 v3, v2, 21, 1
	s_mov_b32 s44, exec_lo
	v_add3_u32 v3, v2, v3, 0x88fffff
	v_lshrrev_b32_e32 v3, 21, v3
	s_andn2_saveexec_b32 s45, s45
	s_cbranch_execnz .LBB7_851
.LBB7_740:
	s_or_b32 exec_lo, exec_lo, s45
	v_mov_b32_e32 v6, 0
	s_and_saveexec_b32 s45, s44
.LBB7_741:
	v_lshrrev_b32_e32 v2, 24, v2
	v_and_or_b32 v6, 0x80, v2, v3
.LBB7_742:
	s_or_b32 exec_lo, exec_lo, s45
.LBB7_743:
	s_or_b32 exec_lo, exec_lo, s43
	s_mov_b32 s43, 0
	global_store_byte v[4:5], v6, off
.LBB7_744:
	s_and_b32 vcc_lo, exec_lo, s43
	s_cbranch_vccz .LBB7_754
; %bb.745:
	v_cvt_f32_f64_e32 v2, v[0:1]
	s_mov_b32 s43, exec_lo
                                        ; implicit-def: $vgpr3
	v_and_b32_e32 v6, 0x7fffffff, v2
	v_cmpx_gt_u32_e32 0x43f00000, v6
	s_xor_b32 s43, exec_lo, s43
	s_cbranch_execz .LBB7_751
; %bb.746:
	s_mov_b32 s44, exec_lo
                                        ; implicit-def: $vgpr3
	v_cmpx_lt_u32_e32 0x3c7fffff, v6
	s_xor_b32 s44, exec_lo, s44
; %bb.747:
	v_bfe_u32 v3, v2, 20, 1
	v_add3_u32 v3, v2, v3, 0x407ffff
	v_and_b32_e32 v6, 0xff00000, v3
	v_lshrrev_b32_e32 v3, 20, v3
	v_cmp_ne_u32_e32 vcc_lo, 0x7f00000, v6
	v_cndmask_b32_e32 v3, 0x7e, v3, vcc_lo
; %bb.748:
	s_andn2_saveexec_b32 s44, s44
; %bb.749:
	v_add_f32_e64 v3, 0x46800000, |v2|
; %bb.750:
	s_or_b32 exec_lo, exec_lo, s44
                                        ; implicit-def: $vgpr6
.LBB7_751:
	s_andn2_saveexec_b32 s43, s43
; %bb.752:
	v_mov_b32_e32 v3, 0x7f
	v_cmp_lt_u32_e32 vcc_lo, 0x7f800000, v6
	v_cndmask_b32_e32 v3, 0x7e, v3, vcc_lo
; %bb.753:
	s_or_b32 exec_lo, exec_lo, s43
	v_lshrrev_b32_e32 v2, 24, v2
	v_and_or_b32 v2, 0x80, v2, v3
	global_store_byte v[4:5], v2, off
.LBB7_754:
	s_mov_b32 s43, 0
.LBB7_755:
	s_andn2_b32 vcc_lo, exec_lo, s43
	s_cbranch_vccnz .LBB7_765
; %bb.756:
	v_cvt_f32_f64_e32 v2, v[0:1]
	s_mov_b32 s43, exec_lo
                                        ; implicit-def: $vgpr3
	v_and_b32_e32 v6, 0x7fffffff, v2
	v_cmpx_gt_u32_e32 0x47800000, v6
	s_xor_b32 s43, exec_lo, s43
	s_cbranch_execz .LBB7_762
; %bb.757:
	s_mov_b32 s44, exec_lo
                                        ; implicit-def: $vgpr3
	v_cmpx_lt_u32_e32 0x387fffff, v6
	s_xor_b32 s44, exec_lo, s44
; %bb.758:
	v_bfe_u32 v3, v2, 21, 1
	v_add3_u32 v3, v2, v3, 0x80fffff
	v_lshrrev_b32_e32 v3, 21, v3
; %bb.759:
	s_andn2_saveexec_b32 s44, s44
; %bb.760:
	v_add_f32_e64 v3, 0x43000000, |v2|
; %bb.761:
	s_or_b32 exec_lo, exec_lo, s44
                                        ; implicit-def: $vgpr6
.LBB7_762:
	s_andn2_saveexec_b32 s43, s43
; %bb.763:
	v_mov_b32_e32 v3, 0x7f
	v_cmp_lt_u32_e32 vcc_lo, 0x7f800000, v6
	v_cndmask_b32_e32 v3, 0x7c, v3, vcc_lo
; %bb.764:
	s_or_b32 exec_lo, exec_lo, s43
	v_lshrrev_b32_e32 v2, 24, v2
	v_and_or_b32 v2, 0x80, v2, v3
	global_store_byte v[4:5], v2, off
.LBB7_765:
	s_mov_b32 s44, 0
	s_mov_b32 s43, -1
.LBB7_766:
	s_andn2_b32 vcc_lo, exec_lo, s44
	s_cbranch_vccnz .LBB7_774
; %bb.767:
	s_cmp_gt_i32 s23, 14
	s_mov_b32 s44, -1
	s_cbranch_scc0 .LBB7_771
; %bb.768:
	s_cmp_eq_u32 s23, 15
	s_mov_b32 s0, -1
	s_cbranch_scc0 .LBB7_770
; %bb.769:
	v_cvt_f32_f64_e32 v2, v[0:1]
	s_mov_b32 s43, -1
	s_mov_b32 s0, 0
	v_bfe_u32 v3, v2, 16, 1
	v_cmp_o_f32_e32 vcc_lo, v2, v2
	v_add3_u32 v2, v2, v3, 0x7fff
	v_mov_b32_e32 v3, 0x7fc0
	v_cndmask_b32_sdwa v2, v3, v2, vcc_lo dst_sel:DWORD dst_unused:UNUSED_PAD src0_sel:DWORD src1_sel:WORD_1
	global_store_short v[4:5], v2, off
.LBB7_770:
	s_mov_b32 s44, 0
.LBB7_771:
	s_and_b32 vcc_lo, exec_lo, s44
	s_cbranch_vccz .LBB7_774
; %bb.772:
	s_cmp_eq_u32 s23, 11
	s_mov_b32 s0, -1
	s_cbranch_scc0 .LBB7_774
; %bb.773:
	v_cmp_neq_f64_e32 vcc_lo, 0, v[0:1]
	s_mov_b32 s43, -1
	s_mov_b32 s0, 0
	v_cndmask_b32_e64 v2, 0, 1, vcc_lo
	global_store_byte v[4:5], v2, off
.LBB7_774:
	s_mov_b32 s23, 0
.LBB7_775:
	s_and_b32 vcc_lo, exec_lo, s23
	s_cbranch_vccz .LBB7_814
; %bb.776:
	s_and_b32 s22, 0xffff, s22
	s_mov_b32 s23, -1
	s_cmp_lt_i32 s22, 5
	s_cbranch_scc1 .LBB7_797
; %bb.777:
	s_cmp_lt_i32 s22, 8
	s_cbranch_scc1 .LBB7_787
; %bb.778:
	;; [unrolled: 3-line block ×3, first 2 shown]
	s_cmp_gt_i32 s22, 9
	s_cbranch_scc0 .LBB7_781
; %bb.780:
	v_mov_b32_e32 v2, 0
	s_mov_b32 s23, 0
	v_mov_b32_e32 v3, v2
	global_store_dwordx4 v[4:5], v[0:3], off
.LBB7_781:
	s_andn2_b32 vcc_lo, exec_lo, s23
	s_cbranch_vccnz .LBB7_783
; %bb.782:
	v_cvt_f32_f64_e32 v2, v[0:1]
	v_mov_b32_e32 v3, 0
	global_store_dwordx2 v[4:5], v[2:3], off
.LBB7_783:
	s_mov_b32 s23, 0
.LBB7_784:
	s_andn2_b32 vcc_lo, exec_lo, s23
	s_cbranch_vccnz .LBB7_786
; %bb.785:
	v_and_or_b32 v2, 0x1ff, v1, v0
	v_lshrrev_b32_e32 v3, 8, v1
	v_bfe_u32 v6, v1, 20, 11
	v_cmp_ne_u32_e32 vcc_lo, 0, v2
	v_sub_nc_u32_e32 v7, 0x3f1, v6
	v_add_nc_u32_e32 v6, 0xfffffc10, v6
	v_cndmask_b32_e64 v2, 0, 1, vcc_lo
	v_and_or_b32 v2, 0xffe, v3, v2
	v_med3_i32 v3, v7, 0, 13
	v_or_b32_e32 v7, 0x1000, v2
	v_lshrrev_b32_e32 v8, v3, v7
	v_lshlrev_b32_e32 v3, v3, v8
	v_cmp_ne_u32_e32 vcc_lo, v3, v7
	v_lshl_or_b32 v7, v6, 12, v2
	v_cndmask_b32_e64 v3, 0, 1, vcc_lo
	v_cmp_gt_i32_e32 vcc_lo, 1, v6
	v_or_b32_e32 v3, v8, v3
	v_cndmask_b32_e32 v3, v7, v3, vcc_lo
	v_and_b32_e32 v7, 7, v3
	v_lshrrev_b32_e32 v3, 2, v3
	v_cmp_lt_i32_e32 vcc_lo, 5, v7
	v_cndmask_b32_e64 v8, 0, 1, vcc_lo
	v_cmp_eq_u32_e32 vcc_lo, 3, v7
	v_cndmask_b32_e64 v7, 0, 1, vcc_lo
	v_cmp_ne_u32_e32 vcc_lo, 0, v2
	v_or_b32_e32 v7, v7, v8
	v_mov_b32_e32 v8, 0x7e00
	v_add_nc_u32_e32 v3, v3, v7
	v_cndmask_b32_e32 v2, 0x7c00, v8, vcc_lo
	v_cmp_gt_i32_e32 vcc_lo, 31, v6
	v_cndmask_b32_e32 v3, 0x7c00, v3, vcc_lo
	v_cmp_eq_u32_e32 vcc_lo, 0x40f, v6
	v_cndmask_b32_e32 v2, v3, v2, vcc_lo
	v_lshrrev_b32_e32 v3, 16, v1
	v_and_or_b32 v2, 0x8000, v3, v2
	v_and_b32_e32 v2, 0xffff, v2
	global_store_dword v[4:5], v2, off
.LBB7_786:
	s_mov_b32 s23, 0
.LBB7_787:
	s_andn2_b32 vcc_lo, exec_lo, s23
	s_cbranch_vccnz .LBB7_796
; %bb.788:
	s_cmp_lt_i32 s22, 6
	s_mov_b32 s23, -1
	s_cbranch_scc1 .LBB7_794
; %bb.789:
	s_cmp_gt_i32 s22, 6
	s_cbranch_scc0 .LBB7_791
; %bb.790:
	s_mov_b32 s23, 0
	global_store_dwordx2 v[4:5], v[0:1], off
.LBB7_791:
	s_andn2_b32 vcc_lo, exec_lo, s23
	s_cbranch_vccnz .LBB7_793
; %bb.792:
	v_cvt_f32_f64_e32 v2, v[0:1]
	global_store_dword v[4:5], v2, off
.LBB7_793:
	s_mov_b32 s23, 0
.LBB7_794:
	s_andn2_b32 vcc_lo, exec_lo, s23
	s_cbranch_vccnz .LBB7_796
; %bb.795:
	v_and_or_b32 v2, 0x1ff, v1, v0
	v_lshrrev_b32_e32 v3, 8, v1
	v_bfe_u32 v6, v1, 20, 11
	v_cmp_ne_u32_e32 vcc_lo, 0, v2
	v_sub_nc_u32_e32 v7, 0x3f1, v6
	v_add_nc_u32_e32 v6, 0xfffffc10, v6
	v_cndmask_b32_e64 v2, 0, 1, vcc_lo
	v_and_or_b32 v2, 0xffe, v3, v2
	v_med3_i32 v3, v7, 0, 13
	v_or_b32_e32 v7, 0x1000, v2
	v_lshrrev_b32_e32 v8, v3, v7
	v_lshlrev_b32_e32 v3, v3, v8
	v_cmp_ne_u32_e32 vcc_lo, v3, v7
	v_lshl_or_b32 v7, v6, 12, v2
	v_cndmask_b32_e64 v3, 0, 1, vcc_lo
	v_cmp_gt_i32_e32 vcc_lo, 1, v6
	v_or_b32_e32 v3, v8, v3
	v_cndmask_b32_e32 v3, v7, v3, vcc_lo
	v_and_b32_e32 v7, 7, v3
	v_lshrrev_b32_e32 v3, 2, v3
	v_cmp_lt_i32_e32 vcc_lo, 5, v7
	v_cndmask_b32_e64 v8, 0, 1, vcc_lo
	v_cmp_eq_u32_e32 vcc_lo, 3, v7
	v_cndmask_b32_e64 v7, 0, 1, vcc_lo
	v_cmp_ne_u32_e32 vcc_lo, 0, v2
	v_or_b32_e32 v7, v7, v8
	v_mov_b32_e32 v8, 0x7e00
	v_add_nc_u32_e32 v3, v3, v7
	v_cndmask_b32_e32 v2, 0x7c00, v8, vcc_lo
	v_cmp_gt_i32_e32 vcc_lo, 31, v6
	v_cndmask_b32_e32 v3, 0x7c00, v3, vcc_lo
	v_cmp_eq_u32_e32 vcc_lo, 0x40f, v6
	v_cndmask_b32_e32 v2, v3, v2, vcc_lo
	v_lshrrev_b32_e32 v3, 16, v1
	v_and_or_b32 v2, 0x8000, v3, v2
	global_store_short v[4:5], v2, off
.LBB7_796:
	s_mov_b32 s23, 0
.LBB7_797:
	s_andn2_b32 vcc_lo, exec_lo, s23
	s_cbranch_vccnz .LBB7_813
; %bb.798:
	s_cmp_lt_i32 s22, 2
	s_mov_b32 s23, -1
	s_cbranch_scc1 .LBB7_808
; %bb.799:
	s_cmp_lt_i32 s22, 3
	s_cbranch_scc1 .LBB7_805
; %bb.800:
	s_cmp_gt_i32 s22, 3
	s_cbranch_scc0 .LBB7_802
; %bb.801:
	v_trunc_f64_e32 v[2:3], v[0:1]
	s_mov_b32 s23, 0
	v_ldexp_f64 v[6:7], v[2:3], 0xffffffe0
	v_floor_f64_e32 v[6:7], v[6:7]
	v_fma_f64 v[2:3], 0xc1f00000, v[6:7], v[2:3]
	v_cvt_i32_f64_e32 v7, v[6:7]
	v_cvt_u32_f64_e32 v6, v[2:3]
	global_store_dwordx2 v[4:5], v[6:7], off
.LBB7_802:
	s_andn2_b32 vcc_lo, exec_lo, s23
	s_cbranch_vccnz .LBB7_804
; %bb.803:
	v_cvt_i32_f64_e32 v2, v[0:1]
	global_store_dword v[4:5], v2, off
.LBB7_804:
	s_mov_b32 s23, 0
.LBB7_805:
	s_andn2_b32 vcc_lo, exec_lo, s23
	s_cbranch_vccnz .LBB7_807
; %bb.806:
	v_cvt_i32_f64_e32 v2, v[0:1]
	global_store_short v[4:5], v2, off
.LBB7_807:
	s_mov_b32 s23, 0
.LBB7_808:
	s_andn2_b32 vcc_lo, exec_lo, s23
	s_cbranch_vccnz .LBB7_813
; %bb.809:
	s_cmp_gt_i32 s22, 0
	s_mov_b32 s22, -1
	s_cbranch_scc0 .LBB7_811
; %bb.810:
	v_cvt_i32_f64_e32 v2, v[0:1]
	s_mov_b32 s22, 0
	global_store_byte v[4:5], v2, off
.LBB7_811:
	s_andn2_b32 vcc_lo, exec_lo, s22
	s_cbranch_vccnz .LBB7_813
; %bb.812:
	v_trunc_f64_e32 v[0:1], v[0:1]
	v_ldexp_f64 v[2:3], v[0:1], 0xffffffe0
	v_floor_f64_e32 v[2:3], v[2:3]
	v_fma_f64 v[0:1], 0xc1f00000, v[2:3], v[0:1]
	v_cvt_u32_f64_e32 v0, v[0:1]
	global_store_byte v[4:5], v0, off
.LBB7_813:
	s_mov_b32 s43, -1
.LBB7_814:
	s_andn2_b32 vcc_lo, exec_lo, s43
	s_cbranch_vccnz .LBB7_816
; %bb.815:
	v_add_nc_u32_e32 v10, 0x80, v10
	s_mov_b32 s43, -1
	s_branch .LBB7_818
.LBB7_816:
	s_mov_b32 s43, 0
.LBB7_817:
                                        ; implicit-def: $vgpr10
.LBB7_818:
	s_andn2_b32 s22, s40, exec_lo
	s_and_b32 s0, s0, exec_lo
	s_andn2_b32 s44, s39, exec_lo
	s_and_b32 s1, s1, exec_lo
	s_or_b32 s23, s22, s0
	s_or_b32 s22, s44, s1
	s_orn2_b32 s44, s43, exec_lo
.LBB7_819:
	s_or_b32 exec_lo, exec_lo, s42
	s_mov_b32 s0, 0
	s_mov_b32 s1, 0
	;; [unrolled: 1-line block ×3, first 2 shown]
                                        ; implicit-def: $vgpr0_vgpr1
                                        ; implicit-def: $vgpr2
                                        ; implicit-def: $vgpr6_vgpr7
	s_and_saveexec_b32 s42, s44
	s_cbranch_execz .LBB7_919
; %bb.820:
	v_cmp_gt_i32_e32 vcc_lo, s33, v10
	s_mov_b32 s45, s22
	s_mov_b32 s44, 0
                                        ; implicit-def: $vgpr0_vgpr1
                                        ; implicit-def: $vgpr2
                                        ; implicit-def: $vgpr6_vgpr7
	s_and_saveexec_b32 s33, vcc_lo
	s_cbranch_execz .LBB7_918
; %bb.821:
	s_andn2_b32 vcc_lo, exec_lo, s27
	s_cbranch_vccnz .LBB7_826
; %bb.822:
	s_andn2_b32 vcc_lo, exec_lo, s34
	s_cbranch_vccnz .LBB7_827
; %bb.823:
	s_add_i32 s35, s35, 1
	s_cmp_eq_u32 s25, 2
	s_cbranch_scc1 .LBB7_828
; %bb.824:
	v_mov_b32_e32 v0, 0
	v_mov_b32_e32 v2, 0
	v_mov_b32_e32 v1, v10
	s_and_b32 s34, s35, 28
	s_mov_b64 s[0:1], s[2:3]
.LBB7_825:                              ; =>This Inner Loop Header: Depth=1
	s_clause 0x1
	s_load_dwordx8 s[44:51], s[0:1], 0x4
	s_load_dwordx4 s[60:63], s[0:1], 0x24
	s_load_dwordx8 s[52:59], s[20:21], 0x0
	s_add_u32 s0, s0, 48
	s_addc_u32 s1, s1, 0
	s_add_i32 s43, s43, 4
	s_add_u32 s20, s20, 32
	s_addc_u32 s21, s21, 0
	s_cmp_eq_u32 s34, s43
	s_waitcnt lgkmcnt(0)
	v_mul_hi_u32 v3, s45, v1
	v_add_nc_u32_e32 v3, v1, v3
	v_lshrrev_b32_e32 v3, s46, v3
	v_mul_hi_u32 v4, s48, v3
	s_waitcnt vmcnt(0)
	v_mul_lo_u32 v6, v3, s44
	v_add_nc_u32_e32 v4, v3, v4
	v_sub_nc_u32_e32 v1, v1, v6
	v_lshrrev_b32_e32 v4, s49, v4
	v_mul_lo_u32 v6, v1, s52
	v_mul_lo_u32 v8, v1, s53
	v_mul_hi_u32 v5, s51, v4
	v_add_nc_u32_e32 v5, v4, v5
	v_lshrrev_b32_e32 v5, s60, v5
	v_mul_hi_u32 v7, s62, v5
	v_mul_lo_u32 v9, v5, s50
	v_add_nc_u32_e32 v1, v5, v7
	v_mul_lo_u32 v7, v4, s47
	v_sub_nc_u32_e32 v4, v4, v9
	v_lshrrev_b32_e32 v1, s63, v1
	v_mul_lo_u32 v9, v4, s56
	v_mul_lo_u32 v4, v4, s57
	v_sub_nc_u32_e32 v3, v3, v7
	v_mul_lo_u32 v11, v1, s61
	v_mul_lo_u32 v7, v3, s54
	;; [unrolled: 1-line block ×3, first 2 shown]
	v_sub_nc_u32_e32 v5, v5, v11
	v_add3_u32 v2, v6, v2, v7
	v_mul_lo_u32 v11, v5, s58
	v_mul_lo_u32 v5, v5, s59
	v_add3_u32 v0, v8, v0, v3
	v_add3_u32 v2, v9, v2, v11
	;; [unrolled: 1-line block ×3, first 2 shown]
	s_cbranch_scc0 .LBB7_825
	s_branch .LBB7_829
.LBB7_826:
	s_mov_b32 s0, -1
                                        ; implicit-def: $vgpr2
                                        ; implicit-def: $vgpr0
	s_branch .LBB7_833
.LBB7_827:
	v_mov_b32_e32 v2, 0
	v_mov_b32_e32 v0, 0
	s_branch .LBB7_832
.LBB7_828:
	v_mov_b32_e32 v2, 0
	v_mov_b32_e32 v0, 0
	;; [unrolled: 1-line block ×3, first 2 shown]
	s_mov_b32 s34, 0
.LBB7_829:
	s_and_b32 s35, s35, 3
	s_cmp_eq_u32 s35, 0
	s_cbranch_scc1 .LBB7_832
; %bb.830:
	s_lshl_b32 s0, s34, 3
	s_mul_i32 s20, s34, 12
	s_add_u32 s0, s2, s0
	s_addc_u32 s1, s3, 0
	s_add_u32 s0, s0, 0xc4
	s_addc_u32 s1, s1, 0
	s_add_u32 s20, s2, s20
	s_addc_u32 s21, s3, 0
.LBB7_831:                              ; =>This Inner Loop Header: Depth=1
	s_clause 0x1
	s_load_dwordx2 s[44:45], s[20:21], 0x4
	s_load_dword s34, s[20:21], 0xc
	s_load_dwordx2 s[46:47], s[0:1], 0x0
	s_add_u32 s20, s20, 12
	s_addc_u32 s21, s21, 0
	s_add_u32 s0, s0, 8
	s_addc_u32 s1, s1, 0
	s_add_i32 s35, s35, -1
	s_cmp_lg_u32 s35, 0
	s_waitcnt lgkmcnt(0)
	v_mul_hi_u32 v3, s45, v1
	v_add_nc_u32_e32 v3, v1, v3
	v_lshrrev_b32_e32 v4, s34, v3
	v_mul_lo_u32 v3, v4, s44
	v_sub_nc_u32_e32 v1, v1, v3
	v_mad_u64_u32 v[2:3], null, v1, s46, v[2:3]
	v_mad_u64_u32 v[0:1], null, v1, s47, v[0:1]
	v_mov_b32_e32 v1, v4
	s_cbranch_scc1 .LBB7_831
.LBB7_832:
	s_mov_b32 s0, 0
.LBB7_833:
	s_andn2_b32 vcc_lo, exec_lo, s0
	s_cbranch_vccnz .LBB7_836
; %bb.834:
	s_waitcnt lgkmcnt(0)
	v_mul_hi_u32 v0, s17, v10
	s_andn2_b32 vcc_lo, exec_lo, s31
	v_add_nc_u32_e32 v0, v10, v0
	v_lshrrev_b32_e32 v1, s18, v0
	v_mul_lo_u32 v0, v1, s16
	v_sub_nc_u32_e32 v0, v10, v0
	v_mul_lo_u32 v2, v0, s12
	v_mul_lo_u32 v0, v0, s13
	s_cbranch_vccnz .LBB7_836
; %bb.835:
	v_mul_hi_u32 v3, s6, v1
	v_add_nc_u32_e32 v3, v1, v3
	v_lshrrev_b32_e32 v3, s7, v3
	v_mul_lo_u32 v3, v3, s19
	v_sub_nc_u32_e32 v1, v1, v3
	v_mad_u64_u32 v[2:3], null, v1, s14, v[2:3]
	v_mad_u64_u32 v[0:1], null, v1, s15, v[0:1]
.LBB7_836:
	s_waitcnt lgkmcnt(0)
	v_add_co_u32 v0, s0, s10, v0
	v_add_co_ci_u32_e64 v1, null, s11, 0, s0
	s_and_b32 s0, 0xffff, s30
	s_cmp_lt_i32 s0, 11
	s_cbranch_scc1 .LBB7_843
; %bb.837:
	s_cmp_gt_i32 s0, 25
	s_mov_b32 s6, 0
	s_cbranch_scc0 .LBB7_844
; %bb.838:
	s_cmp_gt_i32 s0, 28
	s_cbranch_scc0 .LBB7_845
; %bb.839:
	s_cmp_gt_i32 s0, 43
	;; [unrolled: 3-line block ×3, first 2 shown]
	s_cbranch_scc0 .LBB7_849
; %bb.841:
	s_cmp_eq_u32 s0, 46
	s_mov_b32 s10, 0
	s_cbranch_scc0 .LBB7_852
; %bb.842:
	global_load_dword v3, v[0:1], off
	s_mov_b32 s1, 0
	s_mov_b32 s7, -1
	s_waitcnt vmcnt(0)
	v_lshlrev_b32_e32 v3, 16, v3
	v_cvt_f64_f32_e32 v[6:7], v3
	s_branch .LBB7_854
.LBB7_843:
	s_mov_b32 s0, -1
	s_mov_b32 s7, 0
	s_mov_b32 s6, 0
	;; [unrolled: 1-line block ×3, first 2 shown]
                                        ; implicit-def: $vgpr6_vgpr7
	s_branch .LBB7_917
.LBB7_844:
	s_mov_b32 s10, -1
	s_mov_b32 s7, 0
	s_mov_b32 s1, s22
                                        ; implicit-def: $vgpr6_vgpr7
	s_branch .LBB7_885
.LBB7_845:
	s_mov_b32 s10, -1
	s_mov_b32 s7, 0
	s_mov_b32 s1, s22
                                        ; implicit-def: $vgpr6_vgpr7
	s_branch .LBB7_864
.LBB7_846:
	s_mov_b32 s10, -1
	s_mov_b32 s7, 0
	s_mov_b32 s1, s22
                                        ; implicit-def: $vgpr6_vgpr7
	s_branch .LBB7_859
.LBB7_847:
	s_andn2_saveexec_b32 s45, s45
	s_cbranch_execz .LBB7_727
.LBB7_848:
	v_add_f32_e64 v3, 0x46000000, |v2|
	s_andn2_b32 s44, s44, exec_lo
	v_and_b32_e32 v3, 0xff, v3
	v_cmp_ne_u32_e32 vcc_lo, 0, v3
	s_and_b32 s46, vcc_lo, exec_lo
	s_or_b32 s44, s44, s46
	s_or_b32 exec_lo, exec_lo, s45
	v_mov_b32_e32 v6, 0
	s_and_saveexec_b32 s45, s44
	s_cbranch_execnz .LBB7_728
	s_branch .LBB7_729
.LBB7_849:
	s_mov_b32 s10, -1
	s_mov_b32 s7, 0
	s_mov_b32 s1, s22
	s_branch .LBB7_853
.LBB7_850:
	s_andn2_saveexec_b32 s45, s45
	s_cbranch_execz .LBB7_740
.LBB7_851:
	v_add_f32_e64 v3, 0x42800000, |v2|
	s_andn2_b32 s44, s44, exec_lo
	v_and_b32_e32 v3, 0xff, v3
	v_cmp_ne_u32_e32 vcc_lo, 0, v3
	s_and_b32 s46, vcc_lo, exec_lo
	s_or_b32 s44, s44, s46
	s_or_b32 exec_lo, exec_lo, s45
	v_mov_b32_e32 v6, 0
	s_and_saveexec_b32 s45, s44
	s_cbranch_execnz .LBB7_741
	s_branch .LBB7_742
.LBB7_852:
	s_mov_b32 s1, -1
	s_mov_b32 s7, 0
.LBB7_853:
                                        ; implicit-def: $vgpr6_vgpr7
.LBB7_854:
	s_and_b32 vcc_lo, exec_lo, s10
	s_cbranch_vccz .LBB7_858
; %bb.855:
	s_cmp_eq_u32 s0, 44
	s_cbranch_scc0 .LBB7_857
; %bb.856:
	global_load_ubyte v5, v[0:1], off
	s_mov_b32 s1, 0
	s_mov_b32 s7, -1
	s_waitcnt vmcnt(0)
	v_lshlrev_b32_e32 v3, 23, v5
	v_cmp_ne_u32_e32 vcc_lo, 0xff, v5
	v_cvt_f64_f32_e32 v[3:4], v3
	v_cndmask_b32_e32 v3, 0x20000000, v3, vcc_lo
	v_cndmask_b32_e32 v4, 0x7ff80000, v4, vcc_lo
	v_cmp_ne_u32_e32 vcc_lo, 0, v5
	v_cndmask_b32_e32 v7, 0x38000000, v4, vcc_lo
	v_cndmask_b32_e32 v6, 0, v3, vcc_lo
	s_branch .LBB7_858
.LBB7_857:
	s_mov_b32 s1, -1
                                        ; implicit-def: $vgpr6_vgpr7
.LBB7_858:
	s_mov_b32 s10, 0
.LBB7_859:
	s_and_b32 vcc_lo, exec_lo, s10
	s_cbranch_vccz .LBB7_863
; %bb.860:
	s_cmp_eq_u32 s0, 29
	s_cbranch_scc0 .LBB7_862
; %bb.861:
	global_load_dwordx2 v[3:4], v[0:1], off
	s_mov_b32 s1, 0
	s_mov_b32 s7, -1
	s_mov_b32 s10, 0
	s_waitcnt vmcnt(0)
	v_cvt_f64_u32_e32 v[4:5], v4
	v_cvt_f64_u32_e32 v[6:7], v3
	v_ldexp_f64 v[4:5], v[4:5], 32
	v_add_f64 v[6:7], v[4:5], v[6:7]
	s_branch .LBB7_864
.LBB7_862:
	s_mov_b32 s1, -1
                                        ; implicit-def: $vgpr6_vgpr7
.LBB7_863:
	s_mov_b32 s10, 0
.LBB7_864:
	s_and_b32 vcc_lo, exec_lo, s10
	s_cbranch_vccz .LBB7_884
; %bb.865:
	s_cmp_lt_i32 s0, 27
	s_cbranch_scc1 .LBB7_868
; %bb.866:
	s_cmp_gt_i32 s0, 27
	s_cbranch_scc0 .LBB7_869
; %bb.867:
	global_load_dword v3, v[0:1], off
	s_mov_b32 s7, 0
	s_waitcnt vmcnt(0)
	v_cvt_f64_u32_e32 v[6:7], v3
	s_branch .LBB7_870
.LBB7_868:
	s_mov_b32 s7, -1
                                        ; implicit-def: $vgpr6_vgpr7
	s_branch .LBB7_873
.LBB7_869:
	s_mov_b32 s7, -1
                                        ; implicit-def: $vgpr6_vgpr7
.LBB7_870:
	s_andn2_b32 vcc_lo, exec_lo, s7
	s_cbranch_vccnz .LBB7_872
; %bb.871:
	global_load_ushort v3, v[0:1], off
	s_waitcnt vmcnt(0)
	v_cvt_f64_u32_e32 v[6:7], v3
.LBB7_872:
	s_mov_b32 s7, 0
.LBB7_873:
	s_andn2_b32 vcc_lo, exec_lo, s7
	s_cbranch_vccnz .LBB7_883
; %bb.874:
	global_load_ubyte v3, v[0:1], off
	s_mov_b32 s7, 0
	s_mov_b32 s10, exec_lo
	s_waitcnt vmcnt(0)
	v_cmpx_lt_i16_e32 0x7f, v3
	s_xor_b32 s10, exec_lo, s10
	s_cbranch_execz .LBB7_878
; %bb.875:
	s_mov_b32 s7, -1
	s_mov_b32 s11, exec_lo
	v_cmpx_eq_u16_e32 0x80, v3
; %bb.876:
	s_xor_b32 s7, exec_lo, -1
; %bb.877:
	s_or_b32 exec_lo, exec_lo, s11
	s_and_b32 s7, s7, exec_lo
.LBB7_878:
	s_or_saveexec_b32 s10, s10
	v_bfrev_b32_e32 v6, 4
	v_mov_b32_e32 v7, 0x7ff80000
	s_xor_b32 exec_lo, exec_lo, s10
; %bb.879:
	v_cmp_ne_u16_e32 vcc_lo, 0, v3
	v_mov_b32_e32 v6, 0
	v_mov_b32_e32 v7, 0
	s_andn2_b32 s7, s7, exec_lo
	s_and_b32 s11, vcc_lo, exec_lo
	s_or_b32 s7, s7, s11
; %bb.880:
	s_or_b32 exec_lo, exec_lo, s10
	s_and_saveexec_b32 s10, s7
	s_cbranch_execz .LBB7_882
; %bb.881:
	v_and_b32_e32 v4, 0xffff, v3
	v_lshlrev_b32_e32 v3, 24, v3
	v_and_b32_e32 v5, 7, v4
	v_bfe_u32 v8, v4, 3, 4
	v_and_b32_e32 v3, 0x80000000, v3
	v_ffbh_u32_e32 v6, v5
	v_cmp_eq_u32_e32 vcc_lo, 0, v8
	v_min_u32_e32 v6, 32, v6
	v_subrev_nc_u32_e32 v7, 28, v6
	v_sub_nc_u32_e32 v6, 29, v6
	v_lshlrev_b32_e32 v4, v7, v4
	v_cndmask_b32_e32 v6, v8, v6, vcc_lo
	v_and_b32_e32 v4, 7, v4
	v_cndmask_b32_e32 v4, v5, v4, vcc_lo
	v_lshl_add_u32 v5, v6, 23, 0x3b800000
	v_lshlrev_b32_e32 v4, 20, v4
	v_or3_b32 v3, v3, v5, v4
	v_cvt_f64_f32_e32 v[6:7], v3
.LBB7_882:
	s_or_b32 exec_lo, exec_lo, s10
.LBB7_883:
	s_mov_b32 s7, -1
.LBB7_884:
	s_mov_b32 s10, 0
.LBB7_885:
	s_and_b32 vcc_lo, exec_lo, s10
	s_cbranch_vccz .LBB7_916
; %bb.886:
	s_cmp_gt_i32 s0, 22
	s_cbranch_scc0 .LBB7_898
; %bb.887:
	s_cmp_lt_i32 s0, 24
	s_cbranch_scc1 .LBB7_899
; %bb.888:
	s_cmp_gt_i32 s0, 24
	s_cbranch_scc0 .LBB7_900
; %bb.889:
	global_load_ubyte v3, v[0:1], off
	s_mov_b32 s7, exec_lo
	s_waitcnt vmcnt(0)
	v_cmpx_lt_i16_e32 0x7f, v3
	s_xor_b32 s7, exec_lo, s7
	s_cbranch_execz .LBB7_893
; %bb.890:
	s_mov_b32 s6, -1
	s_mov_b32 s10, exec_lo
	v_cmpx_eq_u16_e32 0x80, v3
; %bb.891:
	s_xor_b32 s6, exec_lo, -1
; %bb.892:
	s_or_b32 exec_lo, exec_lo, s10
	s_and_b32 s6, s6, exec_lo
.LBB7_893:
	s_or_saveexec_b32 s7, s7
	v_bfrev_b32_e32 v6, 4
	v_mov_b32_e32 v7, 0x7ff80000
	s_xor_b32 exec_lo, exec_lo, s7
; %bb.894:
	v_cmp_ne_u16_e32 vcc_lo, 0, v3
	v_mov_b32_e32 v6, 0
	v_mov_b32_e32 v7, 0
	s_andn2_b32 s6, s6, exec_lo
	s_and_b32 s10, vcc_lo, exec_lo
	s_or_b32 s6, s6, s10
; %bb.895:
	s_or_b32 exec_lo, exec_lo, s7
	s_and_saveexec_b32 s7, s6
	s_cbranch_execz .LBB7_897
; %bb.896:
	v_and_b32_e32 v4, 0xffff, v3
	v_lshlrev_b32_e32 v3, 24, v3
	v_and_b32_e32 v5, 3, v4
	v_bfe_u32 v8, v4, 2, 5
	v_and_b32_e32 v3, 0x80000000, v3
	v_ffbh_u32_e32 v6, v5
	v_cmp_eq_u32_e32 vcc_lo, 0, v8
	v_min_u32_e32 v6, 32, v6
	v_subrev_nc_u32_e32 v7, 29, v6
	v_sub_nc_u32_e32 v6, 30, v6
	v_lshlrev_b32_e32 v4, v7, v4
	v_cndmask_b32_e32 v6, v8, v6, vcc_lo
	v_and_b32_e32 v4, 3, v4
	v_cndmask_b32_e32 v4, v5, v4, vcc_lo
	v_lshl_add_u32 v5, v6, 23, 0x37800000
	v_lshlrev_b32_e32 v4, 21, v4
	v_or3_b32 v3, v3, v5, v4
	v_cvt_f64_f32_e32 v[6:7], v3
.LBB7_897:
	s_or_b32 exec_lo, exec_lo, s7
	s_mov_b32 s6, 0
	s_branch .LBB7_901
.LBB7_898:
	s_mov_b32 s6, -1
                                        ; implicit-def: $vgpr6_vgpr7
	s_branch .LBB7_907
.LBB7_899:
	s_mov_b32 s6, -1
                                        ; implicit-def: $vgpr6_vgpr7
	s_branch .LBB7_904
.LBB7_900:
	s_mov_b32 s6, -1
                                        ; implicit-def: $vgpr6_vgpr7
.LBB7_901:
	s_and_b32 vcc_lo, exec_lo, s6
	s_cbranch_vccz .LBB7_903
; %bb.902:
	global_load_ubyte v3, v[0:1], off
	s_waitcnt vmcnt(0)
	v_lshlrev_b32_e32 v3, 24, v3
	v_and_b32_e32 v4, 0x7f000000, v3
	v_ffbh_u32_e32 v5, v4
	v_add_nc_u32_e32 v7, 0x1000000, v4
	v_cmp_ne_u32_e32 vcc_lo, 0, v4
	v_min_u32_e32 v5, 32, v5
	v_sub_nc_u32_e64 v5, v5, 4 clamp
	v_lshlrev_b32_e32 v6, v5, v4
	v_lshlrev_b32_e32 v5, 23, v5
	v_lshrrev_b32_e32 v6, 4, v6
	v_sub_nc_u32_e32 v5, v6, v5
	v_ashrrev_i32_e32 v6, 8, v7
	v_add_nc_u32_e32 v5, 0x3c000000, v5
	v_and_or_b32 v5, 0x7f800000, v6, v5
	v_cndmask_b32_e32 v4, 0, v5, vcc_lo
	v_and_or_b32 v3, 0x80000000, v3, v4
	v_cvt_f64_f32_e32 v[6:7], v3
.LBB7_903:
	s_mov_b32 s6, 0
.LBB7_904:
	s_andn2_b32 vcc_lo, exec_lo, s6
	s_cbranch_vccnz .LBB7_906
; %bb.905:
	global_load_ubyte v3, v[0:1], off
	s_waitcnt vmcnt(0)
	v_lshlrev_b32_e32 v4, 25, v3
	v_lshlrev_b16 v3, 8, v3
	v_lshrrev_b32_e32 v5, 4, v4
	v_and_or_b32 v6, 0x7f00, v3, 0.5
	v_cmp_gt_u32_e32 vcc_lo, 0x8000000, v4
	v_bfe_i32 v3, v3, 0, 16
	v_or_b32_e32 v5, 0x70000000, v5
	v_add_f32_e32 v6, -0.5, v6
	v_mul_f32_e32 v5, 0x7800000, v5
	v_cndmask_b32_e32 v4, v5, v6, vcc_lo
	v_and_or_b32 v3, 0x80000000, v3, v4
	v_cvt_f64_f32_e32 v[6:7], v3
.LBB7_906:
	s_mov_b32 s6, 0
	s_mov_b32 s7, -1
.LBB7_907:
	s_andn2_b32 vcc_lo, exec_lo, s6
	s_mov_b32 s6, 0
	s_cbranch_vccnz .LBB7_916
; %bb.908:
	s_cmp_gt_i32 s0, 14
	s_cbranch_scc0 .LBB7_911
; %bb.909:
	s_cmp_eq_u32 s0, 15
	s_cbranch_scc0 .LBB7_912
; %bb.910:
	global_load_ushort v3, v[0:1], off
	s_mov_b32 s1, 0
	s_mov_b32 s7, -1
	s_waitcnt vmcnt(0)
	v_lshlrev_b32_e32 v3, 16, v3
	v_cvt_f64_f32_e32 v[6:7], v3
	s_branch .LBB7_914
.LBB7_911:
	s_mov_b32 s6, -1
	s_branch .LBB7_913
.LBB7_912:
	s_mov_b32 s1, -1
.LBB7_913:
                                        ; implicit-def: $vgpr6_vgpr7
.LBB7_914:
	s_and_b32 vcc_lo, exec_lo, s6
	s_mov_b32 s6, 0
	s_cbranch_vccz .LBB7_916
; %bb.915:
	s_cmp_lg_u32 s0, 11
	s_mov_b32 s6, -1
	s_cselect_b32 s0, -1, 0
	s_andn2_b32 s1, s1, exec_lo
	s_and_b32 s0, s0, exec_lo
	s_or_b32 s1, s1, s0
.LBB7_916:
	s_mov_b32 s0, 0
.LBB7_917:
	s_and_b32 s43, s7, exec_lo
	s_andn2_b32 s7, s22, exec_lo
	s_and_b32 s1, s1, exec_lo
	s_and_b32 s44, s0, exec_lo
	s_and_b32 s0, s6, exec_lo
	s_or_b32 s45, s7, s1
.LBB7_918:
	s_or_b32 exec_lo, exec_lo, s33
	s_waitcnt lgkmcnt(0)
	s_andn2_b32 s6, s22, exec_lo
	s_and_b32 s7, s45, exec_lo
	s_and_b32 s43, s43, exec_lo
	;; [unrolled: 1-line block ×4, first 2 shown]
	s_or_b32 s22, s6, s7
.LBB7_919:
	s_or_b32 exec_lo, exec_lo, s42
	s_waitcnt lgkmcnt(0)
	s_andn2_b32 s6, s40, exec_lo
	s_and_b32 s7, s23, exec_lo
	s_and_b32 s42, s43, exec_lo
	s_or_b32 s40, s6, s7
	s_andn2_b32 s6, s39, exec_lo
	s_and_b32 s7, s22, exec_lo
	s_and_b32 s23, s1, exec_lo
	;; [unrolled: 1-line block ×3, first 2 shown]
	s_or_b32 s39, s6, s7
.LBB7_920:
	s_or_b32 exec_lo, exec_lo, s41
	s_andn2_b32 s0, s36, exec_lo
	s_waitcnt lgkmcnt(0)
	s_and_b32 s6, s40, exec_lo
	s_and_b32 s7, s39, exec_lo
	s_or_b32 s36, s0, s6
	s_andn2_b32 s6, s37, exec_lo
	s_and_b32 s0, s42, exec_lo
	s_and_b32 s22, s23, exec_lo
	;; [unrolled: 1-line block ×3, first 2 shown]
	s_or_b32 s37, s6, s7
	s_or_b32 exec_lo, exec_lo, s38
	s_mov_b32 s1, 0
	s_and_saveexec_b32 s6, s37
	s_cbranch_execz .LBB7_274
.LBB7_921:
	s_mov_b32 s1, exec_lo
	s_andn2_b32 s39, s39, exec_lo
	s_trap 2
	s_or_b32 exec_lo, exec_lo, s6
	s_and_saveexec_b32 s6, s39
	s_xor_b32 s6, exec_lo, s6
	s_cbranch_execnz .LBB7_275
.LBB7_922:
	s_or_b32 exec_lo, exec_lo, s6
	s_and_saveexec_b32 s6, s22
	s_cbranch_execz .LBB7_968
.LBB7_923:
	s_sext_i32_i16 s7, s30
	s_cmp_lt_i32 s7, 5
	s_cbranch_scc1 .LBB7_928
; %bb.924:
	s_cmp_lt_i32 s7, 8
	s_cbranch_scc1 .LBB7_929
; %bb.925:
	;; [unrolled: 3-line block ×3, first 2 shown]
	s_cmp_gt_i32 s7, 9
	s_cbranch_scc0 .LBB7_931
; %bb.927:
	global_load_dwordx2 v[6:7], v[0:1], off
	s_mov_b32 s7, 0
	s_branch .LBB7_932
.LBB7_928:
                                        ; implicit-def: $vgpr6_vgpr7
	s_branch .LBB7_949
.LBB7_929:
                                        ; implicit-def: $vgpr6_vgpr7
	s_branch .LBB7_938
.LBB7_930:
	s_mov_b32 s7, -1
                                        ; implicit-def: $vgpr6_vgpr7
	s_branch .LBB7_935
.LBB7_931:
	s_mov_b32 s7, -1
                                        ; implicit-def: $vgpr6_vgpr7
.LBB7_932:
	s_andn2_b32 vcc_lo, exec_lo, s7
	s_cbranch_vccnz .LBB7_934
; %bb.933:
	global_load_dword v3, v[0:1], off
	s_waitcnt vmcnt(0)
	v_cvt_f64_f32_e32 v[6:7], v3
.LBB7_934:
	s_mov_b32 s7, 0
.LBB7_935:
	s_andn2_b32 vcc_lo, exec_lo, s7
	s_cbranch_vccnz .LBB7_937
; %bb.936:
	global_load_dword v3, v[0:1], off
	s_waitcnt vmcnt(0)
	v_cvt_f32_f16_e32 v3, v3
	v_cvt_f64_f32_e32 v[6:7], v3
.LBB7_937:
	s_cbranch_execnz .LBB7_948
.LBB7_938:
	s_sext_i32_i16 s7, s30
	s_cmp_lt_i32 s7, 6
	s_cbranch_scc1 .LBB7_941
; %bb.939:
	s_cmp_gt_i32 s7, 6
	s_cbranch_scc0 .LBB7_942
; %bb.940:
	global_load_dwordx2 v[6:7], v[0:1], off
	s_mov_b32 s7, 0
	s_branch .LBB7_943
.LBB7_941:
	s_mov_b32 s7, -1
                                        ; implicit-def: $vgpr6_vgpr7
	s_branch .LBB7_946
.LBB7_942:
	s_mov_b32 s7, -1
                                        ; implicit-def: $vgpr6_vgpr7
.LBB7_943:
	s_andn2_b32 vcc_lo, exec_lo, s7
	s_cbranch_vccnz .LBB7_945
; %bb.944:
	global_load_dword v3, v[0:1], off
	s_waitcnt vmcnt(0)
	v_cvt_f64_f32_e32 v[6:7], v3
.LBB7_945:
	s_mov_b32 s7, 0
.LBB7_946:
	s_andn2_b32 vcc_lo, exec_lo, s7
	s_cbranch_vccnz .LBB7_948
; %bb.947:
	global_load_ushort v3, v[0:1], off
	s_waitcnt vmcnt(0)
	v_cvt_f32_f16_e32 v3, v3
	v_cvt_f64_f32_e32 v[6:7], v3
.LBB7_948:
	s_cbranch_execnz .LBB7_967
.LBB7_949:
	s_sext_i32_i16 s7, s30
	s_cmp_lt_i32 s7, 2
	s_cbranch_scc1 .LBB7_953
; %bb.950:
	s_cmp_lt_i32 s7, 3
	s_cbranch_scc1 .LBB7_954
; %bb.951:
	s_cmp_gt_i32 s7, 3
	s_cbranch_scc0 .LBB7_955
; %bb.952:
	global_load_dwordx2 v[3:4], v[0:1], off
	s_mov_b32 s7, 0
	s_waitcnt vmcnt(0)
	v_cvt_f64_i32_e32 v[4:5], v4
	v_cvt_f64_u32_e32 v[6:7], v3
	v_ldexp_f64 v[4:5], v[4:5], 32
	v_add_f64 v[6:7], v[4:5], v[6:7]
	s_branch .LBB7_956
.LBB7_953:
                                        ; implicit-def: $vgpr6_vgpr7
	s_branch .LBB7_962
.LBB7_954:
	s_mov_b32 s7, -1
                                        ; implicit-def: $vgpr6_vgpr7
	s_branch .LBB7_959
.LBB7_955:
	s_mov_b32 s7, -1
                                        ; implicit-def: $vgpr6_vgpr7
.LBB7_956:
	s_andn2_b32 vcc_lo, exec_lo, s7
	s_cbranch_vccnz .LBB7_958
; %bb.957:
	global_load_dword v3, v[0:1], off
	s_waitcnt vmcnt(0)
	v_cvt_f64_i32_e32 v[6:7], v3
.LBB7_958:
	s_mov_b32 s7, 0
.LBB7_959:
	s_andn2_b32 vcc_lo, exec_lo, s7
	s_cbranch_vccnz .LBB7_961
; %bb.960:
	global_load_sshort v3, v[0:1], off
	s_waitcnt vmcnt(0)
	v_cvt_f64_i32_e32 v[6:7], v3
.LBB7_961:
	s_cbranch_execnz .LBB7_967
.LBB7_962:
	s_sext_i32_i16 s7, s30
	s_cmp_gt_i32 s7, 0
	s_mov_b32 s7, 0
	s_cbranch_scc0 .LBB7_964
; %bb.963:
	global_load_sbyte v3, v[0:1], off
	s_waitcnt vmcnt(0)
	v_cvt_f64_i32_e32 v[6:7], v3
	s_branch .LBB7_965
.LBB7_964:
	s_mov_b32 s7, -1
                                        ; implicit-def: $vgpr6_vgpr7
.LBB7_965:
	s_andn2_b32 vcc_lo, exec_lo, s7
	s_cbranch_vccnz .LBB7_967
; %bb.966:
	global_load_ubyte v0, v[0:1], off
	s_waitcnt vmcnt(0)
	v_cvt_f64_u32_e32 v[6:7], v0
.LBB7_967:
	s_or_b32 s0, s0, exec_lo
.LBB7_968:
	s_or_b32 exec_lo, exec_lo, s6
	s_mov_b32 s11, 0
	s_mov_b32 s10, 0
                                        ; implicit-def: $sgpr6
                                        ; implicit-def: $vgpr4_vgpr5
                                        ; implicit-def: $vgpr0_vgpr1
	s_and_saveexec_b32 s7, s0
	s_cbranch_execz .LBB7_976
; %bb.969:
	s_waitcnt vmcnt(0)
	v_and_b32_e32 v1, 0x7fffffff, v7
	v_mov_b32_e32 v0, v6
	s_mov_b32 s10, 0xbd3237f4
	s_mov_b32 s12, 0xb5e68a13
	;; [unrolled: 1-line block ×4, first 2 shown]
	v_div_scale_f64 v[3:4], null, v[0:1], v[0:1], 1.0
	v_div_scale_f64 v[12:13], vcc_lo, 1.0, v[0:1], 1.0
	s_and_b32 s6, s29, 0xff
	s_cmp_lt_i32 s6, 11
	v_rcp_f64_e32 v[8:9], v[3:4]
	v_fma_f64 v[10:11], -v[3:4], v[8:9], 1.0
	v_fma_f64 v[8:9], v[8:9], v[10:11], v[8:9]
	v_fma_f64 v[10:11], -v[3:4], v[8:9], 1.0
	v_fma_f64 v[8:9], v[8:9], v[10:11], v[8:9]
	v_mul_f64 v[10:11], v[12:13], v[8:9]
	v_fma_f64 v[3:4], -v[3:4], v[10:11], v[12:13]
	v_div_fmas_f64 v[3:4], v[3:4], v[8:9], v[10:11]
	v_cmp_gt_f64_e64 vcc_lo, |v[6:7]|, 1.0
	v_div_fixup_f64 v[3:4], v[3:4], |v[6:7]|, 1.0
	v_cndmask_b32_e32 v1, v1, v4, vcc_lo
	v_cndmask_b32_e32 v0, v6, v3, vcc_lo
	v_mul_f64 v[3:4], v[0:1], v[0:1]
	v_fma_f64 v[5:6], v[3:4], s[12:13], s[10:11]
	s_mov_b32 s10, 0x69efb384
	s_mov_b32 s11, 0x3f4b2bb0
	;; [unrolled: 1-line block ×4, first 2 shown]
	v_fma_f64 v[5:6], v[3:4], v[5:6], s[10:11]
	s_mov_b32 s10, 0xaf56de9b
	s_mov_b32 s11, 0xbf67952d
	v_fma_f64 v[5:6], v[3:4], v[5:6], s[10:11]
	s_mov_b32 s10, 0xa595c56f
	s_mov_b32 s11, 0x3f7d6d43
	;; [unrolled: 3-line block ×18, first 2 shown]
	v_mul_f64 v[3:4], v[3:4], v[5:6]
	v_fma_f64 v[0:1], v[0:1], v[3:4], v[0:1]
	v_fma_f64 v[3:4], s[12:13], s[10:11], -v[0:1]
	v_cndmask_b32_e32 v1, v1, v4, vcc_lo
	v_add_co_u32 v4, s0, s8, v2
	v_add_co_ci_u32_e64 v5, null, s9, 0, s0
	v_cndmask_b32_e32 v0, v0, v3, vcc_lo
	v_bfi_b32 v1, 0x7fffffff, v1, v7
	s_cbranch_scc1 .LBB7_979
; %bb.970:
	s_and_b32 s8, 0xffff, s6
	s_mov_b32 s9, -1
	s_cmp_gt_i32 s8, 25
	s_mov_b32 s0, s36
	s_cbranch_scc0 .LBB7_1007
; %bb.971:
	s_cmp_gt_i32 s8, 28
	s_mov_b32 s0, s36
	s_cbranch_scc0 .LBB7_991
; %bb.972:
	s_cmp_gt_i32 s8, 43
	s_mov_b32 s0, s36
	s_cbranch_scc0 .LBB7_987
; %bb.973:
	s_cmp_gt_i32 s8, 45
	s_mov_b32 s0, s36
	s_cbranch_scc0 .LBB7_981
; %bb.974:
	s_cmp_eq_u32 s8, 46
	s_mov_b32 s0, -1
	s_cbranch_scc0 .LBB7_980
; %bb.975:
	v_cvt_f32_f64_e32 v2, v[0:1]
	s_mov_b32 s0, 0
	s_mov_b32 s9, 0
	v_bfe_u32 v3, v2, 16, 1
	v_cmp_o_f32_e32 vcc_lo, v2, v2
	v_add3_u32 v2, v2, v3, 0x7fff
	v_mov_b32_e32 v3, 0x7fc0
	v_cndmask_b32_sdwa v2, v3, v2, vcc_lo dst_sel:DWORD dst_unused:UNUSED_PAD src0_sel:DWORD src1_sel:WORD_1
	global_store_dword v[4:5], v2, off
	s_branch .LBB7_981
.LBB7_976:
	s_or_b32 exec_lo, exec_lo, s7
	s_and_saveexec_b32 s0, s36
	s_cbranch_execnz .LBB7_1049
.LBB7_977:
	s_or_b32 exec_lo, exec_lo, s0
	s_and_saveexec_b32 s0, s11
	s_xor_b32 s0, exec_lo, s0
	s_cbranch_execz .LBB7_1050
.LBB7_978:
	v_cmp_neq_f64_e32 vcc_lo, 0, v[0:1]
	v_cndmask_b32_e64 v2, 0, 1, vcc_lo
	s_waitcnt vmcnt(0)
	global_store_byte v[4:5], v2, off
	s_or_b32 exec_lo, exec_lo, s0
	s_and_saveexec_b32 s0, s10
	s_xor_b32 s0, exec_lo, s0
	s_cbranch_execz .LBB7_1088
	s_branch .LBB7_1051
.LBB7_979:
	s_mov_b32 s11, 0
	s_mov_b32 s9, -1
	s_mov_b32 s0, s36
	s_branch .LBB7_1048
.LBB7_980:
	s_mov_b32 s9, 0
.LBB7_981:
	s_and_b32 vcc_lo, exec_lo, s9
	s_cbranch_vccz .LBB7_986
; %bb.982:
	s_cmp_eq_u32 s8, 44
	s_mov_b32 s0, -1
	s_cbranch_scc0 .LBB7_986
; %bb.983:
	v_cvt_f32_f64_e32 v2, v[0:1]
	v_mov_b32_e32 v3, 0xff
	s_mov_b32 s9, exec_lo
	v_bfe_u32 v6, v2, 23, 8
	v_cmpx_ne_u32_e32 0xff, v6
	s_cbranch_execz .LBB7_985
; %bb.984:
	v_and_b32_e32 v3, 0x400000, v2
	v_and_or_b32 v6, 0x3fffff, v2, v6
	v_lshrrev_b32_e32 v2, 23, v2
	v_cmp_ne_u32_e32 vcc_lo, 0, v3
	v_cmp_ne_u32_e64 s0, 0, v6
	s_and_b32 s0, vcc_lo, s0
	v_cndmask_b32_e64 v3, 0, 1, s0
	v_add_nc_u32_e32 v3, v2, v3
.LBB7_985:
	s_or_b32 exec_lo, exec_lo, s9
	s_mov_b32 s0, 0
	global_store_byte v[4:5], v3, off
.LBB7_986:
	s_mov_b32 s9, 0
.LBB7_987:
	s_and_b32 vcc_lo, exec_lo, s9
	s_cbranch_vccz .LBB7_990
; %bb.988:
	s_cmp_eq_u32 s8, 29
	s_mov_b32 s0, -1
	s_cbranch_scc0 .LBB7_990
; %bb.989:
	v_trunc_f64_e32 v[2:3], v[0:1]
	s_mov_b32 s0, 0
	s_mov_b32 s9, 0
	v_ldexp_f64 v[6:7], v[2:3], 0xffffffe0
	v_floor_f64_e32 v[6:7], v[6:7]
	v_fma_f64 v[2:3], 0xc1f00000, v[6:7], v[2:3]
	v_cvt_u32_f64_e32 v7, v[6:7]
	v_cvt_u32_f64_e32 v6, v[2:3]
	global_store_dwordx2 v[4:5], v[6:7], off
	s_branch .LBB7_991
.LBB7_990:
	s_mov_b32 s9, 0
.LBB7_991:
	s_and_b32 vcc_lo, exec_lo, s9
	s_cbranch_vccz .LBB7_1006
; %bb.992:
	s_cmp_lt_i32 s8, 27
	s_mov_b32 s9, -1
	s_cbranch_scc1 .LBB7_998
; %bb.993:
	s_cmp_gt_i32 s8, 27
	s_cbranch_scc0 .LBB7_995
; %bb.994:
	v_cvt_u32_f64_e32 v2, v[0:1]
	s_mov_b32 s9, 0
	global_store_dword v[4:5], v2, off
.LBB7_995:
	s_andn2_b32 vcc_lo, exec_lo, s9
	s_cbranch_vccnz .LBB7_997
; %bb.996:
	v_cvt_u32_f64_e32 v2, v[0:1]
	global_store_short v[4:5], v2, off
.LBB7_997:
	s_mov_b32 s9, 0
.LBB7_998:
	s_andn2_b32 vcc_lo, exec_lo, s9
	s_cbranch_vccnz .LBB7_1006
; %bb.999:
	v_cvt_f32_f64_e32 v2, v[0:1]
	v_mov_b32_e32 v6, 0x80
	s_mov_b32 s9, exec_lo
	v_and_b32_e32 v3, 0x7fffffff, v2
	v_cmpx_gt_u32_e32 0x43800000, v3
	s_cbranch_execz .LBB7_1005
; %bb.1000:
	v_cmp_lt_u32_e32 vcc_lo, 0x3bffffff, v3
	s_mov_b32 s10, 0
                                        ; implicit-def: $vgpr3
	s_and_saveexec_b32 s11, vcc_lo
	s_xor_b32 s11, exec_lo, s11
	s_cbranch_execz .LBB7_1159
; %bb.1001:
	v_bfe_u32 v3, v2, 20, 1
	s_mov_b32 s10, exec_lo
	v_add3_u32 v3, v2, v3, 0x487ffff
	v_lshrrev_b32_e32 v3, 20, v3
	s_andn2_saveexec_b32 s11, s11
	s_cbranch_execnz .LBB7_1160
.LBB7_1002:
	s_or_b32 exec_lo, exec_lo, s11
	v_mov_b32_e32 v6, 0
	s_and_saveexec_b32 s11, s10
.LBB7_1003:
	v_lshrrev_b32_e32 v2, 24, v2
	v_and_or_b32 v6, 0x80, v2, v3
.LBB7_1004:
	s_or_b32 exec_lo, exec_lo, s11
.LBB7_1005:
	s_or_b32 exec_lo, exec_lo, s9
	global_store_byte v[4:5], v6, off
.LBB7_1006:
	s_mov_b32 s9, 0
.LBB7_1007:
	s_and_b32 vcc_lo, exec_lo, s9
	s_mov_b32 s9, 0
	s_cbranch_vccz .LBB7_1047
; %bb.1008:
	s_cmp_gt_i32 s8, 22
	s_mov_b32 s10, -1
	s_cbranch_scc0 .LBB7_1040
; %bb.1009:
	s_cmp_lt_i32 s8, 24
	s_cbranch_scc1 .LBB7_1029
; %bb.1010:
	s_cmp_gt_i32 s8, 24
	s_cbranch_scc0 .LBB7_1018
; %bb.1011:
	v_cvt_f32_f64_e32 v2, v[0:1]
	v_mov_b32_e32 v6, 0x80
	s_mov_b32 s10, exec_lo
	v_and_b32_e32 v3, 0x7fffffff, v2
	v_cmpx_gt_u32_e32 0x47800000, v3
	s_cbranch_execz .LBB7_1017
; %bb.1012:
	v_cmp_lt_u32_e32 vcc_lo, 0x37ffffff, v3
	s_mov_b32 s11, 0
                                        ; implicit-def: $vgpr3
	s_and_saveexec_b32 s12, vcc_lo
	s_xor_b32 s12, exec_lo, s12
	s_cbranch_execz .LBB7_1285
; %bb.1013:
	v_bfe_u32 v3, v2, 21, 1
	s_mov_b32 s11, exec_lo
	v_add3_u32 v3, v2, v3, 0x88fffff
	v_lshrrev_b32_e32 v3, 21, v3
	s_andn2_saveexec_b32 s12, s12
	s_cbranch_execnz .LBB7_1286
.LBB7_1014:
	s_or_b32 exec_lo, exec_lo, s12
	v_mov_b32_e32 v6, 0
	s_and_saveexec_b32 s12, s11
.LBB7_1015:
	v_lshrrev_b32_e32 v2, 24, v2
	v_and_or_b32 v6, 0x80, v2, v3
.LBB7_1016:
	s_or_b32 exec_lo, exec_lo, s12
.LBB7_1017:
	s_or_b32 exec_lo, exec_lo, s10
	s_mov_b32 s10, 0
	global_store_byte v[4:5], v6, off
.LBB7_1018:
	s_and_b32 vcc_lo, exec_lo, s10
	s_cbranch_vccz .LBB7_1028
; %bb.1019:
	v_cvt_f32_f64_e32 v2, v[0:1]
	s_mov_b32 s10, exec_lo
                                        ; implicit-def: $vgpr3
	v_and_b32_e32 v6, 0x7fffffff, v2
	v_cmpx_gt_u32_e32 0x43f00000, v6
	s_xor_b32 s10, exec_lo, s10
	s_cbranch_execz .LBB7_1025
; %bb.1020:
	s_mov_b32 s11, exec_lo
                                        ; implicit-def: $vgpr3
	v_cmpx_lt_u32_e32 0x3c7fffff, v6
	s_xor_b32 s11, exec_lo, s11
; %bb.1021:
	v_bfe_u32 v3, v2, 20, 1
	v_add3_u32 v3, v2, v3, 0x407ffff
	v_and_b32_e32 v6, 0xff00000, v3
	v_lshrrev_b32_e32 v3, 20, v3
	v_cmp_ne_u32_e32 vcc_lo, 0x7f00000, v6
	v_cndmask_b32_e32 v3, 0x7e, v3, vcc_lo
; %bb.1022:
	s_andn2_saveexec_b32 s11, s11
; %bb.1023:
	v_add_f32_e64 v3, 0x46800000, |v2|
; %bb.1024:
	s_or_b32 exec_lo, exec_lo, s11
                                        ; implicit-def: $vgpr6
.LBB7_1025:
	s_andn2_saveexec_b32 s10, s10
; %bb.1026:
	v_mov_b32_e32 v3, 0x7f
	v_cmp_lt_u32_e32 vcc_lo, 0x7f800000, v6
	v_cndmask_b32_e32 v3, 0x7e, v3, vcc_lo
; %bb.1027:
	s_or_b32 exec_lo, exec_lo, s10
	v_lshrrev_b32_e32 v2, 24, v2
	v_and_or_b32 v2, 0x80, v2, v3
	global_store_byte v[4:5], v2, off
.LBB7_1028:
	s_mov_b32 s10, 0
.LBB7_1029:
	s_andn2_b32 vcc_lo, exec_lo, s10
	s_cbranch_vccnz .LBB7_1039
; %bb.1030:
	v_cvt_f32_f64_e32 v2, v[0:1]
	s_mov_b32 s10, exec_lo
                                        ; implicit-def: $vgpr3
	v_and_b32_e32 v6, 0x7fffffff, v2
	v_cmpx_gt_u32_e32 0x47800000, v6
	s_xor_b32 s10, exec_lo, s10
	s_cbranch_execz .LBB7_1036
; %bb.1031:
	s_mov_b32 s11, exec_lo
                                        ; implicit-def: $vgpr3
	v_cmpx_lt_u32_e32 0x387fffff, v6
	s_xor_b32 s11, exec_lo, s11
; %bb.1032:
	v_bfe_u32 v3, v2, 21, 1
	v_add3_u32 v3, v2, v3, 0x80fffff
	v_lshrrev_b32_e32 v3, 21, v3
; %bb.1033:
	s_andn2_saveexec_b32 s11, s11
; %bb.1034:
	v_add_f32_e64 v3, 0x43000000, |v2|
; %bb.1035:
	s_or_b32 exec_lo, exec_lo, s11
                                        ; implicit-def: $vgpr6
.LBB7_1036:
	s_andn2_saveexec_b32 s10, s10
; %bb.1037:
	v_mov_b32_e32 v3, 0x7f
	v_cmp_lt_u32_e32 vcc_lo, 0x7f800000, v6
	v_cndmask_b32_e32 v3, 0x7c, v3, vcc_lo
; %bb.1038:
	s_or_b32 exec_lo, exec_lo, s10
	v_lshrrev_b32_e32 v2, 24, v2
	v_and_or_b32 v2, 0x80, v2, v3
	global_store_byte v[4:5], v2, off
.LBB7_1039:
	s_mov_b32 s10, 0
.LBB7_1040:
	s_andn2_b32 vcc_lo, exec_lo, s10
	s_mov_b32 s11, 0
	s_cbranch_vccnz .LBB7_1048
; %bb.1041:
	s_cmp_gt_i32 s8, 14
	s_mov_b32 s10, -1
	s_cbranch_scc0 .LBB7_1045
; %bb.1042:
	s_cmp_eq_u32 s8, 15
	s_mov_b32 s0, -1
	s_cbranch_scc0 .LBB7_1044
; %bb.1043:
	v_cvt_f32_f64_e32 v2, v[0:1]
	s_mov_b32 s0, 0
	v_bfe_u32 v3, v2, 16, 1
	v_cmp_o_f32_e32 vcc_lo, v2, v2
	v_add3_u32 v2, v2, v3, 0x7fff
	v_mov_b32_e32 v3, 0x7fc0
	v_cndmask_b32_sdwa v2, v3, v2, vcc_lo dst_sel:DWORD dst_unused:UNUSED_PAD src0_sel:DWORD src1_sel:WORD_1
	global_store_short v[4:5], v2, off
.LBB7_1044:
	s_mov_b32 s10, 0
.LBB7_1045:
	s_and_b32 vcc_lo, exec_lo, s10
	s_cbranch_vccz .LBB7_1048
; %bb.1046:
	s_cmp_lg_u32 s8, 11
	s_mov_b32 s11, -1
	s_cselect_b32 s8, -1, 0
	s_andn2_b32 s0, s0, exec_lo
	s_and_b32 s8, s8, exec_lo
	s_or_b32 s0, s0, s8
	s_branch .LBB7_1048
.LBB7_1047:
	s_mov_b32 s11, 0
.LBB7_1048:
	s_andn2_b32 s8, s36, exec_lo
	s_and_b32 s0, s0, exec_lo
	s_and_b32 s10, s9, exec_lo
	;; [unrolled: 1-line block ×3, first 2 shown]
	s_or_b32 s36, s8, s0
	s_or_b32 exec_lo, exec_lo, s7
	s_and_saveexec_b32 s0, s36
	s_cbranch_execz .LBB7_977
.LBB7_1049:
	s_or_b32 s1, s1, exec_lo
	s_andn2_b32 s11, s11, exec_lo
	s_trap 2
	s_or_b32 exec_lo, exec_lo, s0
	s_and_saveexec_b32 s0, s11
	s_xor_b32 s0, exec_lo, s0
	s_cbranch_execnz .LBB7_978
.LBB7_1050:
	s_or_b32 exec_lo, exec_lo, s0
	s_and_saveexec_b32 s0, s10
	s_xor_b32 s0, exec_lo, s0
	s_cbranch_execz .LBB7_1088
.LBB7_1051:
	s_sext_i32_i16 s8, s6
	s_mov_b32 s7, -1
	s_cmp_lt_i32 s8, 5
	s_cbranch_scc1 .LBB7_1072
; %bb.1052:
	s_cmp_lt_i32 s8, 8
	s_cbranch_scc1 .LBB7_1062
; %bb.1053:
	;; [unrolled: 3-line block ×3, first 2 shown]
	s_cmp_gt_i32 s8, 9
	s_cbranch_scc0 .LBB7_1056
; %bb.1055:
	v_mov_b32_e32 v2, 0
	s_mov_b32 s7, 0
	v_mov_b32_e32 v3, v2
	s_waitcnt vmcnt(0)
	global_store_dwordx4 v[4:5], v[0:3], off
.LBB7_1056:
	s_andn2_b32 vcc_lo, exec_lo, s7
	s_cbranch_vccnz .LBB7_1058
; %bb.1057:
	v_cvt_f32_f64_e32 v2, v[0:1]
	v_mov_b32_e32 v3, 0
	s_waitcnt vmcnt(0)
	global_store_dwordx2 v[4:5], v[2:3], off
.LBB7_1058:
	s_mov_b32 s7, 0
.LBB7_1059:
	s_andn2_b32 vcc_lo, exec_lo, s7
	s_cbranch_vccnz .LBB7_1061
; %bb.1060:
	v_and_or_b32 v2, 0x1ff, v1, v0
	v_lshrrev_b32_e32 v3, 8, v1
	s_waitcnt vmcnt(0)
	v_bfe_u32 v6, v1, 20, 11
	v_cmp_ne_u32_e32 vcc_lo, 0, v2
	v_sub_nc_u32_e32 v7, 0x3f1, v6
	v_add_nc_u32_e32 v6, 0xfffffc10, v6
	v_cndmask_b32_e64 v2, 0, 1, vcc_lo
	v_and_or_b32 v2, 0xffe, v3, v2
	v_med3_i32 v3, v7, 0, 13
	v_or_b32_e32 v7, 0x1000, v2
	v_lshrrev_b32_e32 v8, v3, v7
	v_lshlrev_b32_e32 v3, v3, v8
	v_cmp_ne_u32_e32 vcc_lo, v3, v7
	v_lshl_or_b32 v7, v6, 12, v2
	v_cndmask_b32_e64 v3, 0, 1, vcc_lo
	v_cmp_gt_i32_e32 vcc_lo, 1, v6
	v_or_b32_e32 v3, v8, v3
	v_cndmask_b32_e32 v3, v7, v3, vcc_lo
	v_and_b32_e32 v7, 7, v3
	v_lshrrev_b32_e32 v3, 2, v3
	v_cmp_lt_i32_e32 vcc_lo, 5, v7
	v_cndmask_b32_e64 v8, 0, 1, vcc_lo
	v_cmp_eq_u32_e32 vcc_lo, 3, v7
	v_cndmask_b32_e64 v7, 0, 1, vcc_lo
	v_cmp_ne_u32_e32 vcc_lo, 0, v2
	v_or_b32_e32 v7, v7, v8
	v_mov_b32_e32 v8, 0x7e00
	v_add_nc_u32_e32 v3, v3, v7
	v_cndmask_b32_e32 v2, 0x7c00, v8, vcc_lo
	v_cmp_gt_i32_e32 vcc_lo, 31, v6
	v_cndmask_b32_e32 v3, 0x7c00, v3, vcc_lo
	v_cmp_eq_u32_e32 vcc_lo, 0x40f, v6
	v_cndmask_b32_e32 v2, v3, v2, vcc_lo
	v_lshrrev_b32_e32 v3, 16, v1
	v_and_or_b32 v2, 0x8000, v3, v2
	v_and_b32_e32 v2, 0xffff, v2
	global_store_dword v[4:5], v2, off
.LBB7_1061:
	s_mov_b32 s7, 0
.LBB7_1062:
	s_andn2_b32 vcc_lo, exec_lo, s7
	s_cbranch_vccnz .LBB7_1071
; %bb.1063:
	s_sext_i32_i16 s8, s6
	s_mov_b32 s7, -1
	s_cmp_lt_i32 s8, 6
	s_cbranch_scc1 .LBB7_1069
; %bb.1064:
	s_cmp_gt_i32 s8, 6
	s_cbranch_scc0 .LBB7_1066
; %bb.1065:
	s_mov_b32 s7, 0
	s_waitcnt vmcnt(0)
	global_store_dwordx2 v[4:5], v[0:1], off
.LBB7_1066:
	s_andn2_b32 vcc_lo, exec_lo, s7
	s_cbranch_vccnz .LBB7_1068
; %bb.1067:
	v_cvt_f32_f64_e32 v2, v[0:1]
	s_waitcnt vmcnt(0)
	global_store_dword v[4:5], v2, off
.LBB7_1068:
	s_mov_b32 s7, 0
.LBB7_1069:
	s_andn2_b32 vcc_lo, exec_lo, s7
	s_cbranch_vccnz .LBB7_1071
; %bb.1070:
	v_and_or_b32 v2, 0x1ff, v1, v0
	v_lshrrev_b32_e32 v3, 8, v1
	s_waitcnt vmcnt(0)
	v_bfe_u32 v6, v1, 20, 11
	v_cmp_ne_u32_e32 vcc_lo, 0, v2
	v_sub_nc_u32_e32 v7, 0x3f1, v6
	v_add_nc_u32_e32 v6, 0xfffffc10, v6
	v_cndmask_b32_e64 v2, 0, 1, vcc_lo
	v_and_or_b32 v2, 0xffe, v3, v2
	v_med3_i32 v3, v7, 0, 13
	v_or_b32_e32 v7, 0x1000, v2
	v_lshrrev_b32_e32 v8, v3, v7
	v_lshlrev_b32_e32 v3, v3, v8
	v_cmp_ne_u32_e32 vcc_lo, v3, v7
	v_lshl_or_b32 v7, v6, 12, v2
	v_cndmask_b32_e64 v3, 0, 1, vcc_lo
	v_cmp_gt_i32_e32 vcc_lo, 1, v6
	v_or_b32_e32 v3, v8, v3
	v_cndmask_b32_e32 v3, v7, v3, vcc_lo
	v_and_b32_e32 v7, 7, v3
	v_lshrrev_b32_e32 v3, 2, v3
	v_cmp_lt_i32_e32 vcc_lo, 5, v7
	v_cndmask_b32_e64 v8, 0, 1, vcc_lo
	v_cmp_eq_u32_e32 vcc_lo, 3, v7
	v_cndmask_b32_e64 v7, 0, 1, vcc_lo
	v_cmp_ne_u32_e32 vcc_lo, 0, v2
	v_or_b32_e32 v7, v7, v8
	v_mov_b32_e32 v8, 0x7e00
	v_add_nc_u32_e32 v3, v3, v7
	v_cndmask_b32_e32 v2, 0x7c00, v8, vcc_lo
	v_cmp_gt_i32_e32 vcc_lo, 31, v6
	v_cndmask_b32_e32 v3, 0x7c00, v3, vcc_lo
	v_cmp_eq_u32_e32 vcc_lo, 0x40f, v6
	v_cndmask_b32_e32 v2, v3, v2, vcc_lo
	v_lshrrev_b32_e32 v3, 16, v1
	v_and_or_b32 v2, 0x8000, v3, v2
	global_store_short v[4:5], v2, off
.LBB7_1071:
	s_mov_b32 s7, 0
.LBB7_1072:
	s_andn2_b32 vcc_lo, exec_lo, s7
	s_cbranch_vccnz .LBB7_1088
; %bb.1073:
	s_sext_i32_i16 s8, s6
	s_mov_b32 s7, -1
	s_cmp_lt_i32 s8, 2
	s_cbranch_scc1 .LBB7_1083
; %bb.1074:
	s_cmp_lt_i32 s8, 3
	s_cbranch_scc1 .LBB7_1080
; %bb.1075:
	s_cmp_gt_i32 s8, 3
	s_cbranch_scc0 .LBB7_1077
; %bb.1076:
	v_trunc_f64_e32 v[2:3], v[0:1]
	s_mov_b32 s7, 0
	s_waitcnt vmcnt(0)
	v_ldexp_f64 v[6:7], v[2:3], 0xffffffe0
	v_floor_f64_e32 v[6:7], v[6:7]
	v_fma_f64 v[2:3], 0xc1f00000, v[6:7], v[2:3]
	v_cvt_i32_f64_e32 v7, v[6:7]
	v_cvt_u32_f64_e32 v6, v[2:3]
	global_store_dwordx2 v[4:5], v[6:7], off
.LBB7_1077:
	s_andn2_b32 vcc_lo, exec_lo, s7
	s_cbranch_vccnz .LBB7_1079
; %bb.1078:
	v_cvt_i32_f64_e32 v2, v[0:1]
	s_waitcnt vmcnt(0)
	global_store_dword v[4:5], v2, off
.LBB7_1079:
	s_mov_b32 s7, 0
.LBB7_1080:
	s_andn2_b32 vcc_lo, exec_lo, s7
	s_cbranch_vccnz .LBB7_1082
; %bb.1081:
	v_cvt_i32_f64_e32 v2, v[0:1]
	s_waitcnt vmcnt(0)
	global_store_short v[4:5], v2, off
.LBB7_1082:
	s_mov_b32 s7, 0
.LBB7_1083:
	s_andn2_b32 vcc_lo, exec_lo, s7
	s_cbranch_vccnz .LBB7_1088
; %bb.1084:
	s_sext_i32_i16 s6, s6
	s_cmp_gt_i32 s6, 0
	s_mov_b32 s6, -1
	s_cbranch_scc0 .LBB7_1086
; %bb.1085:
	v_cvt_i32_f64_e32 v2, v[0:1]
	s_mov_b32 s6, 0
	s_waitcnt vmcnt(0)
	global_store_byte v[4:5], v2, off
.LBB7_1086:
	s_andn2_b32 vcc_lo, exec_lo, s6
	s_cbranch_vccnz .LBB7_1088
; %bb.1087:
	v_trunc_f64_e32 v[0:1], v[0:1]
	v_ldexp_f64 v[2:3], v[0:1], 0xffffffe0
	v_floor_f64_e32 v[2:3], v[2:3]
	v_fma_f64 v[0:1], 0xc1f00000, v[2:3], v[0:1]
	v_cvt_u32_f64_e32 v0, v[0:1]
	s_waitcnt vmcnt(0)
	global_store_byte v[4:5], v0, off
.LBB7_1088:
	s_or_b32 exec_lo, exec_lo, s0
	s_and_b32 s12, s1, exec_lo
                                        ; implicit-def: $vgpr13
                                        ; implicit-def: $vgpr10
.LBB7_1089:
	s_or_saveexec_b32 s13, s28
	s_mov_b32 s0, 0
                                        ; implicit-def: $vgpr4_vgpr5
                                        ; implicit-def: $sgpr6
                                        ; implicit-def: $vgpr0_vgpr1
	s_xor_b32 exec_lo, exec_lo, s13
	s_cbranch_execz .LBB7_2097
; %bb.1090:
	s_waitcnt vmcnt(0)
	v_cndmask_b32_e64 v5, 0, 1, s27
	s_andn2_b32 vcc_lo, exec_lo, s27
	s_cbranch_vccnz .LBB7_1096
; %bb.1091:
	s_cmp_lg_u32 s24, 0
	s_mov_b32 s8, 0
	s_cbranch_scc0 .LBB7_1097
; %bb.1092:
	s_min_u32 s10, s25, 15
	s_add_i32 s10, s10, 1
	s_cmp_eq_u32 s25, 2
	s_cbranch_scc1 .LBB7_1098
; %bb.1093:
	v_mov_b32_e32 v0, 0
	v_mov_b32_e32 v2, 0
	;; [unrolled: 1-line block ×3, first 2 shown]
	s_and_b32 s9, s10, 28
	s_add_u32 s0, s2, 0xc4
	s_addc_u32 s1, s3, 0
	s_mov_b32 s11, 0
	s_mov_b64 s[6:7], s[2:3]
.LBB7_1094:                             ; =>This Inner Loop Header: Depth=1
	s_clause 0x1
	s_load_dwordx8 s[16:23], s[6:7], 0x4
	s_load_dwordx4 s[28:31], s[6:7], 0x24
	s_load_dwordx8 s[36:43], s[0:1], 0x0
	s_add_u32 s6, s6, 48
	s_addc_u32 s7, s7, 0
	s_add_i32 s11, s11, 4
	s_add_u32 s0, s0, 32
	s_addc_u32 s1, s1, 0
	s_cmp_lg_u32 s9, s11
	s_waitcnt lgkmcnt(0)
	v_mul_hi_u32 v3, s17, v1
	v_add_nc_u32_e32 v3, v1, v3
	v_lshrrev_b32_e32 v3, s18, v3
	v_mul_hi_u32 v4, s20, v3
	v_mul_lo_u32 v7, v3, s16
	v_add_nc_u32_e32 v4, v3, v4
	v_sub_nc_u32_e32 v1, v1, v7
	v_lshrrev_b32_e32 v4, s21, v4
	v_mul_lo_u32 v7, v1, s36
	v_mul_lo_u32 v9, v1, s37
	v_mul_hi_u32 v6, s23, v4
	v_add_nc_u32_e32 v6, v4, v6
	v_lshrrev_b32_e32 v6, s28, v6
	v_mul_hi_u32 v8, s30, v6
	v_mul_lo_u32 v11, v6, s22
	v_add_nc_u32_e32 v1, v6, v8
	v_mul_lo_u32 v8, v4, s19
	v_sub_nc_u32_e32 v4, v4, v11
	v_lshrrev_b32_e32 v1, s31, v1
	v_mul_lo_u32 v11, v4, s40
	v_mul_lo_u32 v4, v4, s41
	v_sub_nc_u32_e32 v3, v3, v8
	v_mul_lo_u32 v12, v1, s29
	v_mul_lo_u32 v8, v3, s38
	;; [unrolled: 1-line block ×3, first 2 shown]
	v_sub_nc_u32_e32 v6, v6, v12
	v_add3_u32 v2, v7, v2, v8
	v_mul_lo_u32 v12, v6, s42
	v_mul_lo_u32 v6, v6, s43
	v_add3_u32 v0, v9, v0, v3
	v_add3_u32 v2, v11, v2, v12
	;; [unrolled: 1-line block ×3, first 2 shown]
	s_cbranch_scc1 .LBB7_1094
; %bb.1095:
	s_and_b32 s10, s10, 3
	s_cmp_eq_u32 s10, 0
	s_cbranch_scc0 .LBB7_1099
	s_branch .LBB7_1101
.LBB7_1096:
	s_mov_b32 s8, -1
                                        ; implicit-def: $vgpr2
                                        ; implicit-def: $vgpr0
	s_branch .LBB7_1101
.LBB7_1097:
	v_mov_b32_e32 v2, 0
	v_mov_b32_e32 v0, 0
	s_branch .LBB7_1101
.LBB7_1098:
	v_mov_b32_e32 v2, 0
	v_mov_b32_e32 v0, 0
	;; [unrolled: 1-line block ×3, first 2 shown]
	s_mov_b32 s9, 0
	s_and_b32 s10, s10, 3
	s_cmp_eq_u32 s10, 0
	s_cbranch_scc1 .LBB7_1101
.LBB7_1099:
	s_lshl_b32 s0, s9, 3
	s_mul_i32 s6, s9, 12
	s_add_u32 s0, s2, s0
	s_addc_u32 s1, s3, 0
	s_add_u32 s0, s0, 0xc4
	s_addc_u32 s1, s1, 0
	;; [unrolled: 2-line block ×3, first 2 shown]
	.p2align	6
.LBB7_1100:                             ; =>This Inner Loop Header: Depth=1
	s_clause 0x1
	s_load_dwordx2 s[14:15], s[6:7], 0x4
	s_load_dword s9, s[6:7], 0xc
	s_load_dwordx2 s[16:17], s[0:1], 0x0
	s_add_u32 s6, s6, 12
	s_addc_u32 s7, s7, 0
	s_add_u32 s0, s0, 8
	s_addc_u32 s1, s1, 0
	s_add_i32 s10, s10, -1
	s_cmp_lg_u32 s10, 0
	s_waitcnt lgkmcnt(0)
	v_mul_hi_u32 v3, s15, v1
	v_add_nc_u32_e32 v3, v1, v3
	v_lshrrev_b32_e32 v4, s9, v3
	v_mul_lo_u32 v3, v4, s14
	v_sub_nc_u32_e32 v1, v1, v3
	v_mad_u64_u32 v[2:3], null, v1, s16, v[2:3]
	v_mad_u64_u32 v[0:1], null, v1, s17, v[0:1]
	v_mov_b32_e32 v1, v4
	s_cbranch_scc1 .LBB7_1100
.LBB7_1101:
	s_andn2_b32 vcc_lo, exec_lo, s8
	s_cbranch_vccnz .LBB7_1104
; %bb.1102:
	s_clause 0x1
	s_load_dwordx4 s[8:11], s[2:3], 0x4
	s_load_dwordx2 s[0:1], s[2:3], 0xc4
	s_cmp_lt_u32 s24, 2
	s_waitcnt lgkmcnt(0)
	v_mul_hi_u32 v0, s9, v10
	v_add_nc_u32_e32 v0, v10, v0
	v_lshrrev_b32_e32 v1, s10, v0
	v_mul_lo_u32 v0, v1, s8
	v_sub_nc_u32_e32 v0, v10, v0
	v_mul_lo_u32 v2, v0, s0
	v_mul_lo_u32 v0, v0, s1
	s_cbranch_scc1 .LBB7_1104
; %bb.1103:
	s_clause 0x1
	s_load_dwordx4 s[8:11], s[2:3], 0x10
	s_load_dwordx2 s[0:1], s[2:3], 0xcc
	s_waitcnt lgkmcnt(0)
	v_mul_hi_u32 v3, s9, v1
	v_add_nc_u32_e32 v3, v1, v3
	v_lshrrev_b32_e32 v3, s10, v3
	v_mul_lo_u32 v3, v3, s8
	v_sub_nc_u32_e32 v1, v1, v3
	v_mad_u64_u32 v[2:3], null, v1, s0, v[2:3]
	v_mad_u64_u32 v[0:1], null, v1, s1, v[0:1]
.LBB7_1104:
	v_cmp_ne_u32_e32 vcc_lo, 1, v5
	v_add_nc_u32_e32 v1, 0x80, v10
	s_cbranch_vccnz .LBB7_1110
; %bb.1105:
	s_cmp_lg_u32 s24, 0
	s_mov_b32 s8, 0
	s_cbranch_scc0 .LBB7_1111
; %bb.1106:
	s_min_u32 s10, s25, 15
	s_add_i32 s10, s10, 1
	s_cmp_eq_u32 s25, 2
	s_cbranch_scc1 .LBB7_1112
; %bb.1107:
	v_mov_b32_e32 v11, 0
	v_mov_b32_e32 v8, 0
	v_mov_b32_e32 v3, v1
	s_and_b32 s9, s10, 28
	s_add_u32 s0, s2, 0xc4
	s_addc_u32 s1, s3, 0
	s_mov_b32 s11, 0
	s_mov_b64 s[6:7], s[2:3]
.LBB7_1108:                             ; =>This Inner Loop Header: Depth=1
	s_clause 0x1
	s_load_dwordx8 s[16:23], s[6:7], 0x4
	s_load_dwordx4 s[28:31], s[6:7], 0x24
	s_load_dwordx8 s[36:43], s[0:1], 0x0
	s_add_u32 s6, s6, 48
	s_addc_u32 s7, s7, 0
	s_add_i32 s11, s11, 4
	s_add_u32 s0, s0, 32
	s_addc_u32 s1, s1, 0
	s_cmp_lg_u32 s9, s11
	s_waitcnt lgkmcnt(0)
	v_mul_hi_u32 v4, s17, v3
	v_add_nc_u32_e32 v4, v3, v4
	v_lshrrev_b32_e32 v4, s18, v4
	v_mul_hi_u32 v6, s20, v4
	v_mul_lo_u32 v9, v4, s16
	v_add_nc_u32_e32 v6, v4, v6
	v_sub_nc_u32_e32 v3, v3, v9
	v_lshrrev_b32_e32 v6, s21, v6
	v_mul_lo_u32 v9, v3, s36
	v_mul_lo_u32 v14, v3, s37
	v_mul_hi_u32 v7, s23, v6
	v_add_nc_u32_e32 v7, v6, v7
	v_lshrrev_b32_e32 v7, s28, v7
	v_mul_hi_u32 v12, s30, v7
	v_mul_lo_u32 v15, v7, s22
	v_add_nc_u32_e32 v3, v7, v12
	v_mul_lo_u32 v12, v6, s19
	v_sub_nc_u32_e32 v6, v6, v15
	v_lshrrev_b32_e32 v3, s31, v3
	v_mul_lo_u32 v15, v6, s40
	v_mul_lo_u32 v6, v6, s41
	v_sub_nc_u32_e32 v4, v4, v12
	v_mul_lo_u32 v16, v3, s29
	v_mul_lo_u32 v12, v4, s38
	;; [unrolled: 1-line block ×3, first 2 shown]
	v_sub_nc_u32_e32 v7, v7, v16
	v_add3_u32 v8, v9, v8, v12
	v_mul_lo_u32 v16, v7, s42
	v_mul_lo_u32 v7, v7, s43
	v_add3_u32 v4, v14, v11, v4
	v_add3_u32 v8, v15, v8, v16
	;; [unrolled: 1-line block ×3, first 2 shown]
	s_cbranch_scc1 .LBB7_1108
; %bb.1109:
	s_and_b32 s10, s10, 3
	s_cmp_eq_u32 s10, 0
	s_cbranch_scc0 .LBB7_1113
	s_branch .LBB7_1115
.LBB7_1110:
	s_mov_b32 s8, -1
                                        ; implicit-def: $vgpr8
                                        ; implicit-def: $vgpr11
	s_branch .LBB7_1115
.LBB7_1111:
	v_mov_b32_e32 v8, 0
	v_mov_b32_e32 v11, 0
	s_branch .LBB7_1115
.LBB7_1112:
	v_mov_b32_e32 v8, 0
	v_mov_b32_e32 v11, 0
	;; [unrolled: 1-line block ×3, first 2 shown]
	s_mov_b32 s9, 0
	s_and_b32 s10, s10, 3
	s_cmp_eq_u32 s10, 0
	s_cbranch_scc1 .LBB7_1115
.LBB7_1113:
	s_lshl_b32 s0, s9, 3
	s_mul_i32 s6, s9, 12
	s_add_u32 s0, s2, s0
	s_addc_u32 s1, s3, 0
	s_add_u32 s0, s0, 0xc4
	s_addc_u32 s1, s1, 0
	;; [unrolled: 2-line block ×3, first 2 shown]
	.p2align	6
.LBB7_1114:                             ; =>This Inner Loop Header: Depth=1
	s_clause 0x1
	s_load_dwordx2 s[14:15], s[6:7], 0x4
	s_load_dword s9, s[6:7], 0xc
	s_load_dwordx2 s[16:17], s[0:1], 0x0
	s_add_u32 s6, s6, 12
	s_addc_u32 s7, s7, 0
	s_add_u32 s0, s0, 8
	s_addc_u32 s1, s1, 0
	s_add_i32 s10, s10, -1
	s_cmp_lg_u32 s10, 0
	s_waitcnt lgkmcnt(0)
	v_mul_hi_u32 v4, s15, v3
	v_add_nc_u32_e32 v4, v3, v4
	v_lshrrev_b32_e32 v4, s9, v4
	v_mul_lo_u32 v6, v4, s14
	v_sub_nc_u32_e32 v3, v3, v6
	v_mad_u64_u32 v[8:9], null, v3, s16, v[8:9]
	v_mad_u64_u32 v[11:12], null, v3, s17, v[11:12]
	v_mov_b32_e32 v3, v4
	s_cbranch_scc1 .LBB7_1114
.LBB7_1115:
	s_andn2_b32 vcc_lo, exec_lo, s8
	s_cbranch_vccnz .LBB7_1118
; %bb.1116:
	s_clause 0x1
	s_load_dwordx4 s[8:11], s[2:3], 0x4
	s_load_dwordx2 s[0:1], s[2:3], 0xc4
	s_cmp_lt_u32 s24, 2
	s_waitcnt lgkmcnt(0)
	v_mul_hi_u32 v3, s9, v1
	v_add_nc_u32_e32 v3, v1, v3
	v_lshrrev_b32_e32 v3, s10, v3
	v_mul_lo_u32 v4, v3, s8
	v_sub_nc_u32_e32 v1, v1, v4
	v_mul_lo_u32 v8, v1, s0
	v_mul_lo_u32 v11, v1, s1
	s_cbranch_scc1 .LBB7_1118
; %bb.1117:
	s_clause 0x1
	s_load_dwordx4 s[8:11], s[2:3], 0x10
	s_load_dwordx2 s[0:1], s[2:3], 0xcc
	s_waitcnt lgkmcnt(0)
	v_mul_hi_u32 v1, s9, v3
	v_add_nc_u32_e32 v1, v3, v1
	v_lshrrev_b32_e32 v1, s10, v1
	v_mul_lo_u32 v1, v1, s8
	v_sub_nc_u32_e32 v1, v3, v1
	v_mad_u64_u32 v[8:9], null, v1, s0, v[8:9]
	v_mad_u64_u32 v[11:12], null, v1, s1, v[11:12]
.LBB7_1118:
	v_cmp_ne_u32_e32 vcc_lo, 1, v5
	v_add_nc_u32_e32 v1, 0x100, v10
	s_cbranch_vccnz .LBB7_1124
; %bb.1119:
	s_cmp_lg_u32 s24, 0
	s_mov_b32 s8, 0
	s_cbranch_scc0 .LBB7_1125
; %bb.1120:
	s_min_u32 s10, s25, 15
	s_add_i32 s10, s10, 1
	s_cmp_eq_u32 s25, 2
	s_cbranch_scc1 .LBB7_1126
; %bb.1121:
	v_mov_b32_e32 v3, 0
	v_mov_b32_e32 v6, 0
	;; [unrolled: 1-line block ×3, first 2 shown]
	s_and_b32 s9, s10, 28
	s_add_u32 s0, s2, 0xc4
	s_addc_u32 s1, s3, 0
	s_mov_b32 s11, 0
	s_mov_b64 s[6:7], s[2:3]
.LBB7_1122:                             ; =>This Inner Loop Header: Depth=1
	s_clause 0x1
	s_load_dwordx8 s[16:23], s[6:7], 0x4
	s_load_dwordx4 s[28:31], s[6:7], 0x24
	s_load_dwordx8 s[36:43], s[0:1], 0x0
	s_add_u32 s6, s6, 48
	s_addc_u32 s7, s7, 0
	s_add_i32 s11, s11, 4
	s_add_u32 s0, s0, 32
	s_addc_u32 s1, s1, 0
	s_cmp_lg_u32 s9, s11
	s_waitcnt lgkmcnt(0)
	v_mul_hi_u32 v7, s17, v4
	v_add_nc_u32_e32 v7, v4, v7
	v_lshrrev_b32_e32 v7, s18, v7
	v_mul_hi_u32 v9, s20, v7
	v_mul_lo_u32 v12, v7, s16
	v_add_nc_u32_e32 v9, v7, v9
	v_sub_nc_u32_e32 v4, v4, v12
	v_lshrrev_b32_e32 v9, s21, v9
	v_mul_lo_u32 v12, v4, s36
	v_mul_lo_u32 v15, v4, s37
	v_mul_hi_u32 v10, s23, v9
	v_add_nc_u32_e32 v10, v9, v10
	v_lshrrev_b32_e32 v10, s28, v10
	v_mul_hi_u32 v14, s30, v10
	v_mul_lo_u32 v16, v10, s22
	v_add_nc_u32_e32 v4, v10, v14
	v_mul_lo_u32 v14, v9, s19
	v_sub_nc_u32_e32 v9, v9, v16
	v_lshrrev_b32_e32 v4, s31, v4
	v_mul_lo_u32 v16, v9, s40
	v_mul_lo_u32 v9, v9, s41
	v_sub_nc_u32_e32 v7, v7, v14
	v_mul_lo_u32 v17, v4, s29
	v_mul_lo_u32 v14, v7, s38
	;; [unrolled: 1-line block ×3, first 2 shown]
	v_sub_nc_u32_e32 v10, v10, v17
	v_add3_u32 v6, v12, v6, v14
	v_mul_lo_u32 v17, v10, s42
	v_mul_lo_u32 v10, v10, s43
	v_add3_u32 v3, v15, v3, v7
	v_add3_u32 v6, v16, v6, v17
	;; [unrolled: 1-line block ×3, first 2 shown]
	s_cbranch_scc1 .LBB7_1122
; %bb.1123:
	s_and_b32 s10, s10, 3
	s_cmp_eq_u32 s10, 0
	s_cbranch_scc0 .LBB7_1127
	s_branch .LBB7_1129
.LBB7_1124:
	s_mov_b32 s8, -1
                                        ; implicit-def: $vgpr6
                                        ; implicit-def: $vgpr3
	s_branch .LBB7_1129
.LBB7_1125:
	v_mov_b32_e32 v6, 0
	v_mov_b32_e32 v3, 0
	s_branch .LBB7_1129
.LBB7_1126:
	v_mov_b32_e32 v6, 0
	v_mov_b32_e32 v3, 0
	;; [unrolled: 1-line block ×3, first 2 shown]
	s_mov_b32 s9, 0
	s_and_b32 s10, s10, 3
	s_cmp_eq_u32 s10, 0
	s_cbranch_scc1 .LBB7_1129
.LBB7_1127:
	s_lshl_b32 s0, s9, 3
	s_mul_i32 s6, s9, 12
	s_add_u32 s0, s2, s0
	s_addc_u32 s1, s3, 0
	s_add_u32 s0, s0, 0xc4
	s_addc_u32 s1, s1, 0
	;; [unrolled: 2-line block ×3, first 2 shown]
	.p2align	6
.LBB7_1128:                             ; =>This Inner Loop Header: Depth=1
	s_clause 0x1
	s_load_dwordx2 s[14:15], s[6:7], 0x4
	s_load_dword s9, s[6:7], 0xc
	s_load_dwordx2 s[16:17], s[0:1], 0x0
	s_add_u32 s6, s6, 12
	s_addc_u32 s7, s7, 0
	s_add_u32 s0, s0, 8
	s_addc_u32 s1, s1, 0
	s_add_i32 s10, s10, -1
	s_cmp_lg_u32 s10, 0
	s_waitcnt lgkmcnt(0)
	v_mul_hi_u32 v7, s15, v4
	v_add_nc_u32_e32 v7, v4, v7
	v_lshrrev_b32_e32 v9, s9, v7
	v_mul_lo_u32 v7, v9, s14
	v_sub_nc_u32_e32 v4, v4, v7
	v_mad_u64_u32 v[6:7], null, v4, s16, v[6:7]
	v_mad_u64_u32 v[3:4], null, v4, s17, v[3:4]
	v_mov_b32_e32 v4, v9
	s_cbranch_scc1 .LBB7_1128
.LBB7_1129:
	s_andn2_b32 vcc_lo, exec_lo, s8
	s_cbranch_vccnz .LBB7_1132
; %bb.1130:
	s_clause 0x1
	s_load_dwordx4 s[8:11], s[2:3], 0x4
	s_load_dwordx2 s[0:1], s[2:3], 0xc4
	s_cmp_lt_u32 s24, 2
	s_waitcnt lgkmcnt(0)
	v_mul_hi_u32 v3, s9, v1
	v_add_nc_u32_e32 v3, v1, v3
	v_lshrrev_b32_e32 v4, s10, v3
	v_mul_lo_u32 v3, v4, s8
	v_sub_nc_u32_e32 v1, v1, v3
	v_mul_lo_u32 v6, v1, s0
	v_mul_lo_u32 v3, v1, s1
	s_cbranch_scc1 .LBB7_1132
; %bb.1131:
	s_clause 0x1
	s_load_dwordx4 s[8:11], s[2:3], 0x10
	s_load_dwordx2 s[0:1], s[2:3], 0xcc
	s_waitcnt lgkmcnt(0)
	v_mul_hi_u32 v1, s9, v4
	v_add_nc_u32_e32 v1, v4, v1
	v_lshrrev_b32_e32 v1, s10, v1
	v_mul_lo_u32 v1, v1, s8
	v_sub_nc_u32_e32 v1, v4, v1
	v_mad_u64_u32 v[6:7], null, v1, s0, v[6:7]
	v_mad_u64_u32 v[3:4], null, v1, s1, v[3:4]
.LBB7_1132:
	v_cmp_ne_u32_e32 vcc_lo, 1, v5
	s_cbranch_vccnz .LBB7_1138
; %bb.1133:
	s_cmp_lg_u32 s24, 0
	s_mov_b32 s8, 0
	s_cbranch_scc0 .LBB7_1139
; %bb.1134:
	s_min_u32 s10, s25, 15
	s_add_i32 s10, s10, 1
	s_cmp_eq_u32 s25, 2
	s_cbranch_scc1 .LBB7_1140
; %bb.1135:
	v_mov_b32_e32 v9, 0
	v_mov_b32_e32 v4, 0
	v_mov_b32_e32 v1, v13
	s_and_b32 s9, s10, 28
	s_add_u32 s0, s2, 0xc4
	s_addc_u32 s1, s3, 0
	s_mov_b32 s11, 0
	s_mov_b64 s[6:7], s[2:3]
.LBB7_1136:                             ; =>This Inner Loop Header: Depth=1
	s_clause 0x1
	s_load_dwordx8 s[16:23], s[6:7], 0x4
	s_load_dwordx4 s[28:31], s[6:7], 0x24
	s_load_dwordx8 s[36:43], s[0:1], 0x0
	s_add_u32 s6, s6, 48
	s_addc_u32 s7, s7, 0
	s_add_i32 s11, s11, 4
	s_add_u32 s0, s0, 32
	s_addc_u32 s1, s1, 0
	s_cmp_lg_u32 s9, s11
	s_waitcnt lgkmcnt(0)
	v_mul_hi_u32 v5, s17, v1
	v_add_nc_u32_e32 v5, v1, v5
	v_lshrrev_b32_e32 v5, s18, v5
	v_mul_hi_u32 v7, s20, v5
	v_mul_lo_u32 v12, v5, s16
	v_add_nc_u32_e32 v7, v5, v7
	v_sub_nc_u32_e32 v1, v1, v12
	v_lshrrev_b32_e32 v7, s21, v7
	v_mul_lo_u32 v12, v1, s36
	v_mul_lo_u32 v15, v1, s37
	v_mul_hi_u32 v10, s23, v7
	v_add_nc_u32_e32 v10, v7, v10
	v_lshrrev_b32_e32 v10, s28, v10
	v_mul_hi_u32 v14, s30, v10
	v_mul_lo_u32 v16, v10, s22
	v_add_nc_u32_e32 v1, v10, v14
	v_mul_lo_u32 v14, v7, s19
	v_sub_nc_u32_e32 v7, v7, v16
	v_lshrrev_b32_e32 v1, s31, v1
	v_mul_lo_u32 v16, v7, s40
	v_mul_lo_u32 v7, v7, s41
	v_sub_nc_u32_e32 v5, v5, v14
	v_mul_lo_u32 v17, v1, s29
	v_mul_lo_u32 v14, v5, s38
	;; [unrolled: 1-line block ×3, first 2 shown]
	v_sub_nc_u32_e32 v10, v10, v17
	v_add3_u32 v4, v12, v4, v14
	v_mul_lo_u32 v17, v10, s42
	v_mul_lo_u32 v10, v10, s43
	v_add3_u32 v5, v15, v9, v5
	v_add3_u32 v4, v16, v4, v17
	;; [unrolled: 1-line block ×3, first 2 shown]
	s_cbranch_scc1 .LBB7_1136
; %bb.1137:
	s_and_b32 s10, s10, 3
	s_cmp_eq_u32 s10, 0
	s_cbranch_scc0 .LBB7_1141
	s_branch .LBB7_1143
.LBB7_1138:
	s_mov_b32 s8, -1
                                        ; implicit-def: $vgpr4
                                        ; implicit-def: $vgpr9
	s_branch .LBB7_1143
.LBB7_1139:
	v_mov_b32_e32 v4, 0
	v_mov_b32_e32 v9, 0
	s_branch .LBB7_1143
.LBB7_1140:
	v_mov_b32_e32 v4, 0
	v_mov_b32_e32 v9, 0
	;; [unrolled: 1-line block ×3, first 2 shown]
	s_mov_b32 s9, 0
	s_and_b32 s10, s10, 3
	s_cmp_eq_u32 s10, 0
	s_cbranch_scc1 .LBB7_1143
.LBB7_1141:
	s_lshl_b32 s0, s9, 3
	s_mul_i32 s6, s9, 12
	s_add_u32 s0, s2, s0
	s_addc_u32 s1, s3, 0
	s_add_u32 s0, s0, 0xc4
	s_addc_u32 s1, s1, 0
	;; [unrolled: 2-line block ×3, first 2 shown]
	.p2align	6
.LBB7_1142:                             ; =>This Inner Loop Header: Depth=1
	s_clause 0x1
	s_load_dwordx2 s[14:15], s[6:7], 0x4
	s_load_dword s9, s[6:7], 0xc
	s_load_dwordx2 s[16:17], s[0:1], 0x0
	s_add_u32 s6, s6, 12
	s_addc_u32 s7, s7, 0
	s_add_u32 s0, s0, 8
	s_addc_u32 s1, s1, 0
	s_add_i32 s10, s10, -1
	s_cmp_lg_u32 s10, 0
	s_waitcnt lgkmcnt(0)
	v_mul_hi_u32 v5, s15, v1
	v_add_nc_u32_e32 v5, v1, v5
	v_lshrrev_b32_e32 v7, s9, v5
	v_mul_lo_u32 v5, v7, s14
	v_sub_nc_u32_e32 v1, v1, v5
	v_mad_u64_u32 v[4:5], null, v1, s16, v[4:5]
	v_mad_u64_u32 v[9:10], null, v1, s17, v[9:10]
	v_mov_b32_e32 v1, v7
	s_cbranch_scc1 .LBB7_1142
.LBB7_1143:
	s_andn2_b32 vcc_lo, exec_lo, s8
	s_cbranch_vccnz .LBB7_1146
; %bb.1144:
	s_clause 0x1
	s_load_dwordx4 s[8:11], s[2:3], 0x4
	s_load_dwordx2 s[0:1], s[2:3], 0xc4
	s_cmp_lt_u32 s24, 2
	s_waitcnt lgkmcnt(0)
	v_mul_hi_u32 v1, s9, v13
	v_add_nc_u32_e32 v1, v13, v1
	v_lshrrev_b32_e32 v1, s10, v1
	v_mul_lo_u32 v4, v1, s8
	v_sub_nc_u32_e32 v5, v13, v4
	v_mul_lo_u32 v4, v5, s0
	v_mul_lo_u32 v9, v5, s1
	s_cbranch_scc1 .LBB7_1146
; %bb.1145:
	s_clause 0x1
	s_load_dwordx4 s[8:11], s[2:3], 0x10
	s_load_dwordx2 s[0:1], s[2:3], 0xcc
	s_waitcnt lgkmcnt(0)
	v_mul_hi_u32 v5, s9, v1
	v_add_nc_u32_e32 v5, v1, v5
	v_lshrrev_b32_e32 v5, s10, v5
	v_mul_lo_u32 v5, v5, s8
	v_sub_nc_u32_e32 v1, v1, v5
	v_mad_u64_u32 v[4:5], null, v1, s0, v[4:5]
	v_mad_u64_u32 v[9:10], null, v1, s1, v[9:10]
.LBB7_1146:
	s_clause 0x1
	s_load_dwordx4 s[8:11], s[2:3], 0x148
	s_load_dword s2, s[4:5], 0x160
	s_waitcnt lgkmcnt(0)
	v_add_co_u32 v12, s0, s10, v0
	v_add_co_ci_u32_e64 v13, null, s11, 0, s0
	s_bfe_u32 s0, s2, 0x80010
	s_cmp_lt_i32 s0, 11
	s_cbranch_scc1 .LBB7_1153
; %bb.1147:
	s_and_b32 s1, 0xffff, s0
	s_mov_b32 s4, 0
	s_cmp_gt_i32 s1, 25
	s_cbranch_scc0 .LBB7_1155
; %bb.1148:
	s_cmp_gt_i32 s1, 28
	s_cbranch_scc0 .LBB7_1156
; %bb.1149:
	;; [unrolled: 3-line block ×4, first 2 shown]
	s_cmp_eq_u32 s1, 46
	s_mov_b32 s6, 0
	s_cbranch_scc0 .LBB7_1161
; %bb.1152:
	global_load_dword v0, v[12:13], off
	s_mov_b32 s3, 0
	s_mov_b32 s5, -1
	s_waitcnt vmcnt(0)
	v_lshlrev_b32_e32 v0, 16, v0
	v_cvt_f64_f32_e32 v[0:1], v0
	s_branch .LBB7_1163
.LBB7_1153:
	s_mov_b32 s5, 0
	s_mov_b32 s1, s12
                                        ; implicit-def: $vgpr0_vgpr1
	s_cbranch_execnz .LBB7_1226
.LBB7_1154:
	s_andn2_b32 vcc_lo, exec_lo, s5
	s_cbranch_vccz .LBB7_1271
	s_branch .LBB7_2095
.LBB7_1155:
	s_mov_b32 s5, 0
	s_mov_b32 s3, 0
                                        ; implicit-def: $vgpr0_vgpr1
	s_cbranch_execnz .LBB7_1193
	s_branch .LBB7_1222
.LBB7_1156:
	s_mov_b32 s6, -1
	s_mov_b32 s5, 0
	s_mov_b32 s3, 0
                                        ; implicit-def: $vgpr0_vgpr1
	s_branch .LBB7_1172
.LBB7_1157:
	s_mov_b32 s5, 0
	s_mov_b32 s3, 0
                                        ; implicit-def: $vgpr0_vgpr1
	s_cbranch_execnz .LBB7_1168
	s_branch .LBB7_1171
.LBB7_1158:
	s_mov_b32 s6, -1
	s_mov_b32 s5, 0
	s_mov_b32 s3, 0
	s_branch .LBB7_1162
.LBB7_1159:
	s_andn2_saveexec_b32 s11, s11
	s_cbranch_execz .LBB7_1002
.LBB7_1160:
	v_add_f32_e64 v3, 0x46000000, |v2|
	s_andn2_b32 s10, s10, exec_lo
	v_and_b32_e32 v3, 0xff, v3
	v_cmp_ne_u32_e32 vcc_lo, 0, v3
	s_and_b32 s12, vcc_lo, exec_lo
	s_or_b32 s10, s10, s12
	s_or_b32 exec_lo, exec_lo, s11
	v_mov_b32_e32 v6, 0
	s_and_saveexec_b32 s11, s10
	s_cbranch_execnz .LBB7_1003
	s_branch .LBB7_1004
.LBB7_1161:
	s_mov_b32 s3, -1
	s_mov_b32 s5, 0
.LBB7_1162:
                                        ; implicit-def: $vgpr0_vgpr1
.LBB7_1163:
	s_and_b32 vcc_lo, exec_lo, s6
	s_cbranch_vccz .LBB7_1166
; %bb.1164:
	s_cmp_eq_u32 s1, 44
	s_cbranch_scc0 .LBB7_1167
; %bb.1165:
	global_load_ubyte v5, v[12:13], off
	s_mov_b32 s3, 0
	s_mov_b32 s5, -1
	s_waitcnt vmcnt(0)
	v_lshlrev_b32_e32 v0, 23, v5
	v_cmp_ne_u32_e32 vcc_lo, 0xff, v5
	v_cvt_f64_f32_e32 v[0:1], v0
	v_cndmask_b32_e32 v0, 0x20000000, v0, vcc_lo
	v_cndmask_b32_e32 v1, 0x7ff80000, v1, vcc_lo
	v_cmp_ne_u32_e32 vcc_lo, 0, v5
	v_cndmask_b32_e32 v1, 0x38000000, v1, vcc_lo
	v_cndmask_b32_e32 v0, 0, v0, vcc_lo
.LBB7_1166:
	s_branch .LBB7_1171
.LBB7_1167:
	s_mov_b32 s3, -1
                                        ; implicit-def: $vgpr0_vgpr1
	s_branch .LBB7_1171
.LBB7_1168:
	s_cmp_eq_u32 s1, 29
	s_cbranch_scc0 .LBB7_1170
; %bb.1169:
	global_load_dwordx2 v[0:1], v[12:13], off
	s_mov_b32 s3, 0
	s_mov_b32 s5, -1
	s_mov_b32 s6, 0
	s_waitcnt vmcnt(0)
	v_cvt_f64_u32_e32 v[14:15], v1
	v_cvt_f64_u32_e32 v[0:1], v0
	v_ldexp_f64 v[14:15], v[14:15], 32
	v_add_f64 v[0:1], v[14:15], v[0:1]
	s_branch .LBB7_1172
.LBB7_1170:
	s_mov_b32 s3, -1
                                        ; implicit-def: $vgpr0_vgpr1
.LBB7_1171:
	s_mov_b32 s6, 0
.LBB7_1172:
	s_and_b32 vcc_lo, exec_lo, s6
	s_cbranch_vccz .LBB7_1192
; %bb.1173:
	s_cmp_lt_i32 s1, 27
	s_cbranch_scc1 .LBB7_1176
; %bb.1174:
	s_cmp_gt_i32 s1, 27
	s_cbranch_scc0 .LBB7_1177
; %bb.1175:
	global_load_dword v0, v[12:13], off
	s_mov_b32 s5, 0
	s_waitcnt vmcnt(0)
	v_cvt_f64_u32_e32 v[0:1], v0
	s_branch .LBB7_1178
.LBB7_1176:
	s_mov_b32 s5, -1
                                        ; implicit-def: $vgpr0_vgpr1
	s_branch .LBB7_1181
.LBB7_1177:
	s_mov_b32 s5, -1
                                        ; implicit-def: $vgpr0_vgpr1
.LBB7_1178:
	s_andn2_b32 vcc_lo, exec_lo, s5
	s_cbranch_vccnz .LBB7_1180
; %bb.1179:
	global_load_ushort v0, v[12:13], off
	s_waitcnt vmcnt(0)
	v_cvt_f64_u32_e32 v[0:1], v0
.LBB7_1180:
	s_mov_b32 s5, 0
.LBB7_1181:
	s_andn2_b32 vcc_lo, exec_lo, s5
	s_cbranch_vccnz .LBB7_1191
; %bb.1182:
	global_load_ubyte v5, v[12:13], off
	s_mov_b32 s5, 0
	s_mov_b32 s6, exec_lo
	s_waitcnt vmcnt(0)
	v_cmpx_lt_i16_e32 0x7f, v5
	s_xor_b32 s6, exec_lo, s6
	s_cbranch_execz .LBB7_1186
; %bb.1183:
	s_mov_b32 s5, -1
	s_mov_b32 s7, exec_lo
	v_cmpx_eq_u16_e32 0x80, v5
; %bb.1184:
	s_xor_b32 s5, exec_lo, -1
; %bb.1185:
	s_or_b32 exec_lo, exec_lo, s7
	s_and_b32 s5, s5, exec_lo
.LBB7_1186:
	s_or_saveexec_b32 s6, s6
	v_bfrev_b32_e32 v0, 4
	v_mov_b32_e32 v1, 0x7ff80000
	s_xor_b32 exec_lo, exec_lo, s6
; %bb.1187:
	v_cmp_ne_u16_e32 vcc_lo, 0, v5
	v_mov_b32_e32 v0, 0
	v_mov_b32_e32 v1, 0
	s_andn2_b32 s5, s5, exec_lo
	s_and_b32 s7, vcc_lo, exec_lo
	s_or_b32 s5, s5, s7
; %bb.1188:
	s_or_b32 exec_lo, exec_lo, s6
	s_and_saveexec_b32 s6, s5
	s_cbranch_execz .LBB7_1190
; %bb.1189:
	v_and_b32_e32 v0, 0xffff, v5
	v_lshlrev_b32_e32 v5, 24, v5
	v_and_b32_e32 v1, 7, v0
	v_bfe_u32 v14, v0, 3, 4
	v_ffbh_u32_e32 v7, v1
	v_cmp_eq_u32_e32 vcc_lo, 0, v14
	v_min_u32_e32 v7, 32, v7
	v_subrev_nc_u32_e32 v10, 28, v7
	v_sub_nc_u32_e32 v7, 29, v7
	v_lshlrev_b32_e32 v0, v10, v0
	v_cndmask_b32_e32 v7, v14, v7, vcc_lo
	v_and_b32_e32 v0, 7, v0
	v_cndmask_b32_e32 v0, v1, v0, vcc_lo
	v_and_b32_e32 v1, 0x80000000, v5
	v_lshl_add_u32 v5, v7, 23, 0x3b800000
	v_lshlrev_b32_e32 v0, 20, v0
	v_or3_b32 v0, v1, v5, v0
	v_cvt_f64_f32_e32 v[0:1], v0
.LBB7_1190:
	s_or_b32 exec_lo, exec_lo, s6
.LBB7_1191:
	s_mov_b32 s5, -1
.LBB7_1192:
	s_branch .LBB7_1222
.LBB7_1193:
	s_cmp_gt_i32 s1, 22
	s_cbranch_scc0 .LBB7_1205
; %bb.1194:
	s_cmp_lt_i32 s1, 24
	s_cbranch_scc1 .LBB7_1206
; %bb.1195:
	s_cmp_gt_i32 s1, 24
	s_cbranch_scc0 .LBB7_1207
; %bb.1196:
	global_load_ubyte v5, v[12:13], off
	s_mov_b32 s5, exec_lo
	s_waitcnt vmcnt(0)
	v_cmpx_lt_i16_e32 0x7f, v5
	s_xor_b32 s5, exec_lo, s5
	s_cbranch_execz .LBB7_1200
; %bb.1197:
	s_mov_b32 s4, -1
	s_mov_b32 s6, exec_lo
	v_cmpx_eq_u16_e32 0x80, v5
; %bb.1198:
	s_xor_b32 s4, exec_lo, -1
; %bb.1199:
	s_or_b32 exec_lo, exec_lo, s6
	s_and_b32 s4, s4, exec_lo
.LBB7_1200:
	s_or_saveexec_b32 s5, s5
	v_bfrev_b32_e32 v0, 4
	v_mov_b32_e32 v1, 0x7ff80000
	s_xor_b32 exec_lo, exec_lo, s5
; %bb.1201:
	v_cmp_ne_u16_e32 vcc_lo, 0, v5
	v_mov_b32_e32 v0, 0
	v_mov_b32_e32 v1, 0
	s_andn2_b32 s4, s4, exec_lo
	s_and_b32 s6, vcc_lo, exec_lo
	s_or_b32 s4, s4, s6
; %bb.1202:
	s_or_b32 exec_lo, exec_lo, s5
	s_and_saveexec_b32 s5, s4
	s_cbranch_execz .LBB7_1204
; %bb.1203:
	v_and_b32_e32 v0, 0xffff, v5
	v_lshlrev_b32_e32 v5, 24, v5
	v_and_b32_e32 v1, 3, v0
	v_bfe_u32 v14, v0, 2, 5
	v_ffbh_u32_e32 v7, v1
	v_cmp_eq_u32_e32 vcc_lo, 0, v14
	v_min_u32_e32 v7, 32, v7
	v_subrev_nc_u32_e32 v10, 29, v7
	v_sub_nc_u32_e32 v7, 30, v7
	v_lshlrev_b32_e32 v0, v10, v0
	v_cndmask_b32_e32 v7, v14, v7, vcc_lo
	v_and_b32_e32 v0, 3, v0
	v_cndmask_b32_e32 v0, v1, v0, vcc_lo
	v_and_b32_e32 v1, 0x80000000, v5
	v_lshl_add_u32 v5, v7, 23, 0x37800000
	v_lshlrev_b32_e32 v0, 21, v0
	v_or3_b32 v0, v1, v5, v0
	v_cvt_f64_f32_e32 v[0:1], v0
.LBB7_1204:
	s_or_b32 exec_lo, exec_lo, s5
	s_mov_b32 s4, 0
	s_branch .LBB7_1208
.LBB7_1205:
                                        ; implicit-def: $vgpr0_vgpr1
	s_mov_b32 s4, 0
	s_branch .LBB7_1214
.LBB7_1206:
	s_mov_b32 s4, -1
                                        ; implicit-def: $vgpr0_vgpr1
	s_branch .LBB7_1211
.LBB7_1207:
	s_mov_b32 s4, -1
                                        ; implicit-def: $vgpr0_vgpr1
.LBB7_1208:
	s_and_b32 vcc_lo, exec_lo, s4
	s_cbranch_vccz .LBB7_1210
; %bb.1209:
	global_load_ubyte v0, v[12:13], off
	s_waitcnt vmcnt(0)
	v_lshlrev_b32_e32 v0, 24, v0
	v_and_b32_e32 v1, 0x7f000000, v0
	v_ffbh_u32_e32 v5, v1
	v_add_nc_u32_e32 v10, 0x1000000, v1
	v_cmp_ne_u32_e32 vcc_lo, 0, v1
	v_min_u32_e32 v5, 32, v5
	v_sub_nc_u32_e64 v5, v5, 4 clamp
	v_lshlrev_b32_e32 v7, v5, v1
	v_lshlrev_b32_e32 v5, 23, v5
	v_lshrrev_b32_e32 v7, 4, v7
	v_sub_nc_u32_e32 v5, v7, v5
	v_ashrrev_i32_e32 v7, 8, v10
	v_add_nc_u32_e32 v5, 0x3c000000, v5
	v_and_or_b32 v5, 0x7f800000, v7, v5
	v_cndmask_b32_e32 v1, 0, v5, vcc_lo
	v_and_or_b32 v0, 0x80000000, v0, v1
	v_cvt_f64_f32_e32 v[0:1], v0
.LBB7_1210:
	s_mov_b32 s4, 0
.LBB7_1211:
	s_andn2_b32 vcc_lo, exec_lo, s4
	s_cbranch_vccnz .LBB7_1213
; %bb.1212:
	global_load_ubyte v0, v[12:13], off
	s_waitcnt vmcnt(0)
	v_lshlrev_b32_e32 v1, 25, v0
	v_lshlrev_b16 v0, 8, v0
	v_lshrrev_b32_e32 v5, 4, v1
	v_and_or_b32 v7, 0x7f00, v0, 0.5
	v_cmp_gt_u32_e32 vcc_lo, 0x8000000, v1
	v_bfe_i32 v0, v0, 0, 16
	v_or_b32_e32 v5, 0x70000000, v5
	v_add_f32_e32 v7, -0.5, v7
	v_mul_f32_e32 v5, 0x7800000, v5
	v_cndmask_b32_e32 v1, v5, v7, vcc_lo
	v_and_or_b32 v0, 0x80000000, v0, v1
	v_cvt_f64_f32_e32 v[0:1], v0
.LBB7_1213:
	s_mov_b32 s5, -1
	s_mov_b32 s4, 0
	s_cbranch_execnz .LBB7_1222
.LBB7_1214:
	s_cmp_gt_i32 s1, 14
	s_cbranch_scc0 .LBB7_1217
; %bb.1215:
	s_cmp_eq_u32 s1, 15
	s_cbranch_scc0 .LBB7_1218
; %bb.1216:
	global_load_ushort v0, v[12:13], off
	s_mov_b32 s3, 0
	s_mov_b32 s5, -1
	s_waitcnt vmcnt(0)
	v_lshlrev_b32_e32 v0, 16, v0
	v_cvt_f64_f32_e32 v[0:1], v0
	s_branch .LBB7_1220
.LBB7_1217:
	s_mov_b32 s4, -1
	s_branch .LBB7_1219
.LBB7_1218:
	s_mov_b32 s3, -1
.LBB7_1219:
                                        ; implicit-def: $vgpr0_vgpr1
.LBB7_1220:
	s_and_b32 vcc_lo, exec_lo, s4
	s_mov_b32 s4, 0
	s_cbranch_vccz .LBB7_1222
; %bb.1221:
	s_cmp_lg_u32 s1, 11
	s_mov_b32 s4, -1
	s_cselect_b32 s3, -1, 0
.LBB7_1222:
	s_and_b32 vcc_lo, exec_lo, s3
	s_mov_b32 s1, s12
	s_cbranch_vccnz .LBB7_1283
; %bb.1223:
	s_andn2_b32 vcc_lo, exec_lo, s4
	s_cbranch_vccnz .LBB7_1225
.LBB7_1224:
	global_load_ubyte v0, v[12:13], off
	s_mov_b32 s5, -1
	s_waitcnt vmcnt(0)
	v_cmp_ne_u16_e32 vcc_lo, 0, v0
	v_mov_b32_e32 v0, 0
	v_cndmask_b32_e64 v1, 0, 0x3ff00000, vcc_lo
.LBB7_1225:
	s_branch .LBB7_1154
.LBB7_1226:
	s_and_b32 s0, 0xffff, s0
	s_cmp_lt_i32 s0, 5
	s_cbranch_scc1 .LBB7_1231
; %bb.1227:
	s_cmp_lt_i32 s0, 8
	s_cbranch_scc1 .LBB7_1232
; %bb.1228:
	;; [unrolled: 3-line block ×3, first 2 shown]
	s_cmp_gt_i32 s0, 9
	s_cbranch_scc0 .LBB7_1234
; %bb.1230:
	global_load_dwordx2 v[0:1], v[12:13], off
	s_mov_b32 s3, 0
	s_branch .LBB7_1235
.LBB7_1231:
                                        ; implicit-def: $vgpr0_vgpr1
	s_branch .LBB7_1252
.LBB7_1232:
                                        ; implicit-def: $vgpr0_vgpr1
	s_branch .LBB7_1241
.LBB7_1233:
	s_mov_b32 s3, -1
                                        ; implicit-def: $vgpr0_vgpr1
	s_branch .LBB7_1238
.LBB7_1234:
	s_mov_b32 s3, -1
                                        ; implicit-def: $vgpr0_vgpr1
.LBB7_1235:
	s_andn2_b32 vcc_lo, exec_lo, s3
	s_cbranch_vccnz .LBB7_1237
; %bb.1236:
	global_load_dword v0, v[12:13], off
	s_waitcnt vmcnt(0)
	v_cvt_f64_f32_e32 v[0:1], v0
.LBB7_1237:
	s_mov_b32 s3, 0
.LBB7_1238:
	s_andn2_b32 vcc_lo, exec_lo, s3
	s_cbranch_vccnz .LBB7_1240
; %bb.1239:
	global_load_dword v0, v[12:13], off
	s_waitcnt vmcnt(0)
	v_cvt_f32_f16_e32 v0, v0
	v_cvt_f64_f32_e32 v[0:1], v0
.LBB7_1240:
	s_cbranch_execnz .LBB7_1251
.LBB7_1241:
	s_cmp_lt_i32 s0, 6
	s_cbranch_scc1 .LBB7_1244
; %bb.1242:
	s_cmp_gt_i32 s0, 6
	s_cbranch_scc0 .LBB7_1245
; %bb.1243:
	global_load_dwordx2 v[0:1], v[12:13], off
	s_mov_b32 s3, 0
	s_branch .LBB7_1246
.LBB7_1244:
	s_mov_b32 s3, -1
                                        ; implicit-def: $vgpr0_vgpr1
	s_branch .LBB7_1249
.LBB7_1245:
	s_mov_b32 s3, -1
                                        ; implicit-def: $vgpr0_vgpr1
.LBB7_1246:
	s_andn2_b32 vcc_lo, exec_lo, s3
	s_cbranch_vccnz .LBB7_1248
; %bb.1247:
	global_load_dword v0, v[12:13], off
	s_waitcnt vmcnt(0)
	v_cvt_f64_f32_e32 v[0:1], v0
.LBB7_1248:
	s_mov_b32 s3, 0
.LBB7_1249:
	s_andn2_b32 vcc_lo, exec_lo, s3
	s_cbranch_vccnz .LBB7_1251
; %bb.1250:
	global_load_ushort v0, v[12:13], off
	s_waitcnt vmcnt(0)
	v_cvt_f32_f16_e32 v0, v0
	v_cvt_f64_f32_e32 v[0:1], v0
.LBB7_1251:
	s_cbranch_execnz .LBB7_1270
.LBB7_1252:
	s_cmp_lt_i32 s0, 2
	s_cbranch_scc1 .LBB7_1256
; %bb.1253:
	s_cmp_lt_i32 s0, 3
	s_cbranch_scc1 .LBB7_1257
; %bb.1254:
	s_cmp_gt_i32 s0, 3
	s_cbranch_scc0 .LBB7_1258
; %bb.1255:
	global_load_dwordx2 v[0:1], v[12:13], off
	s_mov_b32 s3, 0
	s_waitcnt vmcnt(0)
	v_cvt_f64_i32_e32 v[14:15], v1
	v_cvt_f64_u32_e32 v[0:1], v0
	v_ldexp_f64 v[14:15], v[14:15], 32
	v_add_f64 v[0:1], v[14:15], v[0:1]
	s_branch .LBB7_1259
.LBB7_1256:
                                        ; implicit-def: $vgpr0_vgpr1
	s_branch .LBB7_1265
.LBB7_1257:
	s_mov_b32 s3, -1
                                        ; implicit-def: $vgpr0_vgpr1
	s_branch .LBB7_1262
.LBB7_1258:
	s_mov_b32 s3, -1
                                        ; implicit-def: $vgpr0_vgpr1
.LBB7_1259:
	s_andn2_b32 vcc_lo, exec_lo, s3
	s_cbranch_vccnz .LBB7_1261
; %bb.1260:
	global_load_dword v0, v[12:13], off
	s_waitcnt vmcnt(0)
	v_cvt_f64_i32_e32 v[0:1], v0
.LBB7_1261:
	s_mov_b32 s3, 0
.LBB7_1262:
	s_andn2_b32 vcc_lo, exec_lo, s3
	s_cbranch_vccnz .LBB7_1264
; %bb.1263:
	global_load_sshort v0, v[12:13], off
	s_waitcnt vmcnt(0)
	v_cvt_f64_i32_e32 v[0:1], v0
.LBB7_1264:
	s_cbranch_execnz .LBB7_1270
.LBB7_1265:
	s_cmp_gt_i32 s0, 0
	s_mov_b32 s0, 0
	s_cbranch_scc0 .LBB7_1267
; %bb.1266:
	global_load_sbyte v0, v[12:13], off
	s_waitcnt vmcnt(0)
	v_cvt_f64_i32_e32 v[0:1], v0
	s_branch .LBB7_1268
.LBB7_1267:
	s_mov_b32 s0, -1
                                        ; implicit-def: $vgpr0_vgpr1
.LBB7_1268:
	s_andn2_b32 vcc_lo, exec_lo, s0
	s_cbranch_vccnz .LBB7_1270
; %bb.1269:
	global_load_ubyte v0, v[12:13], off
	s_waitcnt vmcnt(0)
	v_cvt_f64_u32_e32 v[0:1], v0
.LBB7_1270:
.LBB7_1271:
	v_add_co_u32 v10, s3, s10, v11
	s_lshr_b32 s0, s2, 16
	v_add_co_ci_u32_e64 v11, null, s11, 0, s3
	s_and_b32 s0, s0, 0xff
	s_cmp_lt_i32 s0, 11
	s_cbranch_scc1 .LBB7_1278
; %bb.1272:
	s_and_b32 s3, 0xffff, s0
	s_mov_b32 s5, 0
	s_cmp_gt_i32 s3, 25
	s_cbranch_scc0 .LBB7_1280
; %bb.1273:
	s_cmp_gt_i32 s3, 28
	s_cbranch_scc0 .LBB7_1281
; %bb.1274:
	;; [unrolled: 3-line block ×4, first 2 shown]
	s_cmp_eq_u32 s3, 46
	s_mov_b32 s7, 0
	s_cbranch_scc0 .LBB7_1287
; %bb.1277:
	global_load_dword v5, v[10:11], off
	s_mov_b32 s4, 0
	s_mov_b32 s6, -1
	s_waitcnt vmcnt(0)
	v_lshlrev_b32_e32 v5, 16, v5
	v_cvt_f64_f32_e32 v[13:14], v5
	s_branch .LBB7_1289
.LBB7_1278:
	s_mov_b32 s6, 0
                                        ; implicit-def: $vgpr13_vgpr14
	s_cbranch_execnz .LBB7_1354
.LBB7_1279:
	s_andn2_b32 vcc_lo, exec_lo, s6
	s_cbranch_vccnz .LBB7_2095
	s_branch .LBB7_1401
.LBB7_1280:
	s_mov_b32 s6, 0
	s_mov_b32 s4, 0
                                        ; implicit-def: $vgpr13_vgpr14
	s_cbranch_execnz .LBB7_1320
	s_branch .LBB7_1350
.LBB7_1281:
	s_mov_b32 s7, -1
	s_mov_b32 s6, 0
	s_mov_b32 s4, 0
                                        ; implicit-def: $vgpr13_vgpr14
	s_branch .LBB7_1299
.LBB7_1282:
	s_mov_b32 s7, -1
	s_mov_b32 s6, 0
	s_mov_b32 s4, 0
                                        ; implicit-def: $vgpr13_vgpr14
	s_branch .LBB7_1294
.LBB7_1283:
	s_or_b32 s1, s12, exec_lo
	s_trap 2
	s_cbranch_execz .LBB7_1224
	s_branch .LBB7_1225
.LBB7_1284:
	s_mov_b32 s7, -1
	s_mov_b32 s6, 0
	s_mov_b32 s4, 0
	s_branch .LBB7_1288
.LBB7_1285:
	s_andn2_saveexec_b32 s12, s12
	s_cbranch_execz .LBB7_1014
.LBB7_1286:
	v_add_f32_e64 v3, 0x42800000, |v2|
	s_andn2_b32 s11, s11, exec_lo
	v_and_b32_e32 v3, 0xff, v3
	v_cmp_ne_u32_e32 vcc_lo, 0, v3
	s_and_b32 s13, vcc_lo, exec_lo
	s_or_b32 s11, s11, s13
	s_or_b32 exec_lo, exec_lo, s12
	v_mov_b32_e32 v6, 0
	s_and_saveexec_b32 s12, s11
	s_cbranch_execnz .LBB7_1015
	s_branch .LBB7_1016
.LBB7_1287:
	s_mov_b32 s4, -1
	s_mov_b32 s6, 0
.LBB7_1288:
                                        ; implicit-def: $vgpr13_vgpr14
.LBB7_1289:
	s_and_b32 vcc_lo, exec_lo, s7
	s_cbranch_vccz .LBB7_1293
; %bb.1290:
	s_cmp_eq_u32 s3, 44
	s_cbranch_scc0 .LBB7_1292
; %bb.1291:
	global_load_ubyte v5, v[10:11], off
	s_mov_b32 s4, 0
	s_mov_b32 s6, -1
	s_waitcnt vmcnt(0)
	v_lshlrev_b32_e32 v7, 23, v5
	v_cmp_ne_u32_e32 vcc_lo, 0xff, v5
	v_cvt_f64_f32_e32 v[12:13], v7
	v_cndmask_b32_e32 v7, 0x20000000, v12, vcc_lo
	v_cndmask_b32_e32 v12, 0x7ff80000, v13, vcc_lo
	v_cmp_ne_u32_e32 vcc_lo, 0, v5
	v_cndmask_b32_e32 v14, 0x38000000, v12, vcc_lo
	v_cndmask_b32_e32 v13, 0, v7, vcc_lo
	s_branch .LBB7_1293
.LBB7_1292:
	s_mov_b32 s4, -1
                                        ; implicit-def: $vgpr13_vgpr14
.LBB7_1293:
	s_mov_b32 s7, 0
.LBB7_1294:
	s_and_b32 vcc_lo, exec_lo, s7
	s_cbranch_vccz .LBB7_1298
; %bb.1295:
	s_cmp_eq_u32 s3, 29
	s_cbranch_scc0 .LBB7_1297
; %bb.1296:
	global_load_dwordx2 v[12:13], v[10:11], off
	s_mov_b32 s4, 0
	s_mov_b32 s6, -1
	s_mov_b32 s7, 0
	s_waitcnt vmcnt(0)
	v_cvt_f64_u32_e32 v[13:14], v13
	v_cvt_f64_u32_e32 v[15:16], v12
	v_ldexp_f64 v[13:14], v[13:14], 32
	v_add_f64 v[13:14], v[13:14], v[15:16]
	s_branch .LBB7_1299
.LBB7_1297:
	s_mov_b32 s4, -1
                                        ; implicit-def: $vgpr13_vgpr14
.LBB7_1298:
	s_mov_b32 s7, 0
.LBB7_1299:
	s_and_b32 vcc_lo, exec_lo, s7
	s_cbranch_vccz .LBB7_1319
; %bb.1300:
	s_cmp_lt_i32 s3, 27
	s_cbranch_scc1 .LBB7_1303
; %bb.1301:
	s_cmp_gt_i32 s3, 27
	s_cbranch_scc0 .LBB7_1304
; %bb.1302:
	global_load_dword v5, v[10:11], off
	s_mov_b32 s6, 0
	s_waitcnt vmcnt(0)
	v_cvt_f64_u32_e32 v[13:14], v5
	s_branch .LBB7_1305
.LBB7_1303:
	s_mov_b32 s6, -1
                                        ; implicit-def: $vgpr13_vgpr14
	s_branch .LBB7_1308
.LBB7_1304:
	s_mov_b32 s6, -1
                                        ; implicit-def: $vgpr13_vgpr14
.LBB7_1305:
	s_andn2_b32 vcc_lo, exec_lo, s6
	s_cbranch_vccnz .LBB7_1307
; %bb.1306:
	global_load_ushort v5, v[10:11], off
	s_waitcnt vmcnt(0)
	v_cvt_f64_u32_e32 v[13:14], v5
.LBB7_1307:
	s_mov_b32 s6, 0
.LBB7_1308:
	s_andn2_b32 vcc_lo, exec_lo, s6
	s_cbranch_vccnz .LBB7_1318
; %bb.1309:
	global_load_ubyte v5, v[10:11], off
	s_mov_b32 s6, 0
	s_mov_b32 s7, exec_lo
	s_waitcnt vmcnt(0)
	v_cmpx_lt_i16_e32 0x7f, v5
	s_xor_b32 s7, exec_lo, s7
	s_cbranch_execz .LBB7_1313
; %bb.1310:
	s_mov_b32 s6, -1
	s_mov_b32 s14, exec_lo
	v_cmpx_eq_u16_e32 0x80, v5
; %bb.1311:
	s_xor_b32 s6, exec_lo, -1
; %bb.1312:
	s_or_b32 exec_lo, exec_lo, s14
	s_and_b32 s6, s6, exec_lo
.LBB7_1313:
	s_or_saveexec_b32 s7, s7
	v_bfrev_b32_e32 v13, 4
	v_mov_b32_e32 v14, 0x7ff80000
	s_xor_b32 exec_lo, exec_lo, s7
; %bb.1314:
	v_cmp_ne_u16_e32 vcc_lo, 0, v5
	v_mov_b32_e32 v13, 0
	v_mov_b32_e32 v14, 0
	s_andn2_b32 s6, s6, exec_lo
	s_and_b32 s14, vcc_lo, exec_lo
	s_or_b32 s6, s6, s14
; %bb.1315:
	s_or_b32 exec_lo, exec_lo, s7
	s_and_saveexec_b32 s7, s6
	s_cbranch_execz .LBB7_1317
; %bb.1316:
	v_and_b32_e32 v7, 0xffff, v5
	v_lshlrev_b32_e32 v5, 24, v5
	v_and_b32_e32 v12, 7, v7
	v_bfe_u32 v15, v7, 3, 4
	v_and_b32_e32 v5, 0x80000000, v5
	v_ffbh_u32_e32 v13, v12
	v_cmp_eq_u32_e32 vcc_lo, 0, v15
	v_min_u32_e32 v13, 32, v13
	v_subrev_nc_u32_e32 v14, 28, v13
	v_sub_nc_u32_e32 v13, 29, v13
	v_lshlrev_b32_e32 v7, v14, v7
	v_cndmask_b32_e32 v13, v15, v13, vcc_lo
	v_and_b32_e32 v7, 7, v7
	v_cndmask_b32_e32 v7, v12, v7, vcc_lo
	v_lshl_add_u32 v12, v13, 23, 0x3b800000
	v_lshlrev_b32_e32 v7, 20, v7
	v_or3_b32 v5, v5, v12, v7
	v_cvt_f64_f32_e32 v[13:14], v5
.LBB7_1317:
	s_or_b32 exec_lo, exec_lo, s7
.LBB7_1318:
	s_mov_b32 s6, -1
.LBB7_1319:
	s_branch .LBB7_1350
.LBB7_1320:
	s_cmp_gt_i32 s3, 22
	s_cbranch_scc0 .LBB7_1332
; %bb.1321:
	s_cmp_lt_i32 s3, 24
	s_cbranch_scc1 .LBB7_1333
; %bb.1322:
	s_cmp_gt_i32 s3, 24
	s_cbranch_scc0 .LBB7_1334
; %bb.1323:
	global_load_ubyte v5, v[10:11], off
	s_mov_b32 s6, exec_lo
	s_waitcnt vmcnt(0)
	v_cmpx_lt_i16_e32 0x7f, v5
	s_xor_b32 s6, exec_lo, s6
	s_cbranch_execz .LBB7_1327
; %bb.1324:
	s_mov_b32 s5, -1
	s_mov_b32 s7, exec_lo
	v_cmpx_eq_u16_e32 0x80, v5
; %bb.1325:
	s_xor_b32 s5, exec_lo, -1
; %bb.1326:
	s_or_b32 exec_lo, exec_lo, s7
	s_and_b32 s5, s5, exec_lo
.LBB7_1327:
	s_or_saveexec_b32 s6, s6
	v_bfrev_b32_e32 v13, 4
	v_mov_b32_e32 v14, 0x7ff80000
	s_xor_b32 exec_lo, exec_lo, s6
; %bb.1328:
	v_cmp_ne_u16_e32 vcc_lo, 0, v5
	v_mov_b32_e32 v13, 0
	v_mov_b32_e32 v14, 0
	s_andn2_b32 s5, s5, exec_lo
	s_and_b32 s7, vcc_lo, exec_lo
	s_or_b32 s5, s5, s7
; %bb.1329:
	s_or_b32 exec_lo, exec_lo, s6
	s_and_saveexec_b32 s6, s5
	s_cbranch_execz .LBB7_1331
; %bb.1330:
	v_and_b32_e32 v7, 0xffff, v5
	v_lshlrev_b32_e32 v5, 24, v5
	v_and_b32_e32 v12, 3, v7
	v_bfe_u32 v15, v7, 2, 5
	v_and_b32_e32 v5, 0x80000000, v5
	v_ffbh_u32_e32 v13, v12
	v_cmp_eq_u32_e32 vcc_lo, 0, v15
	v_min_u32_e32 v13, 32, v13
	v_subrev_nc_u32_e32 v14, 29, v13
	v_sub_nc_u32_e32 v13, 30, v13
	v_lshlrev_b32_e32 v7, v14, v7
	v_cndmask_b32_e32 v13, v15, v13, vcc_lo
	v_and_b32_e32 v7, 3, v7
	v_cndmask_b32_e32 v7, v12, v7, vcc_lo
	v_lshl_add_u32 v12, v13, 23, 0x37800000
	v_lshlrev_b32_e32 v7, 21, v7
	v_or3_b32 v5, v5, v12, v7
	v_cvt_f64_f32_e32 v[13:14], v5
.LBB7_1331:
	s_or_b32 exec_lo, exec_lo, s6
	s_mov_b32 s5, 0
	s_branch .LBB7_1335
.LBB7_1332:
	s_mov_b32 s5, -1
                                        ; implicit-def: $vgpr13_vgpr14
	s_branch .LBB7_1341
.LBB7_1333:
	s_mov_b32 s5, -1
                                        ; implicit-def: $vgpr13_vgpr14
	s_branch .LBB7_1338
.LBB7_1334:
	s_mov_b32 s5, -1
                                        ; implicit-def: $vgpr13_vgpr14
.LBB7_1335:
	s_and_b32 vcc_lo, exec_lo, s5
	s_cbranch_vccz .LBB7_1337
; %bb.1336:
	global_load_ubyte v5, v[10:11], off
	s_waitcnt vmcnt(0)
	v_lshlrev_b32_e32 v5, 24, v5
	v_and_b32_e32 v7, 0x7f000000, v5
	v_ffbh_u32_e32 v12, v7
	v_add_nc_u32_e32 v14, 0x1000000, v7
	v_cmp_ne_u32_e32 vcc_lo, 0, v7
	v_min_u32_e32 v12, 32, v12
	v_sub_nc_u32_e64 v12, v12, 4 clamp
	v_lshlrev_b32_e32 v13, v12, v7
	v_lshlrev_b32_e32 v12, 23, v12
	v_lshrrev_b32_e32 v13, 4, v13
	v_sub_nc_u32_e32 v12, v13, v12
	v_ashrrev_i32_e32 v13, 8, v14
	v_add_nc_u32_e32 v12, 0x3c000000, v12
	v_and_or_b32 v12, 0x7f800000, v13, v12
	v_cndmask_b32_e32 v7, 0, v12, vcc_lo
	v_and_or_b32 v5, 0x80000000, v5, v7
	v_cvt_f64_f32_e32 v[13:14], v5
.LBB7_1337:
	s_mov_b32 s5, 0
.LBB7_1338:
	s_andn2_b32 vcc_lo, exec_lo, s5
	s_cbranch_vccnz .LBB7_1340
; %bb.1339:
	global_load_ubyte v5, v[10:11], off
	s_waitcnt vmcnt(0)
	v_lshlrev_b32_e32 v7, 25, v5
	v_lshlrev_b16 v5, 8, v5
	v_lshrrev_b32_e32 v12, 4, v7
	v_and_or_b32 v13, 0x7f00, v5, 0.5
	v_cmp_gt_u32_e32 vcc_lo, 0x8000000, v7
	v_bfe_i32 v5, v5, 0, 16
	v_or_b32_e32 v12, 0x70000000, v12
	v_add_f32_e32 v13, -0.5, v13
	v_mul_f32_e32 v12, 0x7800000, v12
	v_cndmask_b32_e32 v7, v12, v13, vcc_lo
	v_and_or_b32 v5, 0x80000000, v5, v7
	v_cvt_f64_f32_e32 v[13:14], v5
.LBB7_1340:
	s_mov_b32 s5, 0
	s_mov_b32 s6, -1
.LBB7_1341:
	s_andn2_b32 vcc_lo, exec_lo, s5
	s_mov_b32 s5, 0
	s_cbranch_vccnz .LBB7_1350
; %bb.1342:
	s_cmp_gt_i32 s3, 14
	s_cbranch_scc0 .LBB7_1345
; %bb.1343:
	s_cmp_eq_u32 s3, 15
	s_cbranch_scc0 .LBB7_1346
; %bb.1344:
	global_load_ushort v5, v[10:11], off
	s_mov_b32 s4, 0
	s_mov_b32 s6, -1
	s_waitcnt vmcnt(0)
	v_lshlrev_b32_e32 v5, 16, v5
	v_cvt_f64_f32_e32 v[13:14], v5
	s_branch .LBB7_1348
.LBB7_1345:
	s_mov_b32 s5, -1
	s_branch .LBB7_1347
.LBB7_1346:
	s_mov_b32 s4, -1
.LBB7_1347:
                                        ; implicit-def: $vgpr13_vgpr14
.LBB7_1348:
	s_and_b32 vcc_lo, exec_lo, s5
	s_mov_b32 s5, 0
	s_cbranch_vccz .LBB7_1350
; %bb.1349:
	s_cmp_lg_u32 s3, 11
	s_mov_b32 s5, -1
	s_cselect_b32 s4, -1, 0
.LBB7_1350:
	s_and_b32 vcc_lo, exec_lo, s4
	s_cbranch_vccnz .LBB7_1413
; %bb.1351:
	s_andn2_b32 vcc_lo, exec_lo, s5
	s_cbranch_vccnz .LBB7_1353
.LBB7_1352:
	global_load_ubyte v5, v[10:11], off
	v_mov_b32_e32 v13, 0
	s_mov_b32 s6, -1
	s_waitcnt vmcnt(0)
	v_cmp_ne_u16_e32 vcc_lo, 0, v5
	v_cndmask_b32_e64 v14, 0, 0x3ff00000, vcc_lo
.LBB7_1353:
	s_branch .LBB7_1279
.LBB7_1354:
	s_and_b32 s3, 0xffff, s0
	s_cmp_lt_i32 s3, 5
	s_cbranch_scc1 .LBB7_1359
; %bb.1355:
	s_cmp_lt_i32 s3, 8
	s_cbranch_scc1 .LBB7_1360
; %bb.1356:
	;; [unrolled: 3-line block ×3, first 2 shown]
	s_cmp_gt_i32 s3, 9
	s_cbranch_scc0 .LBB7_1362
; %bb.1358:
	global_load_dwordx2 v[13:14], v[10:11], off
	s_mov_b32 s4, 0
	s_branch .LBB7_1363
.LBB7_1359:
                                        ; implicit-def: $vgpr13_vgpr14
	s_branch .LBB7_1381
.LBB7_1360:
	s_mov_b32 s4, -1
                                        ; implicit-def: $vgpr13_vgpr14
	s_branch .LBB7_1369
.LBB7_1361:
	s_mov_b32 s4, -1
                                        ; implicit-def: $vgpr13_vgpr14
	s_branch .LBB7_1366
.LBB7_1362:
	s_mov_b32 s4, -1
                                        ; implicit-def: $vgpr13_vgpr14
.LBB7_1363:
	s_andn2_b32 vcc_lo, exec_lo, s4
	s_cbranch_vccnz .LBB7_1365
; %bb.1364:
	global_load_dword v5, v[10:11], off
	s_waitcnt vmcnt(0)
	v_cvt_f64_f32_e32 v[13:14], v5
.LBB7_1365:
	s_mov_b32 s4, 0
.LBB7_1366:
	s_andn2_b32 vcc_lo, exec_lo, s4
	s_cbranch_vccnz .LBB7_1368
; %bb.1367:
	global_load_dword v5, v[10:11], off
	s_waitcnt vmcnt(0)
	v_cvt_f32_f16_e32 v5, v5
	v_cvt_f64_f32_e32 v[13:14], v5
.LBB7_1368:
	s_mov_b32 s4, 0
.LBB7_1369:
	s_andn2_b32 vcc_lo, exec_lo, s4
	s_cbranch_vccnz .LBB7_1380
; %bb.1370:
	s_cmp_lt_i32 s3, 6
	s_cbranch_scc1 .LBB7_1373
; %bb.1371:
	s_cmp_gt_i32 s3, 6
	s_cbranch_scc0 .LBB7_1374
; %bb.1372:
	global_load_dwordx2 v[13:14], v[10:11], off
	s_mov_b32 s4, 0
	s_branch .LBB7_1375
.LBB7_1373:
	s_mov_b32 s4, -1
                                        ; implicit-def: $vgpr13_vgpr14
	s_branch .LBB7_1378
.LBB7_1374:
	s_mov_b32 s4, -1
                                        ; implicit-def: $vgpr13_vgpr14
.LBB7_1375:
	s_andn2_b32 vcc_lo, exec_lo, s4
	s_cbranch_vccnz .LBB7_1377
; %bb.1376:
	global_load_dword v5, v[10:11], off
	s_waitcnt vmcnt(0)
	v_cvt_f64_f32_e32 v[13:14], v5
.LBB7_1377:
	s_mov_b32 s4, 0
.LBB7_1378:
	s_andn2_b32 vcc_lo, exec_lo, s4
	s_cbranch_vccnz .LBB7_1380
; %bb.1379:
	global_load_ushort v5, v[10:11], off
	s_waitcnt vmcnt(0)
	v_cvt_f32_f16_e32 v5, v5
	v_cvt_f64_f32_e32 v[13:14], v5
.LBB7_1380:
	s_cbranch_execnz .LBB7_1400
.LBB7_1381:
	s_cmp_lt_i32 s3, 2
	s_cbranch_scc1 .LBB7_1385
; %bb.1382:
	s_cmp_lt_i32 s3, 3
	s_cbranch_scc1 .LBB7_1386
; %bb.1383:
	s_cmp_gt_i32 s3, 3
	s_cbranch_scc0 .LBB7_1387
; %bb.1384:
	global_load_dwordx2 v[12:13], v[10:11], off
	s_mov_b32 s4, 0
	s_waitcnt vmcnt(0)
	v_cvt_f64_i32_e32 v[13:14], v13
	v_cvt_f64_u32_e32 v[15:16], v12
	v_ldexp_f64 v[13:14], v[13:14], 32
	v_add_f64 v[13:14], v[13:14], v[15:16]
	s_branch .LBB7_1388
.LBB7_1385:
	s_mov_b32 s4, -1
                                        ; implicit-def: $vgpr13_vgpr14
	s_branch .LBB7_1394
.LBB7_1386:
	s_mov_b32 s4, -1
                                        ; implicit-def: $vgpr13_vgpr14
	s_branch .LBB7_1391
.LBB7_1387:
	s_mov_b32 s4, -1
                                        ; implicit-def: $vgpr13_vgpr14
.LBB7_1388:
	s_andn2_b32 vcc_lo, exec_lo, s4
	s_cbranch_vccnz .LBB7_1390
; %bb.1389:
	global_load_dword v5, v[10:11], off
	s_waitcnt vmcnt(0)
	v_cvt_f64_i32_e32 v[13:14], v5
.LBB7_1390:
	s_mov_b32 s4, 0
.LBB7_1391:
	s_andn2_b32 vcc_lo, exec_lo, s4
	s_cbranch_vccnz .LBB7_1393
; %bb.1392:
	global_load_sshort v5, v[10:11], off
	s_waitcnt vmcnt(0)
	v_cvt_f64_i32_e32 v[13:14], v5
.LBB7_1393:
	s_mov_b32 s4, 0
.LBB7_1394:
	s_andn2_b32 vcc_lo, exec_lo, s4
	s_cbranch_vccnz .LBB7_1400
; %bb.1395:
	s_cmp_gt_i32 s3, 0
	s_mov_b32 s3, 0
	s_cbranch_scc0 .LBB7_1397
; %bb.1396:
	global_load_sbyte v5, v[10:11], off
	s_waitcnt vmcnt(0)
	v_cvt_f64_i32_e32 v[13:14], v5
	s_branch .LBB7_1398
.LBB7_1397:
	s_mov_b32 s3, -1
                                        ; implicit-def: $vgpr13_vgpr14
.LBB7_1398:
	s_andn2_b32 vcc_lo, exec_lo, s3
	s_cbranch_vccnz .LBB7_1400
; %bb.1399:
	global_load_ubyte v5, v[10:11], off
	s_waitcnt vmcnt(0)
	v_cvt_f64_u32_e32 v[13:14], v5
.LBB7_1400:
.LBB7_1401:
	v_add_co_u32 v15, s3, s10, v3
	v_add_co_ci_u32_e64 v16, null, s11, 0, s3
	s_cmp_lt_i32 s0, 11
	s_cbranch_scc1 .LBB7_1408
; %bb.1402:
	s_and_b32 s3, 0xffff, s0
	s_mov_b32 s5, 0
	s_cmp_gt_i32 s3, 25
	s_cbranch_scc0 .LBB7_1410
; %bb.1403:
	s_cmp_gt_i32 s3, 28
	s_cbranch_scc0 .LBB7_1411
; %bb.1404:
	;; [unrolled: 3-line block ×4, first 2 shown]
	s_cmp_eq_u32 s3, 46
	s_mov_b32 s7, 0
	s_cbranch_scc0 .LBB7_1415
; %bb.1407:
	global_load_dword v3, v[15:16], off
	s_mov_b32 s4, 0
	s_mov_b32 s6, -1
	s_waitcnt vmcnt(0)
	v_lshlrev_b32_e32 v3, 16, v3
	v_cvt_f64_f32_e32 v[11:12], v3
	s_branch .LBB7_1417
.LBB7_1408:
	s_mov_b32 s6, 0
                                        ; implicit-def: $vgpr11_vgpr12
	s_cbranch_execnz .LBB7_1483
.LBB7_1409:
	s_andn2_b32 vcc_lo, exec_lo, s6
	s_cbranch_vccnz .LBB7_2095
	s_branch .LBB7_1531
.LBB7_1410:
	s_mov_b32 s7, -1
	s_mov_b32 s6, 0
	s_mov_b32 s4, 0
                                        ; implicit-def: $vgpr11_vgpr12
	s_branch .LBB7_1448
.LBB7_1411:
	s_mov_b32 s7, -1
	s_mov_b32 s6, 0
	s_mov_b32 s4, 0
                                        ; implicit-def: $vgpr11_vgpr12
	s_branch .LBB7_1427
.LBB7_1412:
	s_mov_b32 s7, -1
	s_mov_b32 s6, 0
	s_mov_b32 s4, 0
                                        ; implicit-def: $vgpr11_vgpr12
	s_branch .LBB7_1422
.LBB7_1413:
	s_or_b32 s1, s1, exec_lo
	s_trap 2
	s_cbranch_execz .LBB7_1352
	s_branch .LBB7_1353
.LBB7_1414:
	s_mov_b32 s7, -1
	s_mov_b32 s6, 0
	s_mov_b32 s4, 0
	s_branch .LBB7_1416
.LBB7_1415:
	s_mov_b32 s4, -1
	s_mov_b32 s6, 0
.LBB7_1416:
                                        ; implicit-def: $vgpr11_vgpr12
.LBB7_1417:
	s_and_b32 vcc_lo, exec_lo, s7
	s_cbranch_vccz .LBB7_1421
; %bb.1418:
	s_cmp_eq_u32 s3, 44
	s_cbranch_scc0 .LBB7_1420
; %bb.1419:
	global_load_ubyte v3, v[15:16], off
	s_mov_b32 s4, 0
	s_mov_b32 s6, -1
	s_waitcnt vmcnt(0)
	v_lshlrev_b32_e32 v5, 23, v3
	v_cmp_ne_u32_e32 vcc_lo, 0xff, v3
	v_cvt_f64_f32_e32 v[10:11], v5
	v_cndmask_b32_e32 v5, 0x20000000, v10, vcc_lo
	v_cndmask_b32_e32 v7, 0x7ff80000, v11, vcc_lo
	v_cmp_ne_u32_e32 vcc_lo, 0, v3
	v_cndmask_b32_e32 v12, 0x38000000, v7, vcc_lo
	v_cndmask_b32_e32 v11, 0, v5, vcc_lo
	s_branch .LBB7_1421
.LBB7_1420:
	s_mov_b32 s4, -1
                                        ; implicit-def: $vgpr11_vgpr12
.LBB7_1421:
	s_mov_b32 s7, 0
.LBB7_1422:
	s_and_b32 vcc_lo, exec_lo, s7
	s_cbranch_vccz .LBB7_1426
; %bb.1423:
	s_cmp_eq_u32 s3, 29
	s_cbranch_scc0 .LBB7_1425
; %bb.1424:
	global_load_dwordx2 v[10:11], v[15:16], off
	s_mov_b32 s4, 0
	s_mov_b32 s6, -1
	s_mov_b32 s7, 0
	s_waitcnt vmcnt(0)
	v_cvt_f64_u32_e32 v[11:12], v11
	v_cvt_f64_u32_e32 v[17:18], v10
	v_ldexp_f64 v[11:12], v[11:12], 32
	v_add_f64 v[11:12], v[11:12], v[17:18]
	s_branch .LBB7_1427
.LBB7_1425:
	s_mov_b32 s4, -1
                                        ; implicit-def: $vgpr11_vgpr12
.LBB7_1426:
	s_mov_b32 s7, 0
.LBB7_1427:
	s_and_b32 vcc_lo, exec_lo, s7
	s_cbranch_vccz .LBB7_1447
; %bb.1428:
	s_cmp_lt_i32 s3, 27
	s_cbranch_scc1 .LBB7_1431
; %bb.1429:
	s_cmp_gt_i32 s3, 27
	s_cbranch_scc0 .LBB7_1432
; %bb.1430:
	global_load_dword v3, v[15:16], off
	s_mov_b32 s6, 0
	s_waitcnt vmcnt(0)
	v_cvt_f64_u32_e32 v[11:12], v3
	s_branch .LBB7_1433
.LBB7_1431:
	s_mov_b32 s6, -1
                                        ; implicit-def: $vgpr11_vgpr12
	s_branch .LBB7_1436
.LBB7_1432:
	s_mov_b32 s6, -1
                                        ; implicit-def: $vgpr11_vgpr12
.LBB7_1433:
	s_andn2_b32 vcc_lo, exec_lo, s6
	s_cbranch_vccnz .LBB7_1435
; %bb.1434:
	global_load_ushort v3, v[15:16], off
	s_waitcnt vmcnt(0)
	v_cvt_f64_u32_e32 v[11:12], v3
.LBB7_1435:
	s_mov_b32 s6, 0
.LBB7_1436:
	s_andn2_b32 vcc_lo, exec_lo, s6
	s_cbranch_vccnz .LBB7_1446
; %bb.1437:
	global_load_ubyte v3, v[15:16], off
	s_mov_b32 s6, 0
	s_mov_b32 s7, exec_lo
	s_waitcnt vmcnt(0)
	v_cmpx_lt_i16_e32 0x7f, v3
	s_xor_b32 s7, exec_lo, s7
	s_cbranch_execz .LBB7_1441
; %bb.1438:
	s_mov_b32 s6, -1
	s_mov_b32 s14, exec_lo
	v_cmpx_eq_u16_e32 0x80, v3
; %bb.1439:
	s_xor_b32 s6, exec_lo, -1
; %bb.1440:
	s_or_b32 exec_lo, exec_lo, s14
	s_and_b32 s6, s6, exec_lo
.LBB7_1441:
	s_or_saveexec_b32 s7, s7
	v_bfrev_b32_e32 v11, 4
	v_mov_b32_e32 v12, 0x7ff80000
	s_xor_b32 exec_lo, exec_lo, s7
; %bb.1442:
	v_cmp_ne_u16_e32 vcc_lo, 0, v3
	v_mov_b32_e32 v11, 0
	v_mov_b32_e32 v12, 0
	s_andn2_b32 s6, s6, exec_lo
	s_and_b32 s14, vcc_lo, exec_lo
	s_or_b32 s6, s6, s14
; %bb.1443:
	s_or_b32 exec_lo, exec_lo, s7
	s_and_saveexec_b32 s7, s6
	s_cbranch_execz .LBB7_1445
; %bb.1444:
	v_and_b32_e32 v5, 0xffff, v3
	v_lshlrev_b32_e32 v3, 24, v3
	v_and_b32_e32 v7, 7, v5
	v_bfe_u32 v12, v5, 3, 4
	v_and_b32_e32 v3, 0x80000000, v3
	v_ffbh_u32_e32 v10, v7
	v_cmp_eq_u32_e32 vcc_lo, 0, v12
	v_min_u32_e32 v10, 32, v10
	v_subrev_nc_u32_e32 v11, 28, v10
	v_sub_nc_u32_e32 v10, 29, v10
	v_lshlrev_b32_e32 v5, v11, v5
	v_cndmask_b32_e32 v10, v12, v10, vcc_lo
	v_and_b32_e32 v5, 7, v5
	v_cndmask_b32_e32 v5, v7, v5, vcc_lo
	v_lshl_add_u32 v7, v10, 23, 0x3b800000
	v_lshlrev_b32_e32 v5, 20, v5
	v_or3_b32 v3, v3, v7, v5
	v_cvt_f64_f32_e32 v[11:12], v3
.LBB7_1445:
	s_or_b32 exec_lo, exec_lo, s7
.LBB7_1446:
	s_mov_b32 s6, -1
.LBB7_1447:
	s_mov_b32 s7, 0
.LBB7_1448:
	s_and_b32 vcc_lo, exec_lo, s7
	s_cbranch_vccz .LBB7_1479
; %bb.1449:
	s_cmp_gt_i32 s3, 22
	s_cbranch_scc0 .LBB7_1461
; %bb.1450:
	s_cmp_lt_i32 s3, 24
	s_cbranch_scc1 .LBB7_1462
; %bb.1451:
	s_cmp_gt_i32 s3, 24
	s_cbranch_scc0 .LBB7_1463
; %bb.1452:
	global_load_ubyte v3, v[15:16], off
	s_mov_b32 s6, exec_lo
	s_waitcnt vmcnt(0)
	v_cmpx_lt_i16_e32 0x7f, v3
	s_xor_b32 s6, exec_lo, s6
	s_cbranch_execz .LBB7_1456
; %bb.1453:
	s_mov_b32 s5, -1
	s_mov_b32 s7, exec_lo
	v_cmpx_eq_u16_e32 0x80, v3
; %bb.1454:
	s_xor_b32 s5, exec_lo, -1
; %bb.1455:
	s_or_b32 exec_lo, exec_lo, s7
	s_and_b32 s5, s5, exec_lo
.LBB7_1456:
	s_or_saveexec_b32 s6, s6
	v_bfrev_b32_e32 v11, 4
	v_mov_b32_e32 v12, 0x7ff80000
	s_xor_b32 exec_lo, exec_lo, s6
; %bb.1457:
	v_cmp_ne_u16_e32 vcc_lo, 0, v3
	v_mov_b32_e32 v11, 0
	v_mov_b32_e32 v12, 0
	s_andn2_b32 s5, s5, exec_lo
	s_and_b32 s7, vcc_lo, exec_lo
	s_or_b32 s5, s5, s7
; %bb.1458:
	s_or_b32 exec_lo, exec_lo, s6
	s_and_saveexec_b32 s6, s5
	s_cbranch_execz .LBB7_1460
; %bb.1459:
	v_and_b32_e32 v5, 0xffff, v3
	v_lshlrev_b32_e32 v3, 24, v3
	v_and_b32_e32 v7, 3, v5
	v_bfe_u32 v12, v5, 2, 5
	v_and_b32_e32 v3, 0x80000000, v3
	v_ffbh_u32_e32 v10, v7
	v_cmp_eq_u32_e32 vcc_lo, 0, v12
	v_min_u32_e32 v10, 32, v10
	v_subrev_nc_u32_e32 v11, 29, v10
	v_sub_nc_u32_e32 v10, 30, v10
	v_lshlrev_b32_e32 v5, v11, v5
	v_cndmask_b32_e32 v10, v12, v10, vcc_lo
	v_and_b32_e32 v5, 3, v5
	v_cndmask_b32_e32 v5, v7, v5, vcc_lo
	v_lshl_add_u32 v7, v10, 23, 0x37800000
	v_lshlrev_b32_e32 v5, 21, v5
	v_or3_b32 v3, v3, v7, v5
	v_cvt_f64_f32_e32 v[11:12], v3
.LBB7_1460:
	s_or_b32 exec_lo, exec_lo, s6
	s_mov_b32 s5, 0
	s_branch .LBB7_1464
.LBB7_1461:
	s_mov_b32 s5, -1
                                        ; implicit-def: $vgpr11_vgpr12
	s_branch .LBB7_1470
.LBB7_1462:
	s_mov_b32 s5, -1
                                        ; implicit-def: $vgpr11_vgpr12
	s_branch .LBB7_1467
.LBB7_1463:
	s_mov_b32 s5, -1
                                        ; implicit-def: $vgpr11_vgpr12
.LBB7_1464:
	s_and_b32 vcc_lo, exec_lo, s5
	s_cbranch_vccz .LBB7_1466
; %bb.1465:
	global_load_ubyte v3, v[15:16], off
	s_waitcnt vmcnt(0)
	v_lshlrev_b32_e32 v3, 24, v3
	v_and_b32_e32 v5, 0x7f000000, v3
	v_ffbh_u32_e32 v7, v5
	v_add_nc_u32_e32 v11, 0x1000000, v5
	v_cmp_ne_u32_e32 vcc_lo, 0, v5
	v_min_u32_e32 v7, 32, v7
	v_sub_nc_u32_e64 v7, v7, 4 clamp
	v_lshlrev_b32_e32 v10, v7, v5
	v_lshlrev_b32_e32 v7, 23, v7
	v_lshrrev_b32_e32 v10, 4, v10
	v_sub_nc_u32_e32 v7, v10, v7
	v_ashrrev_i32_e32 v10, 8, v11
	v_add_nc_u32_e32 v7, 0x3c000000, v7
	v_and_or_b32 v7, 0x7f800000, v10, v7
	v_cndmask_b32_e32 v5, 0, v7, vcc_lo
	v_and_or_b32 v3, 0x80000000, v3, v5
	v_cvt_f64_f32_e32 v[11:12], v3
.LBB7_1466:
	s_mov_b32 s5, 0
.LBB7_1467:
	s_andn2_b32 vcc_lo, exec_lo, s5
	s_cbranch_vccnz .LBB7_1469
; %bb.1468:
	global_load_ubyte v3, v[15:16], off
	s_waitcnt vmcnt(0)
	v_lshlrev_b32_e32 v5, 25, v3
	v_lshlrev_b16 v3, 8, v3
	v_lshrrev_b32_e32 v7, 4, v5
	v_and_or_b32 v10, 0x7f00, v3, 0.5
	v_cmp_gt_u32_e32 vcc_lo, 0x8000000, v5
	v_bfe_i32 v3, v3, 0, 16
	v_or_b32_e32 v7, 0x70000000, v7
	v_add_f32_e32 v10, -0.5, v10
	v_mul_f32_e32 v7, 0x7800000, v7
	v_cndmask_b32_e32 v5, v7, v10, vcc_lo
	v_and_or_b32 v3, 0x80000000, v3, v5
	v_cvt_f64_f32_e32 v[11:12], v3
.LBB7_1469:
	s_mov_b32 s5, 0
	s_mov_b32 s6, -1
.LBB7_1470:
	s_andn2_b32 vcc_lo, exec_lo, s5
	s_mov_b32 s5, 0
	s_cbranch_vccnz .LBB7_1479
; %bb.1471:
	s_cmp_gt_i32 s3, 14
	s_cbranch_scc0 .LBB7_1474
; %bb.1472:
	s_cmp_eq_u32 s3, 15
	s_cbranch_scc0 .LBB7_1475
; %bb.1473:
	global_load_ushort v3, v[15:16], off
	s_mov_b32 s4, 0
	s_mov_b32 s6, -1
	s_waitcnt vmcnt(0)
	v_lshlrev_b32_e32 v3, 16, v3
	v_cvt_f64_f32_e32 v[11:12], v3
	s_branch .LBB7_1477
.LBB7_1474:
	s_mov_b32 s5, -1
	s_branch .LBB7_1476
.LBB7_1475:
	s_mov_b32 s4, -1
.LBB7_1476:
                                        ; implicit-def: $vgpr11_vgpr12
.LBB7_1477:
	s_and_b32 vcc_lo, exec_lo, s5
	s_mov_b32 s5, 0
	s_cbranch_vccz .LBB7_1479
; %bb.1478:
	s_cmp_lg_u32 s3, 11
	s_mov_b32 s5, -1
	s_cselect_b32 s4, -1, 0
.LBB7_1479:
	s_and_b32 vcc_lo, exec_lo, s4
	s_cbranch_vccnz .LBB7_1542
; %bb.1480:
	s_andn2_b32 vcc_lo, exec_lo, s5
	s_cbranch_vccnz .LBB7_1482
.LBB7_1481:
	global_load_ubyte v3, v[15:16], off
	v_mov_b32_e32 v11, 0
	s_mov_b32 s6, -1
	s_waitcnt vmcnt(0)
	v_cmp_ne_u16_e32 vcc_lo, 0, v3
	v_cndmask_b32_e64 v12, 0, 0x3ff00000, vcc_lo
.LBB7_1482:
	s_branch .LBB7_1409
.LBB7_1483:
	s_and_b32 s3, 0xffff, s0
	s_cmp_lt_i32 s3, 5
	s_cbranch_scc1 .LBB7_1488
; %bb.1484:
	s_cmp_lt_i32 s3, 8
	s_cbranch_scc1 .LBB7_1489
; %bb.1485:
	;; [unrolled: 3-line block ×3, first 2 shown]
	s_cmp_gt_i32 s3, 9
	s_cbranch_scc0 .LBB7_1491
; %bb.1487:
	global_load_dwordx2 v[11:12], v[15:16], off
	s_mov_b32 s4, 0
	s_branch .LBB7_1492
.LBB7_1488:
	s_mov_b32 s4, -1
                                        ; implicit-def: $vgpr11_vgpr12
	s_branch .LBB7_1510
.LBB7_1489:
	s_mov_b32 s4, -1
                                        ; implicit-def: $vgpr11_vgpr12
	s_branch .LBB7_1498
.LBB7_1490:
	s_mov_b32 s4, -1
                                        ; implicit-def: $vgpr11_vgpr12
	s_branch .LBB7_1495
.LBB7_1491:
	s_mov_b32 s4, -1
                                        ; implicit-def: $vgpr11_vgpr12
.LBB7_1492:
	s_andn2_b32 vcc_lo, exec_lo, s4
	s_cbranch_vccnz .LBB7_1494
; %bb.1493:
	global_load_dword v3, v[15:16], off
	s_waitcnt vmcnt(0)
	v_cvt_f64_f32_e32 v[11:12], v3
.LBB7_1494:
	s_mov_b32 s4, 0
.LBB7_1495:
	s_andn2_b32 vcc_lo, exec_lo, s4
	s_cbranch_vccnz .LBB7_1497
; %bb.1496:
	global_load_dword v3, v[15:16], off
	s_waitcnt vmcnt(0)
	v_cvt_f32_f16_e32 v3, v3
	v_cvt_f64_f32_e32 v[11:12], v3
.LBB7_1497:
	s_mov_b32 s4, 0
.LBB7_1498:
	s_andn2_b32 vcc_lo, exec_lo, s4
	s_cbranch_vccnz .LBB7_1509
; %bb.1499:
	s_cmp_lt_i32 s3, 6
	s_cbranch_scc1 .LBB7_1502
; %bb.1500:
	s_cmp_gt_i32 s3, 6
	s_cbranch_scc0 .LBB7_1503
; %bb.1501:
	global_load_dwordx2 v[11:12], v[15:16], off
	s_mov_b32 s4, 0
	s_branch .LBB7_1504
.LBB7_1502:
	s_mov_b32 s4, -1
                                        ; implicit-def: $vgpr11_vgpr12
	s_branch .LBB7_1507
.LBB7_1503:
	s_mov_b32 s4, -1
                                        ; implicit-def: $vgpr11_vgpr12
.LBB7_1504:
	s_andn2_b32 vcc_lo, exec_lo, s4
	s_cbranch_vccnz .LBB7_1506
; %bb.1505:
	global_load_dword v3, v[15:16], off
	s_waitcnt vmcnt(0)
	v_cvt_f64_f32_e32 v[11:12], v3
.LBB7_1506:
	s_mov_b32 s4, 0
.LBB7_1507:
	s_andn2_b32 vcc_lo, exec_lo, s4
	s_cbranch_vccnz .LBB7_1509
; %bb.1508:
	global_load_ushort v3, v[15:16], off
	s_waitcnt vmcnt(0)
	v_cvt_f32_f16_e32 v3, v3
	v_cvt_f64_f32_e32 v[11:12], v3
.LBB7_1509:
	s_mov_b32 s4, 0
.LBB7_1510:
	s_andn2_b32 vcc_lo, exec_lo, s4
	s_cbranch_vccnz .LBB7_1530
; %bb.1511:
	s_cmp_lt_i32 s3, 2
	s_cbranch_scc1 .LBB7_1515
; %bb.1512:
	s_cmp_lt_i32 s3, 3
	s_cbranch_scc1 .LBB7_1516
; %bb.1513:
	s_cmp_gt_i32 s3, 3
	s_cbranch_scc0 .LBB7_1517
; %bb.1514:
	global_load_dwordx2 v[10:11], v[15:16], off
	s_mov_b32 s4, 0
	s_waitcnt vmcnt(0)
	v_cvt_f64_i32_e32 v[11:12], v11
	v_cvt_f64_u32_e32 v[17:18], v10
	v_ldexp_f64 v[11:12], v[11:12], 32
	v_add_f64 v[11:12], v[11:12], v[17:18]
	s_branch .LBB7_1518
.LBB7_1515:
	s_mov_b32 s4, -1
                                        ; implicit-def: $vgpr11_vgpr12
	s_branch .LBB7_1524
.LBB7_1516:
	s_mov_b32 s4, -1
                                        ; implicit-def: $vgpr11_vgpr12
	s_branch .LBB7_1521
.LBB7_1517:
	s_mov_b32 s4, -1
                                        ; implicit-def: $vgpr11_vgpr12
.LBB7_1518:
	s_andn2_b32 vcc_lo, exec_lo, s4
	s_cbranch_vccnz .LBB7_1520
; %bb.1519:
	global_load_dword v3, v[15:16], off
	s_waitcnt vmcnt(0)
	v_cvt_f64_i32_e32 v[11:12], v3
.LBB7_1520:
	s_mov_b32 s4, 0
.LBB7_1521:
	s_andn2_b32 vcc_lo, exec_lo, s4
	s_cbranch_vccnz .LBB7_1523
; %bb.1522:
	global_load_sshort v3, v[15:16], off
	s_waitcnt vmcnt(0)
	v_cvt_f64_i32_e32 v[11:12], v3
.LBB7_1523:
	s_mov_b32 s4, 0
.LBB7_1524:
	s_andn2_b32 vcc_lo, exec_lo, s4
	s_cbranch_vccnz .LBB7_1530
; %bb.1525:
	s_cmp_gt_i32 s3, 0
	s_mov_b32 s3, 0
	s_cbranch_scc0 .LBB7_1527
; %bb.1526:
	global_load_sbyte v3, v[15:16], off
	s_waitcnt vmcnt(0)
	v_cvt_f64_i32_e32 v[11:12], v3
	s_branch .LBB7_1528
.LBB7_1527:
	s_mov_b32 s3, -1
                                        ; implicit-def: $vgpr11_vgpr12
.LBB7_1528:
	s_andn2_b32 vcc_lo, exec_lo, s3
	s_cbranch_vccnz .LBB7_1530
; %bb.1529:
	global_load_ubyte v3, v[15:16], off
	s_waitcnt vmcnt(0)
	v_cvt_f64_u32_e32 v[11:12], v3
.LBB7_1530:
.LBB7_1531:
	v_add_co_u32 v15, s3, s10, v9
	v_add_co_ci_u32_e64 v16, null, s11, 0, s3
	s_cmp_lt_i32 s0, 11
	s_cbranch_scc1 .LBB7_1538
; %bb.1532:
	s_and_b32 s3, 0xffff, s0
	s_mov_b32 s5, 0
	s_cmp_gt_i32 s3, 25
	s_cbranch_scc0 .LBB7_1539
; %bb.1533:
	s_cmp_gt_i32 s3, 28
	s_cbranch_scc0 .LBB7_1540
; %bb.1534:
	;; [unrolled: 3-line block ×4, first 2 shown]
	s_cmp_eq_u32 s3, 46
	s_mov_b32 s7, 0
	s_cbranch_scc0 .LBB7_1544
; %bb.1537:
	global_load_dword v3, v[15:16], off
	s_mov_b32 s4, 0
	s_mov_b32 s6, -1
	s_waitcnt vmcnt(0)
	v_lshlrev_b32_e32 v3, 16, v3
	v_cvt_f64_f32_e32 v[9:10], v3
	s_branch .LBB7_1546
.LBB7_1538:
	s_mov_b32 s3, -1
	s_mov_b32 s6, 0
                                        ; implicit-def: $vgpr9_vgpr10
	s_branch .LBB7_1612
.LBB7_1539:
	s_mov_b32 s7, -1
	s_mov_b32 s6, 0
	s_mov_b32 s4, 0
                                        ; implicit-def: $vgpr9_vgpr10
	s_branch .LBB7_1577
.LBB7_1540:
	s_mov_b32 s7, -1
	s_mov_b32 s6, 0
	s_mov_b32 s4, 0
                                        ; implicit-def: $vgpr9_vgpr10
	s_branch .LBB7_1556
.LBB7_1541:
	s_mov_b32 s7, -1
	s_mov_b32 s6, 0
	s_mov_b32 s4, 0
                                        ; implicit-def: $vgpr9_vgpr10
	s_branch .LBB7_1551
.LBB7_1542:
	s_or_b32 s1, s1, exec_lo
	s_trap 2
	s_cbranch_execz .LBB7_1481
	s_branch .LBB7_1482
.LBB7_1543:
	s_mov_b32 s7, -1
	s_mov_b32 s6, 0
	s_mov_b32 s4, 0
	s_branch .LBB7_1545
.LBB7_1544:
	s_mov_b32 s4, -1
	s_mov_b32 s6, 0
.LBB7_1545:
                                        ; implicit-def: $vgpr9_vgpr10
.LBB7_1546:
	s_and_b32 vcc_lo, exec_lo, s7
	s_cbranch_vccz .LBB7_1550
; %bb.1547:
	s_cmp_eq_u32 s3, 44
	s_cbranch_scc0 .LBB7_1549
; %bb.1548:
	global_load_ubyte v3, v[15:16], off
	s_mov_b32 s4, 0
	s_mov_b32 s6, -1
	s_waitcnt vmcnt(0)
	v_lshlrev_b32_e32 v5, 23, v3
	v_cmp_ne_u32_e32 vcc_lo, 0xff, v3
	v_cvt_f64_f32_e32 v[9:10], v5
	v_cndmask_b32_e32 v5, 0x20000000, v9, vcc_lo
	v_cndmask_b32_e32 v7, 0x7ff80000, v10, vcc_lo
	v_cmp_ne_u32_e32 vcc_lo, 0, v3
	v_cndmask_b32_e32 v10, 0x38000000, v7, vcc_lo
	v_cndmask_b32_e32 v9, 0, v5, vcc_lo
	s_branch .LBB7_1550
.LBB7_1549:
	s_mov_b32 s4, -1
                                        ; implicit-def: $vgpr9_vgpr10
.LBB7_1550:
	s_mov_b32 s7, 0
.LBB7_1551:
	s_and_b32 vcc_lo, exec_lo, s7
	s_cbranch_vccz .LBB7_1555
; %bb.1552:
	s_cmp_eq_u32 s3, 29
	s_cbranch_scc0 .LBB7_1554
; %bb.1553:
	global_load_dwordx2 v[9:10], v[15:16], off
	s_mov_b32 s4, 0
	s_mov_b32 s6, -1
	s_mov_b32 s7, 0
	s_waitcnt vmcnt(0)
	v_cvt_f64_u32_e32 v[17:18], v10
	v_cvt_f64_u32_e32 v[9:10], v9
	v_ldexp_f64 v[17:18], v[17:18], 32
	v_add_f64 v[9:10], v[17:18], v[9:10]
	s_branch .LBB7_1556
.LBB7_1554:
	s_mov_b32 s4, -1
                                        ; implicit-def: $vgpr9_vgpr10
.LBB7_1555:
	s_mov_b32 s7, 0
.LBB7_1556:
	s_and_b32 vcc_lo, exec_lo, s7
	s_cbranch_vccz .LBB7_1576
; %bb.1557:
	s_cmp_lt_i32 s3, 27
	s_cbranch_scc1 .LBB7_1560
; %bb.1558:
	s_cmp_gt_i32 s3, 27
	s_cbranch_scc0 .LBB7_1561
; %bb.1559:
	global_load_dword v3, v[15:16], off
	s_mov_b32 s6, 0
	s_waitcnt vmcnt(0)
	v_cvt_f64_u32_e32 v[9:10], v3
	s_branch .LBB7_1562
.LBB7_1560:
	s_mov_b32 s6, -1
                                        ; implicit-def: $vgpr9_vgpr10
	s_branch .LBB7_1565
.LBB7_1561:
	s_mov_b32 s6, -1
                                        ; implicit-def: $vgpr9_vgpr10
.LBB7_1562:
	s_andn2_b32 vcc_lo, exec_lo, s6
	s_cbranch_vccnz .LBB7_1564
; %bb.1563:
	global_load_ushort v3, v[15:16], off
	s_waitcnt vmcnt(0)
	v_cvt_f64_u32_e32 v[9:10], v3
.LBB7_1564:
	s_mov_b32 s6, 0
.LBB7_1565:
	s_andn2_b32 vcc_lo, exec_lo, s6
	s_cbranch_vccnz .LBB7_1575
; %bb.1566:
	global_load_ubyte v3, v[15:16], off
	s_mov_b32 s6, 0
	s_mov_b32 s7, exec_lo
	s_waitcnt vmcnt(0)
	v_cmpx_lt_i16_e32 0x7f, v3
	s_xor_b32 s7, exec_lo, s7
	s_cbranch_execz .LBB7_1570
; %bb.1567:
	s_mov_b32 s6, -1
	s_mov_b32 s10, exec_lo
	v_cmpx_eq_u16_e32 0x80, v3
; %bb.1568:
	s_xor_b32 s6, exec_lo, -1
; %bb.1569:
	s_or_b32 exec_lo, exec_lo, s10
	s_and_b32 s6, s6, exec_lo
.LBB7_1570:
	s_or_saveexec_b32 s7, s7
	v_bfrev_b32_e32 v9, 4
	v_mov_b32_e32 v10, 0x7ff80000
	s_xor_b32 exec_lo, exec_lo, s7
; %bb.1571:
	v_cmp_ne_u16_e32 vcc_lo, 0, v3
	v_mov_b32_e32 v9, 0
	v_mov_b32_e32 v10, 0
	s_andn2_b32 s6, s6, exec_lo
	s_and_b32 s10, vcc_lo, exec_lo
	s_or_b32 s6, s6, s10
; %bb.1572:
	s_or_b32 exec_lo, exec_lo, s7
	s_and_saveexec_b32 s7, s6
	s_cbranch_execz .LBB7_1574
; %bb.1573:
	v_and_b32_e32 v5, 0xffff, v3
	v_lshlrev_b32_e32 v3, 24, v3
	v_and_b32_e32 v7, 7, v5
	v_bfe_u32 v17, v5, 3, 4
	v_and_b32_e32 v3, 0x80000000, v3
	v_ffbh_u32_e32 v9, v7
	v_cmp_eq_u32_e32 vcc_lo, 0, v17
	v_min_u32_e32 v9, 32, v9
	v_subrev_nc_u32_e32 v10, 28, v9
	v_sub_nc_u32_e32 v9, 29, v9
	v_lshlrev_b32_e32 v5, v10, v5
	v_cndmask_b32_e32 v9, v17, v9, vcc_lo
	v_and_b32_e32 v5, 7, v5
	v_cndmask_b32_e32 v5, v7, v5, vcc_lo
	v_lshl_add_u32 v7, v9, 23, 0x3b800000
	v_lshlrev_b32_e32 v5, 20, v5
	v_or3_b32 v3, v3, v7, v5
	v_cvt_f64_f32_e32 v[9:10], v3
.LBB7_1574:
	s_or_b32 exec_lo, exec_lo, s7
.LBB7_1575:
	s_mov_b32 s6, -1
.LBB7_1576:
	s_mov_b32 s7, 0
.LBB7_1577:
	s_and_b32 vcc_lo, exec_lo, s7
	s_cbranch_vccz .LBB7_1608
; %bb.1578:
	s_cmp_gt_i32 s3, 22
	s_cbranch_scc0 .LBB7_1590
; %bb.1579:
	s_cmp_lt_i32 s3, 24
	s_cbranch_scc1 .LBB7_1591
; %bb.1580:
	s_cmp_gt_i32 s3, 24
	s_cbranch_scc0 .LBB7_1592
; %bb.1581:
	global_load_ubyte v3, v[15:16], off
	s_mov_b32 s6, exec_lo
	s_waitcnt vmcnt(0)
	v_cmpx_lt_i16_e32 0x7f, v3
	s_xor_b32 s6, exec_lo, s6
	s_cbranch_execz .LBB7_1585
; %bb.1582:
	s_mov_b32 s5, -1
	s_mov_b32 s7, exec_lo
	v_cmpx_eq_u16_e32 0x80, v3
; %bb.1583:
	s_xor_b32 s5, exec_lo, -1
; %bb.1584:
	s_or_b32 exec_lo, exec_lo, s7
	s_and_b32 s5, s5, exec_lo
.LBB7_1585:
	s_or_saveexec_b32 s6, s6
	v_bfrev_b32_e32 v9, 4
	v_mov_b32_e32 v10, 0x7ff80000
	s_xor_b32 exec_lo, exec_lo, s6
; %bb.1586:
	v_cmp_ne_u16_e32 vcc_lo, 0, v3
	v_mov_b32_e32 v9, 0
	v_mov_b32_e32 v10, 0
	s_andn2_b32 s5, s5, exec_lo
	s_and_b32 s7, vcc_lo, exec_lo
	s_or_b32 s5, s5, s7
; %bb.1587:
	s_or_b32 exec_lo, exec_lo, s6
	s_and_saveexec_b32 s6, s5
	s_cbranch_execz .LBB7_1589
; %bb.1588:
	v_and_b32_e32 v5, 0xffff, v3
	v_lshlrev_b32_e32 v3, 24, v3
	v_and_b32_e32 v7, 3, v5
	v_bfe_u32 v17, v5, 2, 5
	v_and_b32_e32 v3, 0x80000000, v3
	v_ffbh_u32_e32 v9, v7
	v_cmp_eq_u32_e32 vcc_lo, 0, v17
	v_min_u32_e32 v9, 32, v9
	v_subrev_nc_u32_e32 v10, 29, v9
	v_sub_nc_u32_e32 v9, 30, v9
	v_lshlrev_b32_e32 v5, v10, v5
	v_cndmask_b32_e32 v9, v17, v9, vcc_lo
	v_and_b32_e32 v5, 3, v5
	v_cndmask_b32_e32 v5, v7, v5, vcc_lo
	v_lshl_add_u32 v7, v9, 23, 0x37800000
	v_lshlrev_b32_e32 v5, 21, v5
	v_or3_b32 v3, v3, v7, v5
	v_cvt_f64_f32_e32 v[9:10], v3
.LBB7_1589:
	s_or_b32 exec_lo, exec_lo, s6
	s_mov_b32 s5, 0
	s_branch .LBB7_1593
.LBB7_1590:
	s_mov_b32 s5, -1
                                        ; implicit-def: $vgpr9_vgpr10
	s_branch .LBB7_1599
.LBB7_1591:
	s_mov_b32 s5, -1
                                        ; implicit-def: $vgpr9_vgpr10
	s_branch .LBB7_1596
.LBB7_1592:
	s_mov_b32 s5, -1
                                        ; implicit-def: $vgpr9_vgpr10
.LBB7_1593:
	s_and_b32 vcc_lo, exec_lo, s5
	s_cbranch_vccz .LBB7_1595
; %bb.1594:
	global_load_ubyte v3, v[15:16], off
	s_waitcnt vmcnt(0)
	v_lshlrev_b32_e32 v3, 24, v3
	v_and_b32_e32 v5, 0x7f000000, v3
	v_ffbh_u32_e32 v7, v5
	v_add_nc_u32_e32 v10, 0x1000000, v5
	v_cmp_ne_u32_e32 vcc_lo, 0, v5
	v_min_u32_e32 v7, 32, v7
	v_sub_nc_u32_e64 v7, v7, 4 clamp
	v_lshlrev_b32_e32 v9, v7, v5
	v_lshlrev_b32_e32 v7, 23, v7
	v_lshrrev_b32_e32 v9, 4, v9
	v_sub_nc_u32_e32 v7, v9, v7
	v_ashrrev_i32_e32 v9, 8, v10
	v_add_nc_u32_e32 v7, 0x3c000000, v7
	v_and_or_b32 v7, 0x7f800000, v9, v7
	v_cndmask_b32_e32 v5, 0, v7, vcc_lo
	v_and_or_b32 v3, 0x80000000, v3, v5
	v_cvt_f64_f32_e32 v[9:10], v3
.LBB7_1595:
	s_mov_b32 s5, 0
.LBB7_1596:
	s_andn2_b32 vcc_lo, exec_lo, s5
	s_cbranch_vccnz .LBB7_1598
; %bb.1597:
	global_load_ubyte v3, v[15:16], off
	s_waitcnt vmcnt(0)
	v_lshlrev_b32_e32 v5, 25, v3
	v_lshlrev_b16 v3, 8, v3
	v_lshrrev_b32_e32 v7, 4, v5
	v_and_or_b32 v9, 0x7f00, v3, 0.5
	v_cmp_gt_u32_e32 vcc_lo, 0x8000000, v5
	v_bfe_i32 v3, v3, 0, 16
	v_or_b32_e32 v7, 0x70000000, v7
	v_add_f32_e32 v9, -0.5, v9
	v_mul_f32_e32 v7, 0x7800000, v7
	v_cndmask_b32_e32 v5, v7, v9, vcc_lo
	v_and_or_b32 v3, 0x80000000, v3, v5
	v_cvt_f64_f32_e32 v[9:10], v3
.LBB7_1598:
	s_mov_b32 s5, 0
	s_mov_b32 s6, -1
.LBB7_1599:
	s_andn2_b32 vcc_lo, exec_lo, s5
	s_mov_b32 s5, 0
	s_cbranch_vccnz .LBB7_1608
; %bb.1600:
	s_cmp_gt_i32 s3, 14
	s_cbranch_scc0 .LBB7_1603
; %bb.1601:
	s_cmp_eq_u32 s3, 15
	s_cbranch_scc0 .LBB7_1604
; %bb.1602:
	global_load_ushort v3, v[15:16], off
	s_mov_b32 s4, 0
	s_mov_b32 s6, -1
	s_waitcnt vmcnt(0)
	v_lshlrev_b32_e32 v3, 16, v3
	v_cvt_f64_f32_e32 v[9:10], v3
	s_branch .LBB7_1606
.LBB7_1603:
	s_mov_b32 s5, -1
	s_branch .LBB7_1605
.LBB7_1604:
	s_mov_b32 s4, -1
.LBB7_1605:
                                        ; implicit-def: $vgpr9_vgpr10
.LBB7_1606:
	s_and_b32 vcc_lo, exec_lo, s5
	s_mov_b32 s5, 0
	s_cbranch_vccz .LBB7_1608
; %bb.1607:
	s_cmp_lg_u32 s3, 11
	s_mov_b32 s5, -1
	s_cselect_b32 s4, -1, 0
.LBB7_1608:
	s_and_b32 vcc_lo, exec_lo, s4
	s_cbranch_vccnz .LBB7_2141
; %bb.1609:
	s_andn2_b32 vcc_lo, exec_lo, s5
	s_cbranch_vccnz .LBB7_1611
.LBB7_1610:
	global_load_ubyte v3, v[15:16], off
	v_mov_b32_e32 v9, 0
	s_mov_b32 s6, -1
	s_waitcnt vmcnt(0)
	v_cmp_ne_u16_e32 vcc_lo, 0, v3
	v_cndmask_b32_e64 v10, 0, 0x3ff00000, vcc_lo
.LBB7_1611:
	s_mov_b32 s3, 0
.LBB7_1612:
	s_and_b32 vcc_lo, exec_lo, s3
	s_cbranch_vccz .LBB7_1661
; %bb.1613:
	s_and_b32 s0, 0xffff, s0
	s_cmp_lt_i32 s0, 5
	s_cbranch_scc1 .LBB7_1618
; %bb.1614:
	s_cmp_lt_i32 s0, 8
	s_cbranch_scc1 .LBB7_1619
; %bb.1615:
	;; [unrolled: 3-line block ×3, first 2 shown]
	s_cmp_gt_i32 s0, 9
	s_cbranch_scc0 .LBB7_1621
; %bb.1617:
	global_load_dwordx2 v[9:10], v[15:16], off
	s_mov_b32 s3, 0
	s_branch .LBB7_1622
.LBB7_1618:
	s_mov_b32 s3, -1
                                        ; implicit-def: $vgpr9_vgpr10
	s_branch .LBB7_1640
.LBB7_1619:
	s_mov_b32 s3, -1
                                        ; implicit-def: $vgpr9_vgpr10
	s_branch .LBB7_1628
.LBB7_1620:
	s_mov_b32 s3, -1
                                        ; implicit-def: $vgpr9_vgpr10
	s_branch .LBB7_1625
.LBB7_1621:
	s_mov_b32 s3, -1
                                        ; implicit-def: $vgpr9_vgpr10
.LBB7_1622:
	s_andn2_b32 vcc_lo, exec_lo, s3
	s_cbranch_vccnz .LBB7_1624
; %bb.1623:
	global_load_dword v3, v[15:16], off
	s_waitcnt vmcnt(0)
	v_cvt_f64_f32_e32 v[9:10], v3
.LBB7_1624:
	s_mov_b32 s3, 0
.LBB7_1625:
	s_andn2_b32 vcc_lo, exec_lo, s3
	s_cbranch_vccnz .LBB7_1627
; %bb.1626:
	global_load_dword v3, v[15:16], off
	s_waitcnt vmcnt(0)
	v_cvt_f32_f16_e32 v3, v3
	v_cvt_f64_f32_e32 v[9:10], v3
.LBB7_1627:
	s_mov_b32 s3, 0
.LBB7_1628:
	s_andn2_b32 vcc_lo, exec_lo, s3
	s_cbranch_vccnz .LBB7_1639
; %bb.1629:
	s_cmp_lt_i32 s0, 6
	s_cbranch_scc1 .LBB7_1632
; %bb.1630:
	s_cmp_gt_i32 s0, 6
	s_cbranch_scc0 .LBB7_1633
; %bb.1631:
	global_load_dwordx2 v[9:10], v[15:16], off
	s_mov_b32 s3, 0
	s_branch .LBB7_1634
.LBB7_1632:
	s_mov_b32 s3, -1
                                        ; implicit-def: $vgpr9_vgpr10
	s_branch .LBB7_1637
.LBB7_1633:
	s_mov_b32 s3, -1
                                        ; implicit-def: $vgpr9_vgpr10
.LBB7_1634:
	s_andn2_b32 vcc_lo, exec_lo, s3
	s_cbranch_vccnz .LBB7_1636
; %bb.1635:
	global_load_dword v3, v[15:16], off
	s_waitcnt vmcnt(0)
	v_cvt_f64_f32_e32 v[9:10], v3
.LBB7_1636:
	s_mov_b32 s3, 0
.LBB7_1637:
	s_andn2_b32 vcc_lo, exec_lo, s3
	s_cbranch_vccnz .LBB7_1639
; %bb.1638:
	global_load_ushort v3, v[15:16], off
	s_waitcnt vmcnt(0)
	v_cvt_f32_f16_e32 v3, v3
	v_cvt_f64_f32_e32 v[9:10], v3
.LBB7_1639:
	s_mov_b32 s3, 0
.LBB7_1640:
	s_andn2_b32 vcc_lo, exec_lo, s3
	s_cbranch_vccnz .LBB7_1660
; %bb.1641:
	s_cmp_lt_i32 s0, 2
	s_cbranch_scc1 .LBB7_1645
; %bb.1642:
	s_cmp_lt_i32 s0, 3
	s_cbranch_scc1 .LBB7_1646
; %bb.1643:
	s_cmp_gt_i32 s0, 3
	s_cbranch_scc0 .LBB7_1647
; %bb.1644:
	global_load_dwordx2 v[9:10], v[15:16], off
	s_mov_b32 s3, 0
	s_waitcnt vmcnt(0)
	v_cvt_f64_i32_e32 v[17:18], v10
	v_cvt_f64_u32_e32 v[9:10], v9
	v_ldexp_f64 v[17:18], v[17:18], 32
	v_add_f64 v[9:10], v[17:18], v[9:10]
	s_branch .LBB7_1648
.LBB7_1645:
	s_mov_b32 s3, -1
                                        ; implicit-def: $vgpr9_vgpr10
	s_branch .LBB7_1654
.LBB7_1646:
	s_mov_b32 s3, -1
                                        ; implicit-def: $vgpr9_vgpr10
	s_branch .LBB7_1651
.LBB7_1647:
	s_mov_b32 s3, -1
                                        ; implicit-def: $vgpr9_vgpr10
.LBB7_1648:
	s_andn2_b32 vcc_lo, exec_lo, s3
	s_cbranch_vccnz .LBB7_1650
; %bb.1649:
	global_load_dword v3, v[15:16], off
	s_waitcnt vmcnt(0)
	v_cvt_f64_i32_e32 v[9:10], v3
.LBB7_1650:
	s_mov_b32 s3, 0
.LBB7_1651:
	s_andn2_b32 vcc_lo, exec_lo, s3
	s_cbranch_vccnz .LBB7_1653
; %bb.1652:
	global_load_sshort v3, v[15:16], off
	s_waitcnt vmcnt(0)
	v_cvt_f64_i32_e32 v[9:10], v3
.LBB7_1653:
	s_mov_b32 s3, 0
.LBB7_1654:
	s_andn2_b32 vcc_lo, exec_lo, s3
	s_cbranch_vccnz .LBB7_1660
; %bb.1655:
	s_cmp_gt_i32 s0, 0
	s_mov_b32 s0, 0
	s_cbranch_scc0 .LBB7_1657
; %bb.1656:
	global_load_sbyte v3, v[15:16], off
	s_waitcnt vmcnt(0)
	v_cvt_f64_i32_e32 v[9:10], v3
	s_branch .LBB7_1658
.LBB7_1657:
	s_mov_b32 s0, -1
                                        ; implicit-def: $vgpr9_vgpr10
.LBB7_1658:
	s_andn2_b32 vcc_lo, exec_lo, s0
	s_cbranch_vccnz .LBB7_1660
; %bb.1659:
	global_load_ubyte v3, v[15:16], off
	s_waitcnt vmcnt(0)
	v_cvt_f64_u32_e32 v[9:10], v3
.LBB7_1660:
	s_mov_b32 s6, -1
.LBB7_1661:
	s_andn2_b32 vcc_lo, exec_lo, s6
	s_cbranch_vccnz .LBB7_2095
; %bb.1662:
	s_waitcnt vmcnt(0)
	v_and_b32_e32 v16, 0x7fffffff, v1
	v_mov_b32_e32 v15, v0
	s_mov_b32 s4, 0xbd3237f4
	s_mov_b32 s6, 0xb5e68a13
	;; [unrolled: 1-line block ×4, first 2 shown]
	v_div_scale_f64 v[17:18], null, v[15:16], v[15:16], 1.0
	v_div_scale_f64 v[23:24], vcc_lo, 1.0, v[15:16], 1.0
	s_bfe_u32 s3, s2, 0x80008
	s_cmp_lt_i32 s3, 11
	v_rcp_f64_e32 v[19:20], v[17:18]
	v_fma_f64 v[21:22], -v[17:18], v[19:20], 1.0
	v_fma_f64 v[19:20], v[19:20], v[21:22], v[19:20]
	v_fma_f64 v[21:22], -v[17:18], v[19:20], 1.0
	v_fma_f64 v[19:20], v[19:20], v[21:22], v[19:20]
	v_mul_f64 v[21:22], v[23:24], v[19:20]
	v_fma_f64 v[17:18], -v[17:18], v[21:22], v[23:24]
	v_div_fmas_f64 v[17:18], v[17:18], v[19:20], v[21:22]
	v_cmp_gt_f64_e64 vcc_lo, |v[0:1]|, 1.0
	v_div_fixup_f64 v[17:18], v[17:18], |v[0:1]|, 1.0
	v_cndmask_b32_e32 v16, v16, v18, vcc_lo
	v_cndmask_b32_e32 v15, v0, v17, vcc_lo
	v_mul_f64 v[17:18], v[15:16], v[15:16]
	v_fma_f64 v[19:20], v[17:18], s[6:7], s[4:5]
	s_mov_b32 s4, 0x69efb384
	s_mov_b32 s5, 0x3f4b2bb0
	s_mov_b32 s6, 0x336a0500
	s_mov_b32 s7, 0x3fedd9ad
	v_fma_f64 v[19:20], v[17:18], v[19:20], s[4:5]
	s_mov_b32 s4, 0xaf56de9b
	s_mov_b32 s5, 0xbf67952d
	v_fma_f64 v[19:20], v[17:18], v[19:20], s[4:5]
	s_mov_b32 s4, 0xa595c56f
	s_mov_b32 s5, 0x3f7d6d43
	;; [unrolled: 3-line block ×18, first 2 shown]
	v_mul_f64 v[17:18], v[17:18], v[19:20]
	v_fma_f64 v[15:16], v[15:16], v[17:18], v[15:16]
	v_fma_f64 v[17:18], s[6:7], s[4:5], -v[15:16]
	v_cndmask_b32_e32 v3, v16, v18, vcc_lo
	v_cndmask_b32_e32 v0, v15, v17, vcc_lo
	v_add_co_u32 v15, s0, s8, v2
	v_add_co_ci_u32_e64 v16, null, s9, 0, s0
	v_bfi_b32 v1, 0x7fffffff, v3, v1
	s_cbranch_scc1 .LBB7_1740
; %bb.1663:
	s_and_b32 s4, 0xffff, s3
	s_mov_b32 s7, -1
	s_mov_b32 s5, 0
	s_cmp_gt_i32 s4, 25
	s_mov_b32 s6, 0
	s_mov_b32 s0, 0
	s_cbranch_scc0 .LBB7_1696
; %bb.1664:
	s_cmp_gt_i32 s4, 28
	s_cbranch_scc0 .LBB7_1679
; %bb.1665:
	s_cmp_gt_i32 s4, 43
	;; [unrolled: 3-line block ×3, first 2 shown]
	s_cbranch_scc0 .LBB7_1669
; %bb.1667:
	s_mov_b32 s0, -1
	s_mov_b32 s7, 0
	s_cmp_eq_u32 s4, 46
	s_cbranch_scc0 .LBB7_1669
; %bb.1668:
	v_cvt_f32_f64_e32 v2, v[0:1]
	s_mov_b32 s0, 0
	s_mov_b32 s6, -1
	v_bfe_u32 v3, v2, 16, 1
	v_cmp_o_f32_e32 vcc_lo, v2, v2
	v_add3_u32 v2, v2, v3, 0x7fff
	v_mov_b32_e32 v3, 0x7fc0
	v_cndmask_b32_sdwa v2, v3, v2, vcc_lo dst_sel:DWORD dst_unused:UNUSED_PAD src0_sel:DWORD src1_sel:WORD_1
	global_store_dword v[15:16], v2, off
.LBB7_1669:
	s_and_b32 vcc_lo, exec_lo, s7
	s_cbranch_vccz .LBB7_1674
; %bb.1670:
	s_cmp_eq_u32 s4, 44
	s_mov_b32 s0, -1
	s_cbranch_scc0 .LBB7_1674
; %bb.1671:
	v_cvt_f32_f64_e32 v2, v[0:1]
	v_mov_b32_e32 v3, 0xff
	s_mov_b32 s6, exec_lo
	v_bfe_u32 v5, v2, 23, 8
	v_cmpx_ne_u32_e32 0xff, v5
	s_cbranch_execz .LBB7_1673
; %bb.1672:
	v_and_b32_e32 v3, 0x400000, v2
	v_and_or_b32 v5, 0x3fffff, v2, v5
	v_lshrrev_b32_e32 v2, 23, v2
	v_cmp_ne_u32_e32 vcc_lo, 0, v3
	v_cmp_ne_u32_e64 s0, 0, v5
	s_and_b32 s0, vcc_lo, s0
	v_cndmask_b32_e64 v3, 0, 1, s0
	v_add_nc_u32_e32 v3, v2, v3
.LBB7_1673:
	s_or_b32 exec_lo, exec_lo, s6
	s_mov_b32 s0, 0
	s_mov_b32 s6, -1
	global_store_byte v[15:16], v3, off
.LBB7_1674:
	s_mov_b32 s7, 0
.LBB7_1675:
	s_and_b32 vcc_lo, exec_lo, s7
	s_cbranch_vccz .LBB7_1678
; %bb.1676:
	s_cmp_eq_u32 s4, 29
	s_mov_b32 s0, -1
	s_cbranch_scc0 .LBB7_1678
; %bb.1677:
	v_trunc_f64_e32 v[2:3], v[0:1]
	s_mov_b32 s0, 0
	s_mov_b32 s6, -1
	v_ldexp_f64 v[17:18], v[2:3], 0xffffffe0
	v_floor_f64_e32 v[17:18], v[17:18]
	v_fma_f64 v[2:3], 0xc1f00000, v[17:18], v[2:3]
	v_cvt_u32_f64_e32 v18, v[17:18]
	v_cvt_u32_f64_e32 v17, v[2:3]
	global_store_dwordx2 v[15:16], v[17:18], off
.LBB7_1678:
	s_mov_b32 s7, 0
.LBB7_1679:
	s_and_b32 vcc_lo, exec_lo, s7
	s_cbranch_vccz .LBB7_1695
; %bb.1680:
	s_cmp_lt_i32 s4, 27
	s_mov_b32 s6, -1
	s_cbranch_scc1 .LBB7_1686
; %bb.1681:
	v_cvt_u32_f64_e32 v2, v[0:1]
	s_cmp_gt_i32 s4, 27
	s_cbranch_scc0 .LBB7_1683
; %bb.1682:
	s_mov_b32 s6, 0
	global_store_dword v[15:16], v2, off
.LBB7_1683:
	s_andn2_b32 vcc_lo, exec_lo, s6
	s_cbranch_vccnz .LBB7_1685
; %bb.1684:
	global_store_short v[15:16], v2, off
.LBB7_1685:
	s_mov_b32 s6, 0
.LBB7_1686:
	s_andn2_b32 vcc_lo, exec_lo, s6
	s_cbranch_vccnz .LBB7_1694
; %bb.1687:
	v_cvt_f32_f64_e32 v2, v[0:1]
	v_mov_b32_e32 v5, 0x80
	s_mov_b32 s6, exec_lo
	v_and_b32_e32 v3, 0x7fffffff, v2
	v_cmpx_gt_u32_e32 0x43800000, v3
	s_cbranch_execz .LBB7_1693
; %bb.1688:
	v_cmp_lt_u32_e32 vcc_lo, 0x3bffffff, v3
	s_mov_b32 s7, 0
                                        ; implicit-def: $vgpr3
	s_and_saveexec_b32 s10, vcc_lo
	s_xor_b32 s10, exec_lo, s10
	s_cbranch_execz .LBB7_2142
; %bb.1689:
	v_bfe_u32 v3, v2, 20, 1
	s_mov_b32 s7, exec_lo
	v_add3_u32 v3, v2, v3, 0x487ffff
	v_lshrrev_b32_e32 v3, 20, v3
	s_andn2_saveexec_b32 s10, s10
	s_cbranch_execnz .LBB7_2143
.LBB7_1690:
	s_or_b32 exec_lo, exec_lo, s10
	v_mov_b32_e32 v5, 0
	s_and_saveexec_b32 s10, s7
.LBB7_1691:
	v_lshrrev_b32_e32 v2, 24, v2
	v_and_or_b32 v5, 0x80, v2, v3
.LBB7_1692:
	s_or_b32 exec_lo, exec_lo, s10
.LBB7_1693:
	s_or_b32 exec_lo, exec_lo, s6
	global_store_byte v[15:16], v5, off
.LBB7_1694:
	s_mov_b32 s6, -1
.LBB7_1695:
	s_mov_b32 s7, 0
.LBB7_1696:
	s_and_b32 vcc_lo, exec_lo, s7
	s_cbranch_vccz .LBB7_1736
; %bb.1697:
	s_cmp_gt_i32 s4, 22
	s_mov_b32 s5, -1
	s_cbranch_scc0 .LBB7_1729
; %bb.1698:
	s_cmp_lt_i32 s4, 24
	s_cbranch_scc1 .LBB7_1718
; %bb.1699:
	s_cmp_gt_i32 s4, 24
	s_cbranch_scc0 .LBB7_1707
; %bb.1700:
	v_cvt_f32_f64_e32 v2, v[0:1]
	v_mov_b32_e32 v5, 0x80
	s_mov_b32 s5, exec_lo
	v_and_b32_e32 v3, 0x7fffffff, v2
	v_cmpx_gt_u32_e32 0x47800000, v3
	s_cbranch_execz .LBB7_1706
; %bb.1701:
	v_cmp_lt_u32_e32 vcc_lo, 0x37ffffff, v3
	s_mov_b32 s6, 0
                                        ; implicit-def: $vgpr3
	s_and_saveexec_b32 s7, vcc_lo
	s_xor_b32 s7, exec_lo, s7
	s_cbranch_execz .LBB7_2145
; %bb.1702:
	v_bfe_u32 v3, v2, 21, 1
	s_mov_b32 s6, exec_lo
	v_add3_u32 v3, v2, v3, 0x88fffff
	v_lshrrev_b32_e32 v3, 21, v3
	s_andn2_saveexec_b32 s7, s7
	s_cbranch_execnz .LBB7_2146
.LBB7_1703:
	s_or_b32 exec_lo, exec_lo, s7
	v_mov_b32_e32 v5, 0
	s_and_saveexec_b32 s7, s6
.LBB7_1704:
	v_lshrrev_b32_e32 v2, 24, v2
	v_and_or_b32 v5, 0x80, v2, v3
.LBB7_1705:
	s_or_b32 exec_lo, exec_lo, s7
.LBB7_1706:
	s_or_b32 exec_lo, exec_lo, s5
	s_mov_b32 s5, 0
	global_store_byte v[15:16], v5, off
.LBB7_1707:
	s_and_b32 vcc_lo, exec_lo, s5
	s_cbranch_vccz .LBB7_1717
; %bb.1708:
	v_cvt_f32_f64_e32 v2, v[0:1]
	s_mov_b32 s5, exec_lo
                                        ; implicit-def: $vgpr3
	v_and_b32_e32 v5, 0x7fffffff, v2
	v_cmpx_gt_u32_e32 0x43f00000, v5
	s_xor_b32 s5, exec_lo, s5
	s_cbranch_execz .LBB7_1714
; %bb.1709:
	s_mov_b32 s6, exec_lo
                                        ; implicit-def: $vgpr3
	v_cmpx_lt_u32_e32 0x3c7fffff, v5
	s_xor_b32 s6, exec_lo, s6
; %bb.1710:
	v_bfe_u32 v3, v2, 20, 1
	v_add3_u32 v3, v2, v3, 0x407ffff
	v_and_b32_e32 v5, 0xff00000, v3
	v_lshrrev_b32_e32 v3, 20, v3
	v_cmp_ne_u32_e32 vcc_lo, 0x7f00000, v5
	v_cndmask_b32_e32 v3, 0x7e, v3, vcc_lo
; %bb.1711:
	s_andn2_saveexec_b32 s6, s6
; %bb.1712:
	v_add_f32_e64 v3, 0x46800000, |v2|
; %bb.1713:
	s_or_b32 exec_lo, exec_lo, s6
                                        ; implicit-def: $vgpr5
.LBB7_1714:
	s_andn2_saveexec_b32 s5, s5
; %bb.1715:
	v_mov_b32_e32 v3, 0x7f
	v_cmp_lt_u32_e32 vcc_lo, 0x7f800000, v5
	v_cndmask_b32_e32 v3, 0x7e, v3, vcc_lo
; %bb.1716:
	s_or_b32 exec_lo, exec_lo, s5
	v_lshrrev_b32_e32 v2, 24, v2
	v_and_or_b32 v2, 0x80, v2, v3
	global_store_byte v[15:16], v2, off
.LBB7_1717:
	s_mov_b32 s5, 0
.LBB7_1718:
	s_andn2_b32 vcc_lo, exec_lo, s5
	s_cbranch_vccnz .LBB7_1728
; %bb.1719:
	v_cvt_f32_f64_e32 v2, v[0:1]
	s_mov_b32 s5, exec_lo
                                        ; implicit-def: $vgpr3
	v_and_b32_e32 v5, 0x7fffffff, v2
	v_cmpx_gt_u32_e32 0x47800000, v5
	s_xor_b32 s5, exec_lo, s5
	s_cbranch_execz .LBB7_1725
; %bb.1720:
	s_mov_b32 s6, exec_lo
                                        ; implicit-def: $vgpr3
	v_cmpx_lt_u32_e32 0x387fffff, v5
	s_xor_b32 s6, exec_lo, s6
; %bb.1721:
	v_bfe_u32 v3, v2, 21, 1
	v_add3_u32 v3, v2, v3, 0x80fffff
	v_lshrrev_b32_e32 v3, 21, v3
; %bb.1722:
	s_andn2_saveexec_b32 s6, s6
; %bb.1723:
	v_add_f32_e64 v3, 0x43000000, |v2|
; %bb.1724:
	s_or_b32 exec_lo, exec_lo, s6
                                        ; implicit-def: $vgpr5
.LBB7_1725:
	s_andn2_saveexec_b32 s5, s5
; %bb.1726:
	v_mov_b32_e32 v3, 0x7f
	v_cmp_lt_u32_e32 vcc_lo, 0x7f800000, v5
	v_cndmask_b32_e32 v3, 0x7c, v3, vcc_lo
; %bb.1727:
	s_or_b32 exec_lo, exec_lo, s5
	v_lshrrev_b32_e32 v2, 24, v2
	v_and_or_b32 v2, 0x80, v2, v3
	global_store_byte v[15:16], v2, off
.LBB7_1728:
	s_mov_b32 s5, 0
	s_mov_b32 s6, -1
.LBB7_1729:
	s_andn2_b32 vcc_lo, exec_lo, s5
	s_mov_b32 s5, 0
	s_cbranch_vccnz .LBB7_1736
; %bb.1730:
	s_cmp_gt_i32 s4, 14
	s_mov_b32 s5, -1
	s_cbranch_scc0 .LBB7_1734
; %bb.1731:
	s_cmp_eq_u32 s4, 15
	s_mov_b32 s0, -1
	s_cbranch_scc0 .LBB7_1733
; %bb.1732:
	v_cvt_f32_f64_e32 v2, v[0:1]
	s_mov_b32 s0, 0
	s_mov_b32 s6, -1
	v_bfe_u32 v3, v2, 16, 1
	v_cmp_o_f32_e32 vcc_lo, v2, v2
	v_add3_u32 v2, v2, v3, 0x7fff
	v_mov_b32_e32 v3, 0x7fc0
	v_cndmask_b32_sdwa v2, v3, v2, vcc_lo dst_sel:DWORD dst_unused:UNUSED_PAD src0_sel:DWORD src1_sel:WORD_1
	global_store_short v[15:16], v2, off
.LBB7_1733:
	s_mov_b32 s5, 0
.LBB7_1734:
	s_and_b32 vcc_lo, exec_lo, s5
	s_mov_b32 s5, 0
	s_cbranch_vccz .LBB7_1736
; %bb.1735:
	s_cmp_lg_u32 s4, 11
	s_mov_b32 s5, -1
	s_cselect_b32 s0, -1, 0
.LBB7_1736:
	s_and_b32 vcc_lo, exec_lo, s0
	s_cbranch_vccnz .LBB7_2144
; %bb.1737:
	s_andn2_b32 vcc_lo, exec_lo, s5
	s_cbranch_vccnz .LBB7_1739
.LBB7_1738:
	v_cmp_neq_f64_e32 vcc_lo, 0, v[0:1]
	s_mov_b32 s6, -1
	v_cndmask_b32_e64 v2, 0, 1, vcc_lo
	global_store_byte v[15:16], v2, off
.LBB7_1739:
	s_mov_b32 s0, 0
	s_branch .LBB7_1741
.LBB7_1740:
	s_mov_b32 s0, -1
	s_mov_b32 s6, 0
.LBB7_1741:
	s_and_b32 vcc_lo, exec_lo, s0
	s_cbranch_vccz .LBB7_1780
; %bb.1742:
	s_and_b32 s0, 0xffff, s3
	s_mov_b32 s3, -1
	s_cmp_lt_i32 s0, 5
	s_cbranch_scc1 .LBB7_1763
; %bb.1743:
	s_cmp_lt_i32 s0, 8
	s_cbranch_scc1 .LBB7_1753
; %bb.1744:
	;; [unrolled: 3-line block ×3, first 2 shown]
	s_cmp_gt_i32 s0, 9
	s_cbranch_scc0 .LBB7_1747
; %bb.1746:
	v_mov_b32_e32 v2, 0
	s_mov_b32 s3, 0
	v_mov_b32_e32 v3, v2
	global_store_dwordx4 v[15:16], v[0:3], off
.LBB7_1747:
	s_andn2_b32 vcc_lo, exec_lo, s3
	s_cbranch_vccnz .LBB7_1749
; %bb.1748:
	v_cvt_f32_f64_e32 v2, v[0:1]
	v_mov_b32_e32 v3, 0
	global_store_dwordx2 v[15:16], v[2:3], off
.LBB7_1749:
	s_mov_b32 s3, 0
.LBB7_1750:
	s_andn2_b32 vcc_lo, exec_lo, s3
	s_cbranch_vccnz .LBB7_1752
; %bb.1751:
	v_and_or_b32 v2, 0x1ff, v1, v0
	v_lshrrev_b32_e32 v3, 8, v1
	v_bfe_u32 v5, v1, 20, 11
	v_cmp_ne_u32_e32 vcc_lo, 0, v2
	v_sub_nc_u32_e32 v7, 0x3f1, v5
	v_add_nc_u32_e32 v5, 0xfffffc10, v5
	v_cndmask_b32_e64 v2, 0, 1, vcc_lo
	v_and_or_b32 v2, 0xffe, v3, v2
	v_med3_i32 v3, v7, 0, 13
	v_or_b32_e32 v7, 0x1000, v2
	v_lshrrev_b32_e32 v17, v3, v7
	v_lshlrev_b32_e32 v3, v3, v17
	v_cmp_ne_u32_e32 vcc_lo, v3, v7
	v_lshl_or_b32 v7, v5, 12, v2
	v_cndmask_b32_e64 v3, 0, 1, vcc_lo
	v_cmp_gt_i32_e32 vcc_lo, 1, v5
	v_or_b32_e32 v3, v17, v3
	v_cndmask_b32_e32 v3, v7, v3, vcc_lo
	v_and_b32_e32 v7, 7, v3
	v_lshrrev_b32_e32 v3, 2, v3
	v_cmp_lt_i32_e32 vcc_lo, 5, v7
	v_cndmask_b32_e64 v17, 0, 1, vcc_lo
	v_cmp_eq_u32_e32 vcc_lo, 3, v7
	v_cndmask_b32_e64 v7, 0, 1, vcc_lo
	v_cmp_ne_u32_e32 vcc_lo, 0, v2
	v_or_b32_e32 v7, v7, v17
	v_mov_b32_e32 v17, 0x7e00
	v_add_nc_u32_e32 v3, v3, v7
	v_cndmask_b32_e32 v2, 0x7c00, v17, vcc_lo
	v_cmp_gt_i32_e32 vcc_lo, 31, v5
	v_cndmask_b32_e32 v3, 0x7c00, v3, vcc_lo
	v_cmp_eq_u32_e32 vcc_lo, 0x40f, v5
	v_cndmask_b32_e32 v2, v3, v2, vcc_lo
	v_lshrrev_b32_e32 v3, 16, v1
	v_and_or_b32 v2, 0x8000, v3, v2
	v_and_b32_e32 v2, 0xffff, v2
	global_store_dword v[15:16], v2, off
.LBB7_1752:
	s_mov_b32 s3, 0
.LBB7_1753:
	s_andn2_b32 vcc_lo, exec_lo, s3
	s_cbranch_vccnz .LBB7_1762
; %bb.1754:
	s_cmp_lt_i32 s0, 6
	s_mov_b32 s3, -1
	s_cbranch_scc1 .LBB7_1760
; %bb.1755:
	s_cmp_gt_i32 s0, 6
	s_cbranch_scc0 .LBB7_1757
; %bb.1756:
	s_mov_b32 s3, 0
	global_store_dwordx2 v[15:16], v[0:1], off
.LBB7_1757:
	s_andn2_b32 vcc_lo, exec_lo, s3
	s_cbranch_vccnz .LBB7_1759
; %bb.1758:
	v_cvt_f32_f64_e32 v2, v[0:1]
	global_store_dword v[15:16], v2, off
.LBB7_1759:
	s_mov_b32 s3, 0
.LBB7_1760:
	s_andn2_b32 vcc_lo, exec_lo, s3
	s_cbranch_vccnz .LBB7_1762
; %bb.1761:
	v_and_or_b32 v2, 0x1ff, v1, v0
	v_lshrrev_b32_e32 v3, 8, v1
	v_bfe_u32 v5, v1, 20, 11
	v_cmp_ne_u32_e32 vcc_lo, 0, v2
	v_sub_nc_u32_e32 v7, 0x3f1, v5
	v_add_nc_u32_e32 v5, 0xfffffc10, v5
	v_cndmask_b32_e64 v2, 0, 1, vcc_lo
	v_and_or_b32 v2, 0xffe, v3, v2
	v_med3_i32 v3, v7, 0, 13
	v_or_b32_e32 v7, 0x1000, v2
	v_lshrrev_b32_e32 v17, v3, v7
	v_lshlrev_b32_e32 v3, v3, v17
	v_cmp_ne_u32_e32 vcc_lo, v3, v7
	v_lshl_or_b32 v7, v5, 12, v2
	v_cndmask_b32_e64 v3, 0, 1, vcc_lo
	v_cmp_gt_i32_e32 vcc_lo, 1, v5
	v_or_b32_e32 v3, v17, v3
	v_cndmask_b32_e32 v3, v7, v3, vcc_lo
	v_and_b32_e32 v7, 7, v3
	v_lshrrev_b32_e32 v3, 2, v3
	v_cmp_lt_i32_e32 vcc_lo, 5, v7
	v_cndmask_b32_e64 v17, 0, 1, vcc_lo
	v_cmp_eq_u32_e32 vcc_lo, 3, v7
	v_cndmask_b32_e64 v7, 0, 1, vcc_lo
	v_cmp_ne_u32_e32 vcc_lo, 0, v2
	v_or_b32_e32 v7, v7, v17
	v_mov_b32_e32 v17, 0x7e00
	v_add_nc_u32_e32 v3, v3, v7
	v_cndmask_b32_e32 v2, 0x7c00, v17, vcc_lo
	v_cmp_gt_i32_e32 vcc_lo, 31, v5
	v_cndmask_b32_e32 v3, 0x7c00, v3, vcc_lo
	v_cmp_eq_u32_e32 vcc_lo, 0x40f, v5
	v_cndmask_b32_e32 v2, v3, v2, vcc_lo
	v_lshrrev_b32_e32 v3, 16, v1
	v_and_or_b32 v2, 0x8000, v3, v2
	global_store_short v[15:16], v2, off
.LBB7_1762:
	s_mov_b32 s3, 0
.LBB7_1763:
	s_andn2_b32 vcc_lo, exec_lo, s3
	s_cbranch_vccnz .LBB7_1779
; %bb.1764:
	s_cmp_lt_i32 s0, 2
	s_mov_b32 s3, -1
	s_cbranch_scc1 .LBB7_1774
; %bb.1765:
	s_cmp_lt_i32 s0, 3
	s_cbranch_scc1 .LBB7_1771
; %bb.1766:
	s_cmp_gt_i32 s0, 3
	s_cbranch_scc0 .LBB7_1768
; %bb.1767:
	v_trunc_f64_e32 v[2:3], v[0:1]
	s_mov_b32 s3, 0
	v_ldexp_f64 v[17:18], v[2:3], 0xffffffe0
	v_floor_f64_e32 v[17:18], v[17:18]
	v_fma_f64 v[2:3], 0xc1f00000, v[17:18], v[2:3]
	v_cvt_i32_f64_e32 v18, v[17:18]
	v_cvt_u32_f64_e32 v17, v[2:3]
	global_store_dwordx2 v[15:16], v[17:18], off
.LBB7_1768:
	s_andn2_b32 vcc_lo, exec_lo, s3
	s_cbranch_vccnz .LBB7_1770
; %bb.1769:
	v_cvt_i32_f64_e32 v2, v[0:1]
	global_store_dword v[15:16], v2, off
.LBB7_1770:
	s_mov_b32 s3, 0
.LBB7_1771:
	s_andn2_b32 vcc_lo, exec_lo, s3
	s_cbranch_vccnz .LBB7_1773
; %bb.1772:
	v_cvt_i32_f64_e32 v2, v[0:1]
	global_store_short v[15:16], v2, off
.LBB7_1773:
	s_mov_b32 s3, 0
.LBB7_1774:
	s_andn2_b32 vcc_lo, exec_lo, s3
	s_cbranch_vccnz .LBB7_1779
; %bb.1775:
	s_cmp_gt_i32 s0, 0
	s_mov_b32 s0, -1
	s_cbranch_scc0 .LBB7_1777
; %bb.1776:
	v_cvt_i32_f64_e32 v2, v[0:1]
	s_mov_b32 s0, 0
	global_store_byte v[15:16], v2, off
.LBB7_1777:
	s_andn2_b32 vcc_lo, exec_lo, s0
	s_cbranch_vccnz .LBB7_1779
; %bb.1778:
	v_trunc_f64_e32 v[0:1], v[0:1]
	v_ldexp_f64 v[2:3], v[0:1], 0xffffffe0
	v_floor_f64_e32 v[2:3], v[2:3]
	v_fma_f64 v[0:1], 0xc1f00000, v[2:3], v[0:1]
	v_cvt_u32_f64_e32 v0, v[0:1]
	global_store_byte v[15:16], v0, off
.LBB7_1779:
	s_mov_b32 s6, -1
.LBB7_1780:
	s_andn2_b32 vcc_lo, exec_lo, s6
	s_cbranch_vccnz .LBB7_2095
; %bb.1781:
	v_and_b32_e32 v1, 0x7fffffff, v14
	v_mov_b32_e32 v0, v13
	s_mov_b32 s4, 0xbd3237f4
	s_mov_b32 s6, 0xb5e68a13
	;; [unrolled: 1-line block ×4, first 2 shown]
	v_div_scale_f64 v[2:3], null, v[0:1], v[0:1], 1.0
	v_div_scale_f64 v[19:20], vcc_lo, 1.0, v[0:1], 1.0
	s_lshr_b32 s0, s2, 8
	v_rcp_f64_e32 v[15:16], v[2:3]
	v_fma_f64 v[17:18], -v[2:3], v[15:16], 1.0
	v_fma_f64 v[15:16], v[15:16], v[17:18], v[15:16]
	v_fma_f64 v[17:18], -v[2:3], v[15:16], 1.0
	v_fma_f64 v[15:16], v[15:16], v[17:18], v[15:16]
	v_mul_f64 v[17:18], v[19:20], v[15:16]
	v_fma_f64 v[2:3], -v[2:3], v[17:18], v[19:20]
	v_div_fmas_f64 v[2:3], v[2:3], v[15:16], v[17:18]
	v_cmp_gt_f64_e64 vcc_lo, |v[13:14]|, 1.0
	v_div_fixup_f64 v[2:3], v[2:3], |v[13:14]|, 1.0
	v_cndmask_b32_e32 v1, v1, v3, vcc_lo
	v_cndmask_b32_e32 v0, v13, v2, vcc_lo
	v_mul_f64 v[2:3], v[0:1], v[0:1]
	v_fma_f64 v[15:16], v[2:3], s[6:7], s[4:5]
	s_mov_b32 s4, 0x69efb384
	s_mov_b32 s5, 0x3f4b2bb0
	;; [unrolled: 1-line block ×4, first 2 shown]
	v_fma_f64 v[15:16], v[2:3], v[15:16], s[4:5]
	s_mov_b32 s4, 0xaf56de9b
	s_mov_b32 s5, 0xbf67952d
	v_fma_f64 v[15:16], v[2:3], v[15:16], s[4:5]
	s_mov_b32 s4, 0xa595c56f
	s_mov_b32 s5, 0x3f7d6d43
	;; [unrolled: 3-line block ×18, first 2 shown]
	v_mul_f64 v[2:3], v[2:3], v[15:16]
	v_fma_f64 v[0:1], v[0:1], v[2:3], v[0:1]
	v_fma_f64 v[2:3], s[6:7], s[4:5], -v[0:1]
	s_and_b32 s6, s0, 0xff
	v_add_co_u32 v7, s0, s8, v8
	v_add_co_ci_u32_e64 v8, null, s9, 0, s0
	s_cmp_lt_i32 s6, 11
	v_cndmask_b32_e32 v1, v1, v3, vcc_lo
	v_cndmask_b32_e32 v0, v0, v2, vcc_lo
	v_bfi_b32 v1, 0x7fffffff, v1, v14
	s_cbranch_scc1 .LBB7_1859
; %bb.1782:
	s_and_b32 s2, 0xffff, s6
	s_mov_b32 s5, -1
	s_mov_b32 s3, 0
	s_cmp_gt_i32 s2, 25
	s_mov_b32 s4, 0
	s_mov_b32 s0, 0
	s_cbranch_scc0 .LBB7_1815
; %bb.1783:
	s_cmp_gt_i32 s2, 28
	s_cbranch_scc0 .LBB7_1798
; %bb.1784:
	s_cmp_gt_i32 s2, 43
	;; [unrolled: 3-line block ×3, first 2 shown]
	s_cbranch_scc0 .LBB7_1788
; %bb.1786:
	s_mov_b32 s0, -1
	s_mov_b32 s5, 0
	s_cmp_eq_u32 s2, 46
	s_cbranch_scc0 .LBB7_1788
; %bb.1787:
	v_cvt_f32_f64_e32 v2, v[0:1]
	s_mov_b32 s0, 0
	s_mov_b32 s4, -1
	v_bfe_u32 v3, v2, 16, 1
	v_cmp_o_f32_e32 vcc_lo, v2, v2
	v_add3_u32 v2, v2, v3, 0x7fff
	v_mov_b32_e32 v3, 0x7fc0
	v_cndmask_b32_sdwa v2, v3, v2, vcc_lo dst_sel:DWORD dst_unused:UNUSED_PAD src0_sel:DWORD src1_sel:WORD_1
	global_store_dword v[7:8], v2, off
.LBB7_1788:
	s_and_b32 vcc_lo, exec_lo, s5
	s_cbranch_vccz .LBB7_1793
; %bb.1789:
	s_cmp_eq_u32 s2, 44
	s_mov_b32 s0, -1
	s_cbranch_scc0 .LBB7_1793
; %bb.1790:
	v_cvt_f32_f64_e32 v2, v[0:1]
	v_mov_b32_e32 v3, 0xff
	s_mov_b32 s4, exec_lo
	v_bfe_u32 v5, v2, 23, 8
	v_cmpx_ne_u32_e32 0xff, v5
	s_cbranch_execz .LBB7_1792
; %bb.1791:
	v_and_b32_e32 v3, 0x400000, v2
	v_and_or_b32 v5, 0x3fffff, v2, v5
	v_lshrrev_b32_e32 v2, 23, v2
	v_cmp_ne_u32_e32 vcc_lo, 0, v3
	v_cmp_ne_u32_e64 s0, 0, v5
	s_and_b32 s0, vcc_lo, s0
	v_cndmask_b32_e64 v3, 0, 1, s0
	v_add_nc_u32_e32 v3, v2, v3
.LBB7_1792:
	s_or_b32 exec_lo, exec_lo, s4
	s_mov_b32 s0, 0
	s_mov_b32 s4, -1
	global_store_byte v[7:8], v3, off
.LBB7_1793:
	s_mov_b32 s5, 0
.LBB7_1794:
	s_and_b32 vcc_lo, exec_lo, s5
	s_cbranch_vccz .LBB7_1797
; %bb.1795:
	s_cmp_eq_u32 s2, 29
	s_mov_b32 s0, -1
	s_cbranch_scc0 .LBB7_1797
; %bb.1796:
	v_trunc_f64_e32 v[2:3], v[0:1]
	s_mov_b32 s0, 0
	s_mov_b32 s4, -1
	v_ldexp_f64 v[13:14], v[2:3], 0xffffffe0
	v_floor_f64_e32 v[13:14], v[13:14]
	v_fma_f64 v[2:3], 0xc1f00000, v[13:14], v[2:3]
	v_cvt_u32_f64_e32 v14, v[13:14]
	v_cvt_u32_f64_e32 v13, v[2:3]
	global_store_dwordx2 v[7:8], v[13:14], off
.LBB7_1797:
	s_mov_b32 s5, 0
.LBB7_1798:
	s_and_b32 vcc_lo, exec_lo, s5
	s_cbranch_vccz .LBB7_1814
; %bb.1799:
	s_cmp_lt_i32 s2, 27
	s_mov_b32 s4, -1
	s_cbranch_scc1 .LBB7_1805
; %bb.1800:
	s_cmp_gt_i32 s2, 27
	s_cbranch_scc0 .LBB7_1802
; %bb.1801:
	v_cvt_u32_f64_e32 v2, v[0:1]
	s_mov_b32 s4, 0
	global_store_dword v[7:8], v2, off
.LBB7_1802:
	s_andn2_b32 vcc_lo, exec_lo, s4
	s_cbranch_vccnz .LBB7_1804
; %bb.1803:
	v_cvt_u32_f64_e32 v2, v[0:1]
	global_store_short v[7:8], v2, off
.LBB7_1804:
	s_mov_b32 s4, 0
.LBB7_1805:
	s_andn2_b32 vcc_lo, exec_lo, s4
	s_cbranch_vccnz .LBB7_1813
; %bb.1806:
	v_cvt_f32_f64_e32 v2, v[0:1]
	v_mov_b32_e32 v5, 0x80
	s_mov_b32 s4, exec_lo
	v_and_b32_e32 v3, 0x7fffffff, v2
	v_cmpx_gt_u32_e32 0x43800000, v3
	s_cbranch_execz .LBB7_1812
; %bb.1807:
	v_cmp_lt_u32_e32 vcc_lo, 0x3bffffff, v3
	s_mov_b32 s5, 0
                                        ; implicit-def: $vgpr3
	s_and_saveexec_b32 s7, vcc_lo
	s_xor_b32 s7, exec_lo, s7
	s_cbranch_execz .LBB7_2147
; %bb.1808:
	v_bfe_u32 v3, v2, 20, 1
	s_mov_b32 s5, exec_lo
	v_add3_u32 v3, v2, v3, 0x487ffff
	v_lshrrev_b32_e32 v3, 20, v3
	s_andn2_saveexec_b32 s7, s7
	s_cbranch_execnz .LBB7_2148
.LBB7_1809:
	s_or_b32 exec_lo, exec_lo, s7
	v_mov_b32_e32 v5, 0
	s_and_saveexec_b32 s7, s5
.LBB7_1810:
	v_lshrrev_b32_e32 v2, 24, v2
	v_and_or_b32 v5, 0x80, v2, v3
.LBB7_1811:
	s_or_b32 exec_lo, exec_lo, s7
.LBB7_1812:
	s_or_b32 exec_lo, exec_lo, s4
	global_store_byte v[7:8], v5, off
.LBB7_1813:
	s_mov_b32 s4, -1
.LBB7_1814:
	s_mov_b32 s5, 0
.LBB7_1815:
	s_and_b32 vcc_lo, exec_lo, s5
	s_cbranch_vccz .LBB7_1855
; %bb.1816:
	s_cmp_gt_i32 s2, 22
	s_mov_b32 s3, -1
	s_cbranch_scc0 .LBB7_1848
; %bb.1817:
	s_cmp_lt_i32 s2, 24
	s_cbranch_scc1 .LBB7_1837
; %bb.1818:
	s_cmp_gt_i32 s2, 24
	s_cbranch_scc0 .LBB7_1826
; %bb.1819:
	v_cvt_f32_f64_e32 v2, v[0:1]
	v_mov_b32_e32 v5, 0x80
	s_mov_b32 s3, exec_lo
	v_and_b32_e32 v3, 0x7fffffff, v2
	v_cmpx_gt_u32_e32 0x47800000, v3
	s_cbranch_execz .LBB7_1825
; %bb.1820:
	v_cmp_lt_u32_e32 vcc_lo, 0x37ffffff, v3
	s_mov_b32 s4, 0
                                        ; implicit-def: $vgpr3
	s_and_saveexec_b32 s5, vcc_lo
	s_xor_b32 s5, exec_lo, s5
	s_cbranch_execz .LBB7_2150
; %bb.1821:
	v_bfe_u32 v3, v2, 21, 1
	s_mov_b32 s4, exec_lo
	v_add3_u32 v3, v2, v3, 0x88fffff
	v_lshrrev_b32_e32 v3, 21, v3
	s_andn2_saveexec_b32 s5, s5
	s_cbranch_execnz .LBB7_2151
.LBB7_1822:
	s_or_b32 exec_lo, exec_lo, s5
	v_mov_b32_e32 v5, 0
	s_and_saveexec_b32 s5, s4
.LBB7_1823:
	v_lshrrev_b32_e32 v2, 24, v2
	v_and_or_b32 v5, 0x80, v2, v3
.LBB7_1824:
	s_or_b32 exec_lo, exec_lo, s5
.LBB7_1825:
	s_or_b32 exec_lo, exec_lo, s3
	s_mov_b32 s3, 0
	global_store_byte v[7:8], v5, off
.LBB7_1826:
	s_and_b32 vcc_lo, exec_lo, s3
	s_cbranch_vccz .LBB7_1836
; %bb.1827:
	v_cvt_f32_f64_e32 v2, v[0:1]
	s_mov_b32 s3, exec_lo
                                        ; implicit-def: $vgpr3
	v_and_b32_e32 v5, 0x7fffffff, v2
	v_cmpx_gt_u32_e32 0x43f00000, v5
	s_xor_b32 s3, exec_lo, s3
	s_cbranch_execz .LBB7_1833
; %bb.1828:
	s_mov_b32 s4, exec_lo
                                        ; implicit-def: $vgpr3
	v_cmpx_lt_u32_e32 0x3c7fffff, v5
	s_xor_b32 s4, exec_lo, s4
; %bb.1829:
	v_bfe_u32 v3, v2, 20, 1
	v_add3_u32 v3, v2, v3, 0x407ffff
	v_and_b32_e32 v5, 0xff00000, v3
	v_lshrrev_b32_e32 v3, 20, v3
	v_cmp_ne_u32_e32 vcc_lo, 0x7f00000, v5
	v_cndmask_b32_e32 v3, 0x7e, v3, vcc_lo
; %bb.1830:
	s_andn2_saveexec_b32 s4, s4
; %bb.1831:
	v_add_f32_e64 v3, 0x46800000, |v2|
; %bb.1832:
	s_or_b32 exec_lo, exec_lo, s4
                                        ; implicit-def: $vgpr5
.LBB7_1833:
	s_andn2_saveexec_b32 s3, s3
; %bb.1834:
	v_mov_b32_e32 v3, 0x7f
	v_cmp_lt_u32_e32 vcc_lo, 0x7f800000, v5
	v_cndmask_b32_e32 v3, 0x7e, v3, vcc_lo
; %bb.1835:
	s_or_b32 exec_lo, exec_lo, s3
	v_lshrrev_b32_e32 v2, 24, v2
	v_and_or_b32 v2, 0x80, v2, v3
	global_store_byte v[7:8], v2, off
.LBB7_1836:
	s_mov_b32 s3, 0
.LBB7_1837:
	s_andn2_b32 vcc_lo, exec_lo, s3
	s_cbranch_vccnz .LBB7_1847
; %bb.1838:
	v_cvt_f32_f64_e32 v2, v[0:1]
	s_mov_b32 s3, exec_lo
                                        ; implicit-def: $vgpr3
	v_and_b32_e32 v5, 0x7fffffff, v2
	v_cmpx_gt_u32_e32 0x47800000, v5
	s_xor_b32 s3, exec_lo, s3
	s_cbranch_execz .LBB7_1844
; %bb.1839:
	s_mov_b32 s4, exec_lo
                                        ; implicit-def: $vgpr3
	v_cmpx_lt_u32_e32 0x387fffff, v5
	s_xor_b32 s4, exec_lo, s4
; %bb.1840:
	v_bfe_u32 v3, v2, 21, 1
	v_add3_u32 v3, v2, v3, 0x80fffff
	v_lshrrev_b32_e32 v3, 21, v3
; %bb.1841:
	s_andn2_saveexec_b32 s4, s4
; %bb.1842:
	v_add_f32_e64 v3, 0x43000000, |v2|
; %bb.1843:
	s_or_b32 exec_lo, exec_lo, s4
                                        ; implicit-def: $vgpr5
.LBB7_1844:
	s_andn2_saveexec_b32 s3, s3
; %bb.1845:
	v_mov_b32_e32 v3, 0x7f
	v_cmp_lt_u32_e32 vcc_lo, 0x7f800000, v5
	v_cndmask_b32_e32 v3, 0x7c, v3, vcc_lo
; %bb.1846:
	s_or_b32 exec_lo, exec_lo, s3
	v_lshrrev_b32_e32 v2, 24, v2
	v_and_or_b32 v2, 0x80, v2, v3
	global_store_byte v[7:8], v2, off
.LBB7_1847:
	s_mov_b32 s3, 0
	s_mov_b32 s4, -1
.LBB7_1848:
	s_andn2_b32 vcc_lo, exec_lo, s3
	s_mov_b32 s3, 0
	s_cbranch_vccnz .LBB7_1855
; %bb.1849:
	s_cmp_gt_i32 s2, 14
	s_mov_b32 s3, -1
	s_cbranch_scc0 .LBB7_1853
; %bb.1850:
	s_cmp_eq_u32 s2, 15
	s_mov_b32 s0, -1
	s_cbranch_scc0 .LBB7_1852
; %bb.1851:
	v_cvt_f32_f64_e32 v2, v[0:1]
	s_mov_b32 s0, 0
	s_mov_b32 s4, -1
	v_bfe_u32 v3, v2, 16, 1
	v_cmp_o_f32_e32 vcc_lo, v2, v2
	v_add3_u32 v2, v2, v3, 0x7fff
	v_mov_b32_e32 v3, 0x7fc0
	v_cndmask_b32_sdwa v2, v3, v2, vcc_lo dst_sel:DWORD dst_unused:UNUSED_PAD src0_sel:DWORD src1_sel:WORD_1
	global_store_short v[7:8], v2, off
.LBB7_1852:
	s_mov_b32 s3, 0
.LBB7_1853:
	s_and_b32 vcc_lo, exec_lo, s3
	s_mov_b32 s3, 0
	s_cbranch_vccz .LBB7_1855
; %bb.1854:
	s_cmp_lg_u32 s2, 11
	s_mov_b32 s3, -1
	s_cselect_b32 s0, -1, 0
.LBB7_1855:
	s_and_b32 vcc_lo, exec_lo, s0
	s_cbranch_vccnz .LBB7_2149
; %bb.1856:
	s_andn2_b32 vcc_lo, exec_lo, s3
	s_cbranch_vccnz .LBB7_1858
.LBB7_1857:
	v_cmp_neq_f64_e32 vcc_lo, 0, v[0:1]
	s_mov_b32 s4, -1
	v_cndmask_b32_e64 v2, 0, 1, vcc_lo
	global_store_byte v[7:8], v2, off
.LBB7_1858:
	s_mov_b32 s0, 0
	s_branch .LBB7_1860
.LBB7_1859:
	s_mov_b32 s0, -1
	s_mov_b32 s4, 0
.LBB7_1860:
	s_and_b32 vcc_lo, exec_lo, s0
	s_cbranch_vccz .LBB7_1899
; %bb.1861:
	s_and_b32 s0, 0xffff, s6
	s_mov_b32 s2, -1
	s_cmp_lt_i32 s0, 5
	s_cbranch_scc1 .LBB7_1882
; %bb.1862:
	s_cmp_lt_i32 s0, 8
	s_cbranch_scc1 .LBB7_1872
; %bb.1863:
	;; [unrolled: 3-line block ×3, first 2 shown]
	s_cmp_gt_i32 s0, 9
	s_cbranch_scc0 .LBB7_1866
; %bb.1865:
	v_mov_b32_e32 v2, 0
	s_mov_b32 s2, 0
	v_mov_b32_e32 v3, v2
	global_store_dwordx4 v[7:8], v[0:3], off
.LBB7_1866:
	s_andn2_b32 vcc_lo, exec_lo, s2
	s_cbranch_vccnz .LBB7_1868
; %bb.1867:
	v_cvt_f32_f64_e32 v2, v[0:1]
	v_mov_b32_e32 v3, 0
	global_store_dwordx2 v[7:8], v[2:3], off
.LBB7_1868:
	s_mov_b32 s2, 0
.LBB7_1869:
	s_andn2_b32 vcc_lo, exec_lo, s2
	s_cbranch_vccnz .LBB7_1871
; %bb.1870:
	v_and_or_b32 v2, 0x1ff, v1, v0
	v_lshrrev_b32_e32 v3, 8, v1
	v_bfe_u32 v5, v1, 20, 11
	v_cmp_ne_u32_e32 vcc_lo, 0, v2
	v_sub_nc_u32_e32 v13, 0x3f1, v5
	v_add_nc_u32_e32 v5, 0xfffffc10, v5
	v_cndmask_b32_e64 v2, 0, 1, vcc_lo
	v_and_or_b32 v2, 0xffe, v3, v2
	v_med3_i32 v3, v13, 0, 13
	v_or_b32_e32 v13, 0x1000, v2
	v_lshrrev_b32_e32 v14, v3, v13
	v_lshlrev_b32_e32 v3, v3, v14
	v_cmp_ne_u32_e32 vcc_lo, v3, v13
	v_lshl_or_b32 v13, v5, 12, v2
	v_cndmask_b32_e64 v3, 0, 1, vcc_lo
	v_cmp_gt_i32_e32 vcc_lo, 1, v5
	v_or_b32_e32 v3, v14, v3
	v_cndmask_b32_e32 v3, v13, v3, vcc_lo
	v_and_b32_e32 v13, 7, v3
	v_lshrrev_b32_e32 v3, 2, v3
	v_cmp_lt_i32_e32 vcc_lo, 5, v13
	v_cndmask_b32_e64 v14, 0, 1, vcc_lo
	v_cmp_eq_u32_e32 vcc_lo, 3, v13
	v_cndmask_b32_e64 v13, 0, 1, vcc_lo
	v_cmp_ne_u32_e32 vcc_lo, 0, v2
	v_or_b32_e32 v13, v13, v14
	v_mov_b32_e32 v14, 0x7e00
	v_add_nc_u32_e32 v3, v3, v13
	v_cndmask_b32_e32 v2, 0x7c00, v14, vcc_lo
	v_cmp_gt_i32_e32 vcc_lo, 31, v5
	v_cndmask_b32_e32 v3, 0x7c00, v3, vcc_lo
	v_cmp_eq_u32_e32 vcc_lo, 0x40f, v5
	v_cndmask_b32_e32 v2, v3, v2, vcc_lo
	v_lshrrev_b32_e32 v3, 16, v1
	v_and_or_b32 v2, 0x8000, v3, v2
	v_and_b32_e32 v2, 0xffff, v2
	global_store_dword v[7:8], v2, off
.LBB7_1871:
	s_mov_b32 s2, 0
.LBB7_1872:
	s_andn2_b32 vcc_lo, exec_lo, s2
	s_cbranch_vccnz .LBB7_1881
; %bb.1873:
	s_cmp_lt_i32 s0, 6
	s_mov_b32 s2, -1
	s_cbranch_scc1 .LBB7_1879
; %bb.1874:
	s_cmp_gt_i32 s0, 6
	s_cbranch_scc0 .LBB7_1876
; %bb.1875:
	s_mov_b32 s2, 0
	global_store_dwordx2 v[7:8], v[0:1], off
.LBB7_1876:
	s_andn2_b32 vcc_lo, exec_lo, s2
	s_cbranch_vccnz .LBB7_1878
; %bb.1877:
	v_cvt_f32_f64_e32 v2, v[0:1]
	global_store_dword v[7:8], v2, off
.LBB7_1878:
	s_mov_b32 s2, 0
.LBB7_1879:
	s_andn2_b32 vcc_lo, exec_lo, s2
	s_cbranch_vccnz .LBB7_1881
; %bb.1880:
	v_and_or_b32 v2, 0x1ff, v1, v0
	v_lshrrev_b32_e32 v3, 8, v1
	v_bfe_u32 v5, v1, 20, 11
	v_cmp_ne_u32_e32 vcc_lo, 0, v2
	v_sub_nc_u32_e32 v13, 0x3f1, v5
	v_add_nc_u32_e32 v5, 0xfffffc10, v5
	v_cndmask_b32_e64 v2, 0, 1, vcc_lo
	v_and_or_b32 v2, 0xffe, v3, v2
	v_med3_i32 v3, v13, 0, 13
	v_or_b32_e32 v13, 0x1000, v2
	v_lshrrev_b32_e32 v14, v3, v13
	v_lshlrev_b32_e32 v3, v3, v14
	v_cmp_ne_u32_e32 vcc_lo, v3, v13
	v_lshl_or_b32 v13, v5, 12, v2
	v_cndmask_b32_e64 v3, 0, 1, vcc_lo
	v_cmp_gt_i32_e32 vcc_lo, 1, v5
	v_or_b32_e32 v3, v14, v3
	v_cndmask_b32_e32 v3, v13, v3, vcc_lo
	v_and_b32_e32 v13, 7, v3
	v_lshrrev_b32_e32 v3, 2, v3
	v_cmp_lt_i32_e32 vcc_lo, 5, v13
	v_cndmask_b32_e64 v14, 0, 1, vcc_lo
	v_cmp_eq_u32_e32 vcc_lo, 3, v13
	v_cndmask_b32_e64 v13, 0, 1, vcc_lo
	v_cmp_ne_u32_e32 vcc_lo, 0, v2
	v_or_b32_e32 v13, v13, v14
	v_mov_b32_e32 v14, 0x7e00
	v_add_nc_u32_e32 v3, v3, v13
	v_cndmask_b32_e32 v2, 0x7c00, v14, vcc_lo
	v_cmp_gt_i32_e32 vcc_lo, 31, v5
	v_cndmask_b32_e32 v3, 0x7c00, v3, vcc_lo
	v_cmp_eq_u32_e32 vcc_lo, 0x40f, v5
	v_cndmask_b32_e32 v2, v3, v2, vcc_lo
	v_lshrrev_b32_e32 v3, 16, v1
	v_and_or_b32 v2, 0x8000, v3, v2
	global_store_short v[7:8], v2, off
.LBB7_1881:
	s_mov_b32 s2, 0
.LBB7_1882:
	s_andn2_b32 vcc_lo, exec_lo, s2
	s_cbranch_vccnz .LBB7_1898
; %bb.1883:
	s_cmp_lt_i32 s0, 2
	s_mov_b32 s2, -1
	s_cbranch_scc1 .LBB7_1893
; %bb.1884:
	s_cmp_lt_i32 s0, 3
	s_cbranch_scc1 .LBB7_1890
; %bb.1885:
	s_cmp_gt_i32 s0, 3
	s_cbranch_scc0 .LBB7_1887
; %bb.1886:
	v_trunc_f64_e32 v[2:3], v[0:1]
	s_mov_b32 s2, 0
	v_ldexp_f64 v[13:14], v[2:3], 0xffffffe0
	v_floor_f64_e32 v[13:14], v[13:14]
	v_fma_f64 v[2:3], 0xc1f00000, v[13:14], v[2:3]
	v_cvt_i32_f64_e32 v14, v[13:14]
	v_cvt_u32_f64_e32 v13, v[2:3]
	global_store_dwordx2 v[7:8], v[13:14], off
.LBB7_1887:
	s_andn2_b32 vcc_lo, exec_lo, s2
	s_cbranch_vccnz .LBB7_1889
; %bb.1888:
	v_cvt_i32_f64_e32 v2, v[0:1]
	global_store_dword v[7:8], v2, off
.LBB7_1889:
	s_mov_b32 s2, 0
.LBB7_1890:
	s_andn2_b32 vcc_lo, exec_lo, s2
	s_cbranch_vccnz .LBB7_1892
; %bb.1891:
	v_cvt_i32_f64_e32 v2, v[0:1]
	global_store_short v[7:8], v2, off
.LBB7_1892:
	s_mov_b32 s2, 0
.LBB7_1893:
	s_andn2_b32 vcc_lo, exec_lo, s2
	s_cbranch_vccnz .LBB7_1898
; %bb.1894:
	s_cmp_gt_i32 s0, 0
	s_mov_b32 s0, -1
	s_cbranch_scc0 .LBB7_1896
; %bb.1895:
	v_cvt_i32_f64_e32 v2, v[0:1]
	s_mov_b32 s0, 0
	global_store_byte v[7:8], v2, off
.LBB7_1896:
	s_andn2_b32 vcc_lo, exec_lo, s0
	s_cbranch_vccnz .LBB7_1898
; %bb.1897:
	v_trunc_f64_e32 v[0:1], v[0:1]
	v_ldexp_f64 v[2:3], v[0:1], 0xffffffe0
	v_floor_f64_e32 v[2:3], v[2:3]
	v_fma_f64 v[0:1], 0xc1f00000, v[2:3], v[0:1]
	v_cvt_u32_f64_e32 v0, v[0:1]
	global_store_byte v[7:8], v0, off
.LBB7_1898:
	s_mov_b32 s4, -1
.LBB7_1899:
	s_andn2_b32 vcc_lo, exec_lo, s4
	s_cbranch_vccnz .LBB7_2095
; %bb.1900:
	v_and_b32_e32 v1, 0x7fffffff, v12
	v_mov_b32_e32 v0, v11
	s_mov_b32 s2, 0xbd3237f4
	s_mov_b32 s4, 0xb5e68a13
	;; [unrolled: 1-line block ×4, first 2 shown]
	v_div_scale_f64 v[2:3], null, v[0:1], v[0:1], 1.0
	v_div_scale_f64 v[15:16], vcc_lo, 1.0, v[0:1], 1.0
	v_add_co_u32 v5, s0, s8, v6
	v_add_co_ci_u32_e64 v6, null, s9, 0, s0
	s_cmp_lt_i32 s6, 11
	v_rcp_f64_e32 v[7:8], v[2:3]
	v_fma_f64 v[13:14], -v[2:3], v[7:8], 1.0
	v_fma_f64 v[7:8], v[7:8], v[13:14], v[7:8]
	v_fma_f64 v[13:14], -v[2:3], v[7:8], 1.0
	v_fma_f64 v[7:8], v[7:8], v[13:14], v[7:8]
	v_mul_f64 v[13:14], v[15:16], v[7:8]
	v_fma_f64 v[2:3], -v[2:3], v[13:14], v[15:16]
	v_div_fmas_f64 v[2:3], v[2:3], v[7:8], v[13:14]
	v_cmp_gt_f64_e64 vcc_lo, |v[11:12]|, 1.0
	v_div_fixup_f64 v[2:3], v[2:3], |v[11:12]|, 1.0
	v_cndmask_b32_e32 v1, v1, v3, vcc_lo
	v_cndmask_b32_e32 v0, v11, v2, vcc_lo
	v_mul_f64 v[2:3], v[0:1], v[0:1]
	v_fma_f64 v[7:8], v[2:3], s[4:5], s[2:3]
	s_mov_b32 s2, 0x69efb384
	s_mov_b32 s3, 0x3f4b2bb0
	;; [unrolled: 1-line block ×4, first 2 shown]
	v_fma_f64 v[7:8], v[2:3], v[7:8], s[2:3]
	s_mov_b32 s2, 0xaf56de9b
	s_mov_b32 s3, 0xbf67952d
	v_fma_f64 v[7:8], v[2:3], v[7:8], s[2:3]
	s_mov_b32 s2, 0xa595c56f
	s_mov_b32 s3, 0x3f7d6d43
	;; [unrolled: 3-line block ×18, first 2 shown]
	v_mul_f64 v[2:3], v[2:3], v[7:8]
	v_fma_f64 v[0:1], v[0:1], v[2:3], v[0:1]
	v_fma_f64 v[2:3], s[4:5], s[2:3], -v[0:1]
	v_cndmask_b32_e32 v1, v1, v3, vcc_lo
	v_cndmask_b32_e32 v0, v0, v2, vcc_lo
	v_bfi_b32 v1, 0x7fffffff, v1, v12
	s_cbranch_scc1 .LBB7_1978
; %bb.1901:
	s_and_b32 s2, 0xffff, s6
	s_mov_b32 s5, -1
	s_mov_b32 s3, 0
	s_cmp_gt_i32 s2, 25
	s_mov_b32 s4, 0
	s_mov_b32 s0, 0
	s_cbranch_scc0 .LBB7_1934
; %bb.1902:
	s_cmp_gt_i32 s2, 28
	s_cbranch_scc0 .LBB7_1917
; %bb.1903:
	s_cmp_gt_i32 s2, 43
	;; [unrolled: 3-line block ×3, first 2 shown]
	s_cbranch_scc0 .LBB7_1907
; %bb.1905:
	s_mov_b32 s0, -1
	s_mov_b32 s5, 0
	s_cmp_eq_u32 s2, 46
	s_cbranch_scc0 .LBB7_1907
; %bb.1906:
	v_cvt_f32_f64_e32 v2, v[0:1]
	s_mov_b32 s0, 0
	s_mov_b32 s4, -1
	v_bfe_u32 v3, v2, 16, 1
	v_cmp_o_f32_e32 vcc_lo, v2, v2
	v_add3_u32 v2, v2, v3, 0x7fff
	v_mov_b32_e32 v3, 0x7fc0
	v_cndmask_b32_sdwa v2, v3, v2, vcc_lo dst_sel:DWORD dst_unused:UNUSED_PAD src0_sel:DWORD src1_sel:WORD_1
	global_store_dword v[5:6], v2, off
.LBB7_1907:
	s_and_b32 vcc_lo, exec_lo, s5
	s_cbranch_vccz .LBB7_1912
; %bb.1908:
	s_cmp_eq_u32 s2, 44
	s_mov_b32 s0, -1
	s_cbranch_scc0 .LBB7_1912
; %bb.1909:
	v_cvt_f32_f64_e32 v2, v[0:1]
	v_mov_b32_e32 v3, 0xff
	s_mov_b32 s4, exec_lo
	v_bfe_u32 v7, v2, 23, 8
	v_cmpx_ne_u32_e32 0xff, v7
	s_cbranch_execz .LBB7_1911
; %bb.1910:
	v_and_b32_e32 v3, 0x400000, v2
	v_and_or_b32 v7, 0x3fffff, v2, v7
	v_lshrrev_b32_e32 v2, 23, v2
	v_cmp_ne_u32_e32 vcc_lo, 0, v3
	v_cmp_ne_u32_e64 s0, 0, v7
	s_and_b32 s0, vcc_lo, s0
	v_cndmask_b32_e64 v3, 0, 1, s0
	v_add_nc_u32_e32 v3, v2, v3
.LBB7_1911:
	s_or_b32 exec_lo, exec_lo, s4
	s_mov_b32 s0, 0
	s_mov_b32 s4, -1
	global_store_byte v[5:6], v3, off
.LBB7_1912:
	s_mov_b32 s5, 0
.LBB7_1913:
	s_and_b32 vcc_lo, exec_lo, s5
	s_cbranch_vccz .LBB7_1916
; %bb.1914:
	s_cmp_eq_u32 s2, 29
	s_mov_b32 s0, -1
	s_cbranch_scc0 .LBB7_1916
; %bb.1915:
	v_trunc_f64_e32 v[2:3], v[0:1]
	s_mov_b32 s0, 0
	s_mov_b32 s4, -1
	v_ldexp_f64 v[7:8], v[2:3], 0xffffffe0
	v_floor_f64_e32 v[7:8], v[7:8]
	v_fma_f64 v[2:3], 0xc1f00000, v[7:8], v[2:3]
	v_cvt_u32_f64_e32 v8, v[7:8]
	v_cvt_u32_f64_e32 v7, v[2:3]
	global_store_dwordx2 v[5:6], v[7:8], off
.LBB7_1916:
	s_mov_b32 s5, 0
.LBB7_1917:
	s_and_b32 vcc_lo, exec_lo, s5
	s_cbranch_vccz .LBB7_1933
; %bb.1918:
	s_cmp_lt_i32 s2, 27
	s_mov_b32 s4, -1
	s_cbranch_scc1 .LBB7_1924
; %bb.1919:
	v_cvt_u32_f64_e32 v2, v[0:1]
	s_cmp_gt_i32 s2, 27
	s_cbranch_scc0 .LBB7_1921
; %bb.1920:
	s_mov_b32 s4, 0
	global_store_dword v[5:6], v2, off
.LBB7_1921:
	s_andn2_b32 vcc_lo, exec_lo, s4
	s_cbranch_vccnz .LBB7_1923
; %bb.1922:
	global_store_short v[5:6], v2, off
.LBB7_1923:
	s_mov_b32 s4, 0
.LBB7_1924:
	s_andn2_b32 vcc_lo, exec_lo, s4
	s_cbranch_vccnz .LBB7_1932
; %bb.1925:
	v_cvt_f32_f64_e32 v2, v[0:1]
	v_mov_b32_e32 v7, 0x80
	s_mov_b32 s4, exec_lo
	v_and_b32_e32 v3, 0x7fffffff, v2
	v_cmpx_gt_u32_e32 0x43800000, v3
	s_cbranch_execz .LBB7_1931
; %bb.1926:
	v_cmp_lt_u32_e32 vcc_lo, 0x3bffffff, v3
	s_mov_b32 s5, 0
                                        ; implicit-def: $vgpr3
	s_and_saveexec_b32 s7, vcc_lo
	s_xor_b32 s7, exec_lo, s7
	s_cbranch_execz .LBB7_2152
; %bb.1927:
	v_bfe_u32 v3, v2, 20, 1
	s_mov_b32 s5, exec_lo
	v_add3_u32 v3, v2, v3, 0x487ffff
	v_lshrrev_b32_e32 v3, 20, v3
	s_andn2_saveexec_b32 s7, s7
	s_cbranch_execnz .LBB7_2153
.LBB7_1928:
	s_or_b32 exec_lo, exec_lo, s7
	v_mov_b32_e32 v7, 0
	s_and_saveexec_b32 s7, s5
.LBB7_1929:
	v_lshrrev_b32_e32 v2, 24, v2
	v_and_or_b32 v7, 0x80, v2, v3
.LBB7_1930:
	s_or_b32 exec_lo, exec_lo, s7
.LBB7_1931:
	s_or_b32 exec_lo, exec_lo, s4
	global_store_byte v[5:6], v7, off
.LBB7_1932:
	s_mov_b32 s4, -1
.LBB7_1933:
	s_mov_b32 s5, 0
.LBB7_1934:
	s_and_b32 vcc_lo, exec_lo, s5
	s_cbranch_vccz .LBB7_1974
; %bb.1935:
	s_cmp_gt_i32 s2, 22
	s_mov_b32 s3, -1
	s_cbranch_scc0 .LBB7_1967
; %bb.1936:
	s_cmp_lt_i32 s2, 24
	s_cbranch_scc1 .LBB7_1956
; %bb.1937:
	s_cmp_gt_i32 s2, 24
	s_cbranch_scc0 .LBB7_1945
; %bb.1938:
	v_cvt_f32_f64_e32 v2, v[0:1]
	v_mov_b32_e32 v7, 0x80
	s_mov_b32 s3, exec_lo
	v_and_b32_e32 v3, 0x7fffffff, v2
	v_cmpx_gt_u32_e32 0x47800000, v3
	s_cbranch_execz .LBB7_1944
; %bb.1939:
	v_cmp_lt_u32_e32 vcc_lo, 0x37ffffff, v3
	s_mov_b32 s4, 0
                                        ; implicit-def: $vgpr3
	s_and_saveexec_b32 s5, vcc_lo
	s_xor_b32 s5, exec_lo, s5
	s_cbranch_execz .LBB7_2155
; %bb.1940:
	v_bfe_u32 v3, v2, 21, 1
	s_mov_b32 s4, exec_lo
	v_add3_u32 v3, v2, v3, 0x88fffff
	v_lshrrev_b32_e32 v3, 21, v3
	s_andn2_saveexec_b32 s5, s5
	s_cbranch_execnz .LBB7_2156
.LBB7_1941:
	s_or_b32 exec_lo, exec_lo, s5
	v_mov_b32_e32 v7, 0
	s_and_saveexec_b32 s5, s4
.LBB7_1942:
	v_lshrrev_b32_e32 v2, 24, v2
	v_and_or_b32 v7, 0x80, v2, v3
.LBB7_1943:
	s_or_b32 exec_lo, exec_lo, s5
.LBB7_1944:
	s_or_b32 exec_lo, exec_lo, s3
	s_mov_b32 s3, 0
	global_store_byte v[5:6], v7, off
.LBB7_1945:
	s_and_b32 vcc_lo, exec_lo, s3
	s_cbranch_vccz .LBB7_1955
; %bb.1946:
	v_cvt_f32_f64_e32 v2, v[0:1]
	s_mov_b32 s3, exec_lo
                                        ; implicit-def: $vgpr3
	v_and_b32_e32 v7, 0x7fffffff, v2
	v_cmpx_gt_u32_e32 0x43f00000, v7
	s_xor_b32 s3, exec_lo, s3
	s_cbranch_execz .LBB7_1952
; %bb.1947:
	s_mov_b32 s4, exec_lo
                                        ; implicit-def: $vgpr3
	v_cmpx_lt_u32_e32 0x3c7fffff, v7
	s_xor_b32 s4, exec_lo, s4
; %bb.1948:
	v_bfe_u32 v3, v2, 20, 1
	v_add3_u32 v3, v2, v3, 0x407ffff
	v_and_b32_e32 v7, 0xff00000, v3
	v_lshrrev_b32_e32 v3, 20, v3
	v_cmp_ne_u32_e32 vcc_lo, 0x7f00000, v7
	v_cndmask_b32_e32 v3, 0x7e, v3, vcc_lo
; %bb.1949:
	s_andn2_saveexec_b32 s4, s4
; %bb.1950:
	v_add_f32_e64 v3, 0x46800000, |v2|
; %bb.1951:
	s_or_b32 exec_lo, exec_lo, s4
                                        ; implicit-def: $vgpr7
.LBB7_1952:
	s_andn2_saveexec_b32 s3, s3
; %bb.1953:
	v_mov_b32_e32 v3, 0x7f
	v_cmp_lt_u32_e32 vcc_lo, 0x7f800000, v7
	v_cndmask_b32_e32 v3, 0x7e, v3, vcc_lo
; %bb.1954:
	s_or_b32 exec_lo, exec_lo, s3
	v_lshrrev_b32_e32 v2, 24, v2
	v_and_or_b32 v2, 0x80, v2, v3
	global_store_byte v[5:6], v2, off
.LBB7_1955:
	s_mov_b32 s3, 0
.LBB7_1956:
	s_andn2_b32 vcc_lo, exec_lo, s3
	s_cbranch_vccnz .LBB7_1966
; %bb.1957:
	v_cvt_f32_f64_e32 v2, v[0:1]
	s_mov_b32 s3, exec_lo
                                        ; implicit-def: $vgpr3
	v_and_b32_e32 v7, 0x7fffffff, v2
	v_cmpx_gt_u32_e32 0x47800000, v7
	s_xor_b32 s3, exec_lo, s3
	s_cbranch_execz .LBB7_1963
; %bb.1958:
	s_mov_b32 s4, exec_lo
                                        ; implicit-def: $vgpr3
	v_cmpx_lt_u32_e32 0x387fffff, v7
	s_xor_b32 s4, exec_lo, s4
; %bb.1959:
	v_bfe_u32 v3, v2, 21, 1
	v_add3_u32 v3, v2, v3, 0x80fffff
	v_lshrrev_b32_e32 v3, 21, v3
; %bb.1960:
	s_andn2_saveexec_b32 s4, s4
; %bb.1961:
	v_add_f32_e64 v3, 0x43000000, |v2|
; %bb.1962:
	s_or_b32 exec_lo, exec_lo, s4
                                        ; implicit-def: $vgpr7
.LBB7_1963:
	s_andn2_saveexec_b32 s3, s3
; %bb.1964:
	v_mov_b32_e32 v3, 0x7f
	v_cmp_lt_u32_e32 vcc_lo, 0x7f800000, v7
	v_cndmask_b32_e32 v3, 0x7c, v3, vcc_lo
; %bb.1965:
	s_or_b32 exec_lo, exec_lo, s3
	v_lshrrev_b32_e32 v2, 24, v2
	v_and_or_b32 v2, 0x80, v2, v3
	global_store_byte v[5:6], v2, off
.LBB7_1966:
	s_mov_b32 s3, 0
	s_mov_b32 s4, -1
.LBB7_1967:
	s_andn2_b32 vcc_lo, exec_lo, s3
	s_mov_b32 s3, 0
	s_cbranch_vccnz .LBB7_1974
; %bb.1968:
	s_cmp_gt_i32 s2, 14
	s_mov_b32 s3, -1
	s_cbranch_scc0 .LBB7_1972
; %bb.1969:
	s_cmp_eq_u32 s2, 15
	s_mov_b32 s0, -1
	s_cbranch_scc0 .LBB7_1971
; %bb.1970:
	v_cvt_f32_f64_e32 v2, v[0:1]
	s_mov_b32 s0, 0
	s_mov_b32 s4, -1
	v_bfe_u32 v3, v2, 16, 1
	v_cmp_o_f32_e32 vcc_lo, v2, v2
	v_add3_u32 v2, v2, v3, 0x7fff
	v_mov_b32_e32 v3, 0x7fc0
	v_cndmask_b32_sdwa v2, v3, v2, vcc_lo dst_sel:DWORD dst_unused:UNUSED_PAD src0_sel:DWORD src1_sel:WORD_1
	global_store_short v[5:6], v2, off
.LBB7_1971:
	s_mov_b32 s3, 0
.LBB7_1972:
	s_and_b32 vcc_lo, exec_lo, s3
	s_mov_b32 s3, 0
	s_cbranch_vccz .LBB7_1974
; %bb.1973:
	s_cmp_lg_u32 s2, 11
	s_mov_b32 s3, -1
	s_cselect_b32 s0, -1, 0
.LBB7_1974:
	s_and_b32 vcc_lo, exec_lo, s0
	s_cbranch_vccnz .LBB7_2154
; %bb.1975:
	s_andn2_b32 vcc_lo, exec_lo, s3
	s_cbranch_vccnz .LBB7_1977
.LBB7_1976:
	v_cmp_neq_f64_e32 vcc_lo, 0, v[0:1]
	s_mov_b32 s4, -1
	v_cndmask_b32_e64 v2, 0, 1, vcc_lo
	global_store_byte v[5:6], v2, off
.LBB7_1977:
	s_mov_b32 s0, 0
	s_branch .LBB7_1979
.LBB7_1978:
	s_mov_b32 s0, -1
	s_mov_b32 s4, 0
.LBB7_1979:
	s_and_b32 vcc_lo, exec_lo, s0
	s_cbranch_vccz .LBB7_2018
; %bb.1980:
	s_and_b32 s0, 0xffff, s6
	s_mov_b32 s2, -1
	s_cmp_lt_i32 s0, 5
	s_cbranch_scc1 .LBB7_2001
; %bb.1981:
	s_cmp_lt_i32 s0, 8
	s_cbranch_scc1 .LBB7_1991
; %bb.1982:
	;; [unrolled: 3-line block ×3, first 2 shown]
	s_cmp_gt_i32 s0, 9
	s_cbranch_scc0 .LBB7_1985
; %bb.1984:
	v_mov_b32_e32 v2, 0
	s_mov_b32 s2, 0
	v_mov_b32_e32 v3, v2
	global_store_dwordx4 v[5:6], v[0:3], off
.LBB7_1985:
	s_andn2_b32 vcc_lo, exec_lo, s2
	s_cbranch_vccnz .LBB7_1987
; %bb.1986:
	v_cvt_f32_f64_e32 v2, v[0:1]
	v_mov_b32_e32 v3, 0
	global_store_dwordx2 v[5:6], v[2:3], off
.LBB7_1987:
	s_mov_b32 s2, 0
.LBB7_1988:
	s_andn2_b32 vcc_lo, exec_lo, s2
	s_cbranch_vccnz .LBB7_1990
; %bb.1989:
	v_and_or_b32 v2, 0x1ff, v1, v0
	v_lshrrev_b32_e32 v3, 8, v1
	v_bfe_u32 v7, v1, 20, 11
	v_cmp_ne_u32_e32 vcc_lo, 0, v2
	v_sub_nc_u32_e32 v8, 0x3f1, v7
	v_add_nc_u32_e32 v7, 0xfffffc10, v7
	v_cndmask_b32_e64 v2, 0, 1, vcc_lo
	v_and_or_b32 v2, 0xffe, v3, v2
	v_med3_i32 v3, v8, 0, 13
	v_or_b32_e32 v8, 0x1000, v2
	v_lshrrev_b32_e32 v11, v3, v8
	v_lshlrev_b32_e32 v3, v3, v11
	v_cmp_ne_u32_e32 vcc_lo, v3, v8
	v_lshl_or_b32 v8, v7, 12, v2
	v_cndmask_b32_e64 v3, 0, 1, vcc_lo
	v_cmp_gt_i32_e32 vcc_lo, 1, v7
	v_or_b32_e32 v3, v11, v3
	v_cndmask_b32_e32 v3, v8, v3, vcc_lo
	v_and_b32_e32 v8, 7, v3
	v_lshrrev_b32_e32 v3, 2, v3
	v_cmp_lt_i32_e32 vcc_lo, 5, v8
	v_cndmask_b32_e64 v11, 0, 1, vcc_lo
	v_cmp_eq_u32_e32 vcc_lo, 3, v8
	v_cndmask_b32_e64 v8, 0, 1, vcc_lo
	v_cmp_ne_u32_e32 vcc_lo, 0, v2
	v_or_b32_e32 v8, v8, v11
	v_mov_b32_e32 v11, 0x7e00
	v_add_nc_u32_e32 v3, v3, v8
	v_cndmask_b32_e32 v2, 0x7c00, v11, vcc_lo
	v_cmp_gt_i32_e32 vcc_lo, 31, v7
	v_cndmask_b32_e32 v3, 0x7c00, v3, vcc_lo
	v_cmp_eq_u32_e32 vcc_lo, 0x40f, v7
	v_cndmask_b32_e32 v2, v3, v2, vcc_lo
	v_lshrrev_b32_e32 v3, 16, v1
	v_and_or_b32 v2, 0x8000, v3, v2
	v_and_b32_e32 v2, 0xffff, v2
	global_store_dword v[5:6], v2, off
.LBB7_1990:
	s_mov_b32 s2, 0
.LBB7_1991:
	s_andn2_b32 vcc_lo, exec_lo, s2
	s_cbranch_vccnz .LBB7_2000
; %bb.1992:
	s_cmp_lt_i32 s0, 6
	s_mov_b32 s2, -1
	s_cbranch_scc1 .LBB7_1998
; %bb.1993:
	s_cmp_gt_i32 s0, 6
	s_cbranch_scc0 .LBB7_1995
; %bb.1994:
	s_mov_b32 s2, 0
	global_store_dwordx2 v[5:6], v[0:1], off
.LBB7_1995:
	s_andn2_b32 vcc_lo, exec_lo, s2
	s_cbranch_vccnz .LBB7_1997
; %bb.1996:
	v_cvt_f32_f64_e32 v2, v[0:1]
	global_store_dword v[5:6], v2, off
.LBB7_1997:
	s_mov_b32 s2, 0
.LBB7_1998:
	s_andn2_b32 vcc_lo, exec_lo, s2
	s_cbranch_vccnz .LBB7_2000
; %bb.1999:
	v_and_or_b32 v2, 0x1ff, v1, v0
	v_lshrrev_b32_e32 v3, 8, v1
	v_bfe_u32 v7, v1, 20, 11
	v_cmp_ne_u32_e32 vcc_lo, 0, v2
	v_sub_nc_u32_e32 v8, 0x3f1, v7
	v_add_nc_u32_e32 v7, 0xfffffc10, v7
	v_cndmask_b32_e64 v2, 0, 1, vcc_lo
	v_and_or_b32 v2, 0xffe, v3, v2
	v_med3_i32 v3, v8, 0, 13
	v_or_b32_e32 v8, 0x1000, v2
	v_lshrrev_b32_e32 v11, v3, v8
	v_lshlrev_b32_e32 v3, v3, v11
	v_cmp_ne_u32_e32 vcc_lo, v3, v8
	v_lshl_or_b32 v8, v7, 12, v2
	v_cndmask_b32_e64 v3, 0, 1, vcc_lo
	v_cmp_gt_i32_e32 vcc_lo, 1, v7
	v_or_b32_e32 v3, v11, v3
	v_cndmask_b32_e32 v3, v8, v3, vcc_lo
	v_and_b32_e32 v8, 7, v3
	v_lshrrev_b32_e32 v3, 2, v3
	v_cmp_lt_i32_e32 vcc_lo, 5, v8
	v_cndmask_b32_e64 v11, 0, 1, vcc_lo
	v_cmp_eq_u32_e32 vcc_lo, 3, v8
	v_cndmask_b32_e64 v8, 0, 1, vcc_lo
	v_cmp_ne_u32_e32 vcc_lo, 0, v2
	v_or_b32_e32 v8, v8, v11
	v_mov_b32_e32 v11, 0x7e00
	v_add_nc_u32_e32 v3, v3, v8
	v_cndmask_b32_e32 v2, 0x7c00, v11, vcc_lo
	v_cmp_gt_i32_e32 vcc_lo, 31, v7
	v_cndmask_b32_e32 v3, 0x7c00, v3, vcc_lo
	v_cmp_eq_u32_e32 vcc_lo, 0x40f, v7
	v_cndmask_b32_e32 v2, v3, v2, vcc_lo
	v_lshrrev_b32_e32 v3, 16, v1
	v_and_or_b32 v2, 0x8000, v3, v2
	global_store_short v[5:6], v2, off
.LBB7_2000:
	s_mov_b32 s2, 0
.LBB7_2001:
	s_andn2_b32 vcc_lo, exec_lo, s2
	s_cbranch_vccnz .LBB7_2017
; %bb.2002:
	s_cmp_lt_i32 s0, 2
	s_mov_b32 s2, -1
	s_cbranch_scc1 .LBB7_2012
; %bb.2003:
	s_cmp_lt_i32 s0, 3
	s_cbranch_scc1 .LBB7_2009
; %bb.2004:
	s_cmp_gt_i32 s0, 3
	s_cbranch_scc0 .LBB7_2006
; %bb.2005:
	v_trunc_f64_e32 v[2:3], v[0:1]
	s_mov_b32 s2, 0
	v_ldexp_f64 v[7:8], v[2:3], 0xffffffe0
	v_floor_f64_e32 v[7:8], v[7:8]
	v_fma_f64 v[2:3], 0xc1f00000, v[7:8], v[2:3]
	v_cvt_i32_f64_e32 v8, v[7:8]
	v_cvt_u32_f64_e32 v7, v[2:3]
	global_store_dwordx2 v[5:6], v[7:8], off
.LBB7_2006:
	s_andn2_b32 vcc_lo, exec_lo, s2
	s_cbranch_vccnz .LBB7_2008
; %bb.2007:
	v_cvt_i32_f64_e32 v2, v[0:1]
	global_store_dword v[5:6], v2, off
.LBB7_2008:
	s_mov_b32 s2, 0
.LBB7_2009:
	s_andn2_b32 vcc_lo, exec_lo, s2
	s_cbranch_vccnz .LBB7_2011
; %bb.2010:
	v_cvt_i32_f64_e32 v2, v[0:1]
	global_store_short v[5:6], v2, off
.LBB7_2011:
	s_mov_b32 s2, 0
.LBB7_2012:
	s_andn2_b32 vcc_lo, exec_lo, s2
	s_cbranch_vccnz .LBB7_2017
; %bb.2013:
	s_cmp_gt_i32 s0, 0
	s_mov_b32 s0, -1
	s_cbranch_scc0 .LBB7_2015
; %bb.2014:
	v_cvt_i32_f64_e32 v2, v[0:1]
	s_mov_b32 s0, 0
	global_store_byte v[5:6], v2, off
.LBB7_2015:
	s_andn2_b32 vcc_lo, exec_lo, s0
	s_cbranch_vccnz .LBB7_2017
; %bb.2016:
	v_trunc_f64_e32 v[0:1], v[0:1]
	v_ldexp_f64 v[2:3], v[0:1], 0xffffffe0
	v_floor_f64_e32 v[2:3], v[2:3]
	v_fma_f64 v[0:1], 0xc1f00000, v[2:3], v[0:1]
	v_cvt_u32_f64_e32 v0, v[0:1]
	global_store_byte v[5:6], v0, off
.LBB7_2017:
	s_mov_b32 s4, -1
.LBB7_2018:
	s_andn2_b32 vcc_lo, exec_lo, s4
	s_cbranch_vccnz .LBB7_2095
; %bb.2019:
	v_and_b32_e32 v1, 0x7fffffff, v10
	v_mov_b32_e32 v0, v9
	s_mov_b32 s2, 0xbd3237f4
	s_mov_b32 s4, 0xb5e68a13
	s_mov_b32 s3, 0xbf23e260
	s_mov_b32 s5, 0x3eeba404
	v_div_scale_f64 v[2:3], null, v[0:1], v[0:1], 1.0
	v_div_scale_f64 v[11:12], vcc_lo, 1.0, v[0:1], 1.0
	v_add_co_u32 v4, s0, s8, v4
	s_cmp_lt_i32 s6, 11
	v_rcp_f64_e32 v[5:6], v[2:3]
	v_fma_f64 v[7:8], -v[2:3], v[5:6], 1.0
	v_fma_f64 v[5:6], v[5:6], v[7:8], v[5:6]
	v_fma_f64 v[7:8], -v[2:3], v[5:6], 1.0
	v_fma_f64 v[5:6], v[5:6], v[7:8], v[5:6]
	v_mul_f64 v[7:8], v[11:12], v[5:6]
	v_fma_f64 v[2:3], -v[2:3], v[7:8], v[11:12]
	v_div_fmas_f64 v[2:3], v[2:3], v[5:6], v[7:8]
	v_cmp_gt_f64_e64 vcc_lo, |v[9:10]|, 1.0
	v_div_fixup_f64 v[2:3], v[2:3], |v[9:10]|, 1.0
	v_cndmask_b32_e32 v1, v1, v3, vcc_lo
	v_cndmask_b32_e32 v0, v9, v2, vcc_lo
	v_mul_f64 v[2:3], v[0:1], v[0:1]
	v_fma_f64 v[5:6], v[2:3], s[4:5], s[2:3]
	s_mov_b32 s2, 0x69efb384
	s_mov_b32 s3, 0x3f4b2bb0
	;; [unrolled: 1-line block ×4, first 2 shown]
	v_fma_f64 v[5:6], v[2:3], v[5:6], s[2:3]
	s_mov_b32 s2, 0xaf56de9b
	s_mov_b32 s3, 0xbf67952d
	v_fma_f64 v[5:6], v[2:3], v[5:6], s[2:3]
	s_mov_b32 s2, 0xa595c56f
	s_mov_b32 s3, 0x3f7d6d43
	;; [unrolled: 3-line block ×18, first 2 shown]
	v_mul_f64 v[2:3], v[2:3], v[5:6]
	v_add_co_ci_u32_e64 v5, null, s9, 0, s0
	v_fma_f64 v[0:1], v[0:1], v[2:3], v[0:1]
	v_fma_f64 v[2:3], s[4:5], s[2:3], -v[0:1]
	v_cndmask_b32_e32 v1, v1, v3, vcc_lo
	v_cndmask_b32_e32 v0, v0, v2, vcc_lo
	v_bfi_b32 v1, 0x7fffffff, v1, v10
	s_cbranch_scc1 .LBB7_2140
; %bb.2020:
	s_and_b32 s2, 0xffff, s6
	s_mov_b32 s4, -1
	s_mov_b32 s3, 0
	s_cmp_gt_i32 s2, 25
	s_mov_b32 s0, 0
	s_cbranch_scc0 .LBB7_2053
; %bb.2021:
	s_cmp_gt_i32 s2, 28
	s_cbranch_scc0 .LBB7_2037
; %bb.2022:
	s_cmp_gt_i32 s2, 43
	;; [unrolled: 3-line block ×3, first 2 shown]
	s_cbranch_scc0 .LBB7_2027
; %bb.2024:
	s_cmp_eq_u32 s2, 46
	s_mov_b32 s0, -1
	s_cbranch_scc0 .LBB7_2026
; %bb.2025:
	v_cvt_f32_f64_e32 v2, v[0:1]
	s_mov_b32 s0, 0
	v_bfe_u32 v3, v2, 16, 1
	v_cmp_o_f32_e32 vcc_lo, v2, v2
	v_add3_u32 v2, v2, v3, 0x7fff
	v_mov_b32_e32 v3, 0x7fc0
	v_cndmask_b32_sdwa v2, v3, v2, vcc_lo dst_sel:DWORD dst_unused:UNUSED_PAD src0_sel:DWORD src1_sel:WORD_1
	global_store_dword v[4:5], v2, off
.LBB7_2026:
	s_mov_b32 s4, 0
.LBB7_2027:
	s_and_b32 vcc_lo, exec_lo, s4
	s_cbranch_vccz .LBB7_2032
; %bb.2028:
	s_cmp_eq_u32 s2, 44
	s_mov_b32 s0, -1
	s_cbranch_scc0 .LBB7_2032
; %bb.2029:
	v_cvt_f32_f64_e32 v2, v[0:1]
	v_mov_b32_e32 v3, 0xff
	s_mov_b32 s4, exec_lo
	v_bfe_u32 v6, v2, 23, 8
	v_cmpx_ne_u32_e32 0xff, v6
	s_cbranch_execz .LBB7_2031
; %bb.2030:
	v_and_b32_e32 v3, 0x400000, v2
	v_and_or_b32 v6, 0x3fffff, v2, v6
	v_lshrrev_b32_e32 v2, 23, v2
	v_cmp_ne_u32_e32 vcc_lo, 0, v3
	v_cmp_ne_u32_e64 s0, 0, v6
	s_and_b32 s0, vcc_lo, s0
	v_cndmask_b32_e64 v3, 0, 1, s0
	v_add_nc_u32_e32 v3, v2, v3
.LBB7_2031:
	s_or_b32 exec_lo, exec_lo, s4
	s_mov_b32 s0, 0
	global_store_byte v[4:5], v3, off
.LBB7_2032:
	s_mov_b32 s4, 0
.LBB7_2033:
	s_and_b32 vcc_lo, exec_lo, s4
	s_cbranch_vccz .LBB7_2036
; %bb.2034:
	s_cmp_eq_u32 s2, 29
	s_mov_b32 s0, -1
	s_cbranch_scc0 .LBB7_2036
; %bb.2035:
	v_trunc_f64_e32 v[2:3], v[0:1]
	s_mov_b32 s0, 0
	v_ldexp_f64 v[6:7], v[2:3], 0xffffffe0
	v_floor_f64_e32 v[6:7], v[6:7]
	v_fma_f64 v[2:3], 0xc1f00000, v[6:7], v[2:3]
	v_cvt_u32_f64_e32 v7, v[6:7]
	v_cvt_u32_f64_e32 v6, v[2:3]
	global_store_dwordx2 v[4:5], v[6:7], off
.LBB7_2036:
	s_mov_b32 s4, 0
.LBB7_2037:
	s_and_b32 vcc_lo, exec_lo, s4
	s_cbranch_vccz .LBB7_2052
; %bb.2038:
	s_cmp_lt_i32 s2, 27
	s_mov_b32 s4, -1
	s_cbranch_scc1 .LBB7_2044
; %bb.2039:
	s_cmp_gt_i32 s2, 27
	s_cbranch_scc0 .LBB7_2041
; %bb.2040:
	v_cvt_u32_f64_e32 v2, v[0:1]
	s_mov_b32 s4, 0
	global_store_dword v[4:5], v2, off
.LBB7_2041:
	s_andn2_b32 vcc_lo, exec_lo, s4
	s_cbranch_vccnz .LBB7_2043
; %bb.2042:
	v_cvt_u32_f64_e32 v2, v[0:1]
	global_store_short v[4:5], v2, off
.LBB7_2043:
	s_mov_b32 s4, 0
.LBB7_2044:
	s_andn2_b32 vcc_lo, exec_lo, s4
	s_cbranch_vccnz .LBB7_2052
; %bb.2045:
	v_cvt_f32_f64_e32 v2, v[0:1]
	v_mov_b32_e32 v6, 0x80
	s_mov_b32 s4, exec_lo
	v_and_b32_e32 v3, 0x7fffffff, v2
	v_cmpx_gt_u32_e32 0x43800000, v3
	s_cbranch_execz .LBB7_2051
; %bb.2046:
	v_cmp_lt_u32_e32 vcc_lo, 0x3bffffff, v3
	s_mov_b32 s5, 0
                                        ; implicit-def: $vgpr3
	s_and_saveexec_b32 s7, vcc_lo
	s_xor_b32 s7, exec_lo, s7
	s_cbranch_execz .LBB7_2157
; %bb.2047:
	v_bfe_u32 v3, v2, 20, 1
	s_mov_b32 s5, exec_lo
	v_add3_u32 v3, v2, v3, 0x487ffff
	v_lshrrev_b32_e32 v3, 20, v3
	s_andn2_saveexec_b32 s7, s7
	s_cbranch_execnz .LBB7_2158
.LBB7_2048:
	s_or_b32 exec_lo, exec_lo, s7
	v_mov_b32_e32 v6, 0
	s_and_saveexec_b32 s7, s5
.LBB7_2049:
	v_lshrrev_b32_e32 v2, 24, v2
	v_and_or_b32 v6, 0x80, v2, v3
.LBB7_2050:
	s_or_b32 exec_lo, exec_lo, s7
.LBB7_2051:
	s_or_b32 exec_lo, exec_lo, s4
	global_store_byte v[4:5], v6, off
.LBB7_2052:
	s_mov_b32 s4, 0
.LBB7_2053:
	s_and_b32 vcc_lo, exec_lo, s4
	s_cbranch_vccz .LBB7_2093
; %bb.2054:
	s_cmp_gt_i32 s2, 22
	s_mov_b32 s3, -1
	s_cbranch_scc0 .LBB7_2086
; %bb.2055:
	s_cmp_lt_i32 s2, 24
	s_cbranch_scc1 .LBB7_2075
; %bb.2056:
	s_cmp_gt_i32 s2, 24
	s_cbranch_scc0 .LBB7_2064
; %bb.2057:
	v_cvt_f32_f64_e32 v2, v[0:1]
	v_mov_b32_e32 v6, 0x80
	s_mov_b32 s3, exec_lo
	v_and_b32_e32 v3, 0x7fffffff, v2
	v_cmpx_gt_u32_e32 0x47800000, v3
	s_cbranch_execz .LBB7_2063
; %bb.2058:
	v_cmp_lt_u32_e32 vcc_lo, 0x37ffffff, v3
	s_mov_b32 s4, 0
                                        ; implicit-def: $vgpr3
	s_and_saveexec_b32 s5, vcc_lo
	s_xor_b32 s5, exec_lo, s5
	s_cbranch_execz .LBB7_2160
; %bb.2059:
	v_bfe_u32 v3, v2, 21, 1
	s_mov_b32 s4, exec_lo
	v_add3_u32 v3, v2, v3, 0x88fffff
	v_lshrrev_b32_e32 v3, 21, v3
	s_andn2_saveexec_b32 s5, s5
	s_cbranch_execnz .LBB7_2161
.LBB7_2060:
	s_or_b32 exec_lo, exec_lo, s5
	v_mov_b32_e32 v6, 0
	s_and_saveexec_b32 s5, s4
.LBB7_2061:
	v_lshrrev_b32_e32 v2, 24, v2
	v_and_or_b32 v6, 0x80, v2, v3
.LBB7_2062:
	s_or_b32 exec_lo, exec_lo, s5
.LBB7_2063:
	s_or_b32 exec_lo, exec_lo, s3
	s_mov_b32 s3, 0
	global_store_byte v[4:5], v6, off
.LBB7_2064:
	s_and_b32 vcc_lo, exec_lo, s3
	s_cbranch_vccz .LBB7_2074
; %bb.2065:
	v_cvt_f32_f64_e32 v2, v[0:1]
	s_mov_b32 s3, exec_lo
                                        ; implicit-def: $vgpr3
	v_and_b32_e32 v6, 0x7fffffff, v2
	v_cmpx_gt_u32_e32 0x43f00000, v6
	s_xor_b32 s3, exec_lo, s3
	s_cbranch_execz .LBB7_2071
; %bb.2066:
	s_mov_b32 s4, exec_lo
                                        ; implicit-def: $vgpr3
	v_cmpx_lt_u32_e32 0x3c7fffff, v6
	s_xor_b32 s4, exec_lo, s4
; %bb.2067:
	v_bfe_u32 v3, v2, 20, 1
	v_add3_u32 v3, v2, v3, 0x407ffff
	v_and_b32_e32 v6, 0xff00000, v3
	v_lshrrev_b32_e32 v3, 20, v3
	v_cmp_ne_u32_e32 vcc_lo, 0x7f00000, v6
	v_cndmask_b32_e32 v3, 0x7e, v3, vcc_lo
; %bb.2068:
	s_andn2_saveexec_b32 s4, s4
; %bb.2069:
	v_add_f32_e64 v3, 0x46800000, |v2|
; %bb.2070:
	s_or_b32 exec_lo, exec_lo, s4
                                        ; implicit-def: $vgpr6
.LBB7_2071:
	s_andn2_saveexec_b32 s3, s3
; %bb.2072:
	v_mov_b32_e32 v3, 0x7f
	v_cmp_lt_u32_e32 vcc_lo, 0x7f800000, v6
	v_cndmask_b32_e32 v3, 0x7e, v3, vcc_lo
; %bb.2073:
	s_or_b32 exec_lo, exec_lo, s3
	v_lshrrev_b32_e32 v2, 24, v2
	v_and_or_b32 v2, 0x80, v2, v3
	global_store_byte v[4:5], v2, off
.LBB7_2074:
	s_mov_b32 s3, 0
.LBB7_2075:
	s_andn2_b32 vcc_lo, exec_lo, s3
	s_cbranch_vccnz .LBB7_2085
; %bb.2076:
	v_cvt_f32_f64_e32 v2, v[0:1]
	s_mov_b32 s3, exec_lo
                                        ; implicit-def: $vgpr3
	v_and_b32_e32 v6, 0x7fffffff, v2
	v_cmpx_gt_u32_e32 0x47800000, v6
	s_xor_b32 s3, exec_lo, s3
	s_cbranch_execz .LBB7_2082
; %bb.2077:
	s_mov_b32 s4, exec_lo
                                        ; implicit-def: $vgpr3
	v_cmpx_lt_u32_e32 0x387fffff, v6
	s_xor_b32 s4, exec_lo, s4
; %bb.2078:
	v_bfe_u32 v3, v2, 21, 1
	v_add3_u32 v3, v2, v3, 0x80fffff
	v_lshrrev_b32_e32 v3, 21, v3
; %bb.2079:
	s_andn2_saveexec_b32 s4, s4
; %bb.2080:
	v_add_f32_e64 v3, 0x43000000, |v2|
; %bb.2081:
	s_or_b32 exec_lo, exec_lo, s4
                                        ; implicit-def: $vgpr6
.LBB7_2082:
	s_andn2_saveexec_b32 s3, s3
; %bb.2083:
	v_mov_b32_e32 v3, 0x7f
	v_cmp_lt_u32_e32 vcc_lo, 0x7f800000, v6
	v_cndmask_b32_e32 v3, 0x7c, v3, vcc_lo
; %bb.2084:
	s_or_b32 exec_lo, exec_lo, s3
	v_lshrrev_b32_e32 v2, 24, v2
	v_and_or_b32 v2, 0x80, v2, v3
	global_store_byte v[4:5], v2, off
.LBB7_2085:
	s_mov_b32 s3, 0
.LBB7_2086:
	s_andn2_b32 vcc_lo, exec_lo, s3
	s_mov_b32 s3, 0
	s_cbranch_vccnz .LBB7_2093
; %bb.2087:
	s_cmp_gt_i32 s2, 14
	s_mov_b32 s3, -1
	s_cbranch_scc0 .LBB7_2091
; %bb.2088:
	s_cmp_eq_u32 s2, 15
	s_mov_b32 s0, -1
	s_cbranch_scc0 .LBB7_2090
; %bb.2089:
	v_cvt_f32_f64_e32 v2, v[0:1]
	s_mov_b32 s0, 0
	v_bfe_u32 v3, v2, 16, 1
	v_cmp_o_f32_e32 vcc_lo, v2, v2
	v_add3_u32 v2, v2, v3, 0x7fff
	v_mov_b32_e32 v3, 0x7fc0
	v_cndmask_b32_sdwa v2, v3, v2, vcc_lo dst_sel:DWORD dst_unused:UNUSED_PAD src0_sel:DWORD src1_sel:WORD_1
	global_store_short v[4:5], v2, off
.LBB7_2090:
	s_mov_b32 s3, 0
.LBB7_2091:
	s_and_b32 vcc_lo, exec_lo, s3
	s_mov_b32 s3, 0
	s_cbranch_vccz .LBB7_2093
; %bb.2092:
	s_cmp_lg_u32 s2, 11
	s_mov_b32 s3, -1
	s_cselect_b32 s0, -1, 0
.LBB7_2093:
	s_and_b32 vcc_lo, exec_lo, s0
	s_cbranch_vccnz .LBB7_2159
.LBB7_2094:
	s_mov_b32 s0, 0
	s_branch .LBB7_2096
.LBB7_2095:
	s_mov_b32 s0, 0
	s_mov_b32 s3, 0
                                        ; implicit-def: $vgpr4_vgpr5
                                        ; implicit-def: $sgpr6
                                        ; implicit-def: $vgpr0_vgpr1
.LBB7_2096:
	s_andn2_b32 s2, s12, exec_lo
	s_and_b32 s1, s1, exec_lo
	s_and_b32 s0, s0, exec_lo
	;; [unrolled: 1-line block ×3, first 2 shown]
	s_or_b32 s12, s2, s1
.LBB7_2097:
	s_or_b32 exec_lo, exec_lo, s13
	s_and_saveexec_b32 s1, s12
	s_cbranch_execz .LBB7_2100
; %bb.2098:
	; divergent unreachable
	s_or_b32 exec_lo, exec_lo, s1
	s_and_saveexec_b32 s1, s26
	s_xor_b32 s1, exec_lo, s1
	s_cbranch_execnz .LBB7_2101
.LBB7_2099:
	s_or_b32 exec_lo, exec_lo, s1
	s_and_saveexec_b32 s1, s0
	s_cbranch_execnz .LBB7_2102
	s_branch .LBB7_2139
.LBB7_2100:
	s_or_b32 exec_lo, exec_lo, s1
	s_and_saveexec_b32 s1, s26
	s_xor_b32 s1, exec_lo, s1
	s_cbranch_execz .LBB7_2099
.LBB7_2101:
	s_waitcnt vmcnt(0)
	v_cmp_neq_f64_e32 vcc_lo, 0, v[0:1]
	v_cndmask_b32_e64 v2, 0, 1, vcc_lo
	global_store_byte v[4:5], v2, off
	s_or_b32 exec_lo, exec_lo, s1
	s_and_saveexec_b32 s1, s0
	s_cbranch_execz .LBB7_2139
.LBB7_2102:
	s_sext_i32_i16 s1, s6
	s_mov_b32 s0, -1
	s_cmp_lt_i32 s1, 5
	s_cbranch_scc1 .LBB7_2123
; %bb.2103:
	s_cmp_lt_i32 s1, 8
	s_cbranch_scc1 .LBB7_2113
; %bb.2104:
	;; [unrolled: 3-line block ×3, first 2 shown]
	s_cmp_gt_i32 s1, 9
	s_cbranch_scc0 .LBB7_2107
; %bb.2106:
	v_mov_b32_e32 v2, 0
	s_mov_b32 s0, 0
	v_mov_b32_e32 v3, v2
	s_waitcnt vmcnt(0)
	global_store_dwordx4 v[4:5], v[0:3], off
.LBB7_2107:
	s_andn2_b32 vcc_lo, exec_lo, s0
	s_cbranch_vccnz .LBB7_2109
; %bb.2108:
	s_waitcnt vmcnt(0)
	v_cvt_f32_f64_e32 v2, v[0:1]
	v_mov_b32_e32 v3, 0
	global_store_dwordx2 v[4:5], v[2:3], off
.LBB7_2109:
	s_mov_b32 s0, 0
.LBB7_2110:
	s_andn2_b32 vcc_lo, exec_lo, s0
	s_cbranch_vccnz .LBB7_2112
; %bb.2111:
	s_waitcnt vmcnt(0)
	v_and_or_b32 v2, 0x1ff, v1, v0
	v_lshrrev_b32_e32 v3, 8, v1
	v_bfe_u32 v6, v1, 20, 11
	v_cmp_ne_u32_e32 vcc_lo, 0, v2
	v_sub_nc_u32_e32 v7, 0x3f1, v6
	v_add_nc_u32_e32 v6, 0xfffffc10, v6
	v_cndmask_b32_e64 v2, 0, 1, vcc_lo
	v_and_or_b32 v2, 0xffe, v3, v2
	v_med3_i32 v3, v7, 0, 13
	v_or_b32_e32 v7, 0x1000, v2
	v_lshrrev_b32_e32 v8, v3, v7
	v_lshlrev_b32_e32 v3, v3, v8
	v_cmp_ne_u32_e32 vcc_lo, v3, v7
	v_lshl_or_b32 v7, v6, 12, v2
	v_cndmask_b32_e64 v3, 0, 1, vcc_lo
	v_cmp_gt_i32_e32 vcc_lo, 1, v6
	v_or_b32_e32 v3, v8, v3
	v_cndmask_b32_e32 v3, v7, v3, vcc_lo
	v_and_b32_e32 v7, 7, v3
	v_lshrrev_b32_e32 v3, 2, v3
	v_cmp_lt_i32_e32 vcc_lo, 5, v7
	v_cndmask_b32_e64 v8, 0, 1, vcc_lo
	v_cmp_eq_u32_e32 vcc_lo, 3, v7
	v_cndmask_b32_e64 v7, 0, 1, vcc_lo
	v_cmp_ne_u32_e32 vcc_lo, 0, v2
	v_or_b32_e32 v7, v7, v8
	v_mov_b32_e32 v8, 0x7e00
	v_add_nc_u32_e32 v3, v3, v7
	v_cndmask_b32_e32 v2, 0x7c00, v8, vcc_lo
	v_cmp_gt_i32_e32 vcc_lo, 31, v6
	v_cndmask_b32_e32 v3, 0x7c00, v3, vcc_lo
	v_cmp_eq_u32_e32 vcc_lo, 0x40f, v6
	v_cndmask_b32_e32 v2, v3, v2, vcc_lo
	v_lshrrev_b32_e32 v3, 16, v1
	v_and_or_b32 v2, 0x8000, v3, v2
	v_and_b32_e32 v2, 0xffff, v2
	global_store_dword v[4:5], v2, off
.LBB7_2112:
	s_mov_b32 s0, 0
.LBB7_2113:
	s_andn2_b32 vcc_lo, exec_lo, s0
	s_cbranch_vccnz .LBB7_2122
; %bb.2114:
	s_sext_i32_i16 s1, s6
	s_mov_b32 s0, -1
	s_cmp_lt_i32 s1, 6
	s_cbranch_scc1 .LBB7_2120
; %bb.2115:
	s_cmp_gt_i32 s1, 6
	s_cbranch_scc0 .LBB7_2117
; %bb.2116:
	s_mov_b32 s0, 0
	s_waitcnt vmcnt(0)
	global_store_dwordx2 v[4:5], v[0:1], off
.LBB7_2117:
	s_andn2_b32 vcc_lo, exec_lo, s0
	s_cbranch_vccnz .LBB7_2119
; %bb.2118:
	s_waitcnt vmcnt(0)
	v_cvt_f32_f64_e32 v2, v[0:1]
	global_store_dword v[4:5], v2, off
.LBB7_2119:
	s_mov_b32 s0, 0
.LBB7_2120:
	s_andn2_b32 vcc_lo, exec_lo, s0
	s_cbranch_vccnz .LBB7_2122
; %bb.2121:
	s_waitcnt vmcnt(0)
	v_and_or_b32 v2, 0x1ff, v1, v0
	v_lshrrev_b32_e32 v3, 8, v1
	v_bfe_u32 v6, v1, 20, 11
	v_cmp_ne_u32_e32 vcc_lo, 0, v2
	v_sub_nc_u32_e32 v7, 0x3f1, v6
	v_add_nc_u32_e32 v6, 0xfffffc10, v6
	v_cndmask_b32_e64 v2, 0, 1, vcc_lo
	v_and_or_b32 v2, 0xffe, v3, v2
	v_med3_i32 v3, v7, 0, 13
	v_or_b32_e32 v7, 0x1000, v2
	v_lshrrev_b32_e32 v8, v3, v7
	v_lshlrev_b32_e32 v3, v3, v8
	v_cmp_ne_u32_e32 vcc_lo, v3, v7
	v_lshl_or_b32 v7, v6, 12, v2
	v_cndmask_b32_e64 v3, 0, 1, vcc_lo
	v_cmp_gt_i32_e32 vcc_lo, 1, v6
	v_or_b32_e32 v3, v8, v3
	v_cndmask_b32_e32 v3, v7, v3, vcc_lo
	v_and_b32_e32 v7, 7, v3
	v_lshrrev_b32_e32 v3, 2, v3
	v_cmp_lt_i32_e32 vcc_lo, 5, v7
	v_cndmask_b32_e64 v8, 0, 1, vcc_lo
	v_cmp_eq_u32_e32 vcc_lo, 3, v7
	v_cndmask_b32_e64 v7, 0, 1, vcc_lo
	v_cmp_ne_u32_e32 vcc_lo, 0, v2
	v_or_b32_e32 v7, v7, v8
	v_mov_b32_e32 v8, 0x7e00
	v_add_nc_u32_e32 v3, v3, v7
	v_cndmask_b32_e32 v2, 0x7c00, v8, vcc_lo
	v_cmp_gt_i32_e32 vcc_lo, 31, v6
	v_cndmask_b32_e32 v3, 0x7c00, v3, vcc_lo
	v_cmp_eq_u32_e32 vcc_lo, 0x40f, v6
	v_cndmask_b32_e32 v2, v3, v2, vcc_lo
	v_lshrrev_b32_e32 v3, 16, v1
	v_and_or_b32 v2, 0x8000, v3, v2
	global_store_short v[4:5], v2, off
.LBB7_2122:
	s_mov_b32 s0, 0
.LBB7_2123:
	s_andn2_b32 vcc_lo, exec_lo, s0
	s_cbranch_vccnz .LBB7_2139
; %bb.2124:
	s_sext_i32_i16 s1, s6
	s_mov_b32 s0, -1
	s_cmp_lt_i32 s1, 2
	s_cbranch_scc1 .LBB7_2134
; %bb.2125:
	s_cmp_lt_i32 s1, 3
	s_cbranch_scc1 .LBB7_2131
; %bb.2126:
	s_cmp_gt_i32 s1, 3
	s_cbranch_scc0 .LBB7_2128
; %bb.2127:
	s_waitcnt vmcnt(0)
	v_trunc_f64_e32 v[2:3], v[0:1]
	s_mov_b32 s0, 0
	v_ldexp_f64 v[6:7], v[2:3], 0xffffffe0
	v_floor_f64_e32 v[6:7], v[6:7]
	v_fma_f64 v[2:3], 0xc1f00000, v[6:7], v[2:3]
	v_cvt_i32_f64_e32 v7, v[6:7]
	v_cvt_u32_f64_e32 v6, v[2:3]
	global_store_dwordx2 v[4:5], v[6:7], off
.LBB7_2128:
	s_andn2_b32 vcc_lo, exec_lo, s0
	s_cbranch_vccnz .LBB7_2130
; %bb.2129:
	s_waitcnt vmcnt(0)
	v_cvt_i32_f64_e32 v2, v[0:1]
	global_store_dword v[4:5], v2, off
.LBB7_2130:
	s_mov_b32 s0, 0
.LBB7_2131:
	s_andn2_b32 vcc_lo, exec_lo, s0
	s_cbranch_vccnz .LBB7_2133
; %bb.2132:
	s_waitcnt vmcnt(0)
	v_cvt_i32_f64_e32 v2, v[0:1]
	global_store_short v[4:5], v2, off
.LBB7_2133:
	s_mov_b32 s0, 0
.LBB7_2134:
	s_andn2_b32 vcc_lo, exec_lo, s0
	s_cbranch_vccnz .LBB7_2139
; %bb.2135:
	s_sext_i32_i16 s0, s6
	s_cmp_gt_i32 s0, 0
	s_mov_b32 s0, -1
	s_cbranch_scc0 .LBB7_2137
; %bb.2136:
	s_waitcnt vmcnt(0)
	v_cvt_i32_f64_e32 v2, v[0:1]
	s_mov_b32 s0, 0
	global_store_byte v[4:5], v2, off
.LBB7_2137:
	s_andn2_b32 vcc_lo, exec_lo, s0
	s_cbranch_vccnz .LBB7_2139
; %bb.2138:
	s_waitcnt vmcnt(0)
	v_trunc_f64_e32 v[0:1], v[0:1]
	v_ldexp_f64 v[2:3], v[0:1], 0xffffffe0
	v_floor_f64_e32 v[2:3], v[2:3]
	v_fma_f64 v[0:1], 0xc1f00000, v[2:3], v[0:1]
	v_cvt_u32_f64_e32 v0, v[0:1]
	global_store_byte v[4:5], v0, off
	s_endpgm
.LBB7_2139:
	s_endpgm
.LBB7_2140:
	s_mov_b32 s3, 0
	s_mov_b32 s0, -1
	s_branch .LBB7_2096
.LBB7_2141:
	s_or_b32 s1, s1, exec_lo
	s_trap 2
	s_cbranch_execz .LBB7_1610
	s_branch .LBB7_1611
.LBB7_2142:
	s_andn2_saveexec_b32 s10, s10
	s_cbranch_execz .LBB7_1690
.LBB7_2143:
	v_add_f32_e64 v3, 0x46000000, |v2|
	s_andn2_b32 s7, s7, exec_lo
	v_and_b32_e32 v3, 0xff, v3
	v_cmp_ne_u32_e32 vcc_lo, 0, v3
	s_and_b32 s11, vcc_lo, exec_lo
	s_or_b32 s7, s7, s11
	s_or_b32 exec_lo, exec_lo, s10
	v_mov_b32_e32 v5, 0
	s_and_saveexec_b32 s10, s7
	s_cbranch_execnz .LBB7_1691
	s_branch .LBB7_1692
.LBB7_2144:
	s_or_b32 s1, s1, exec_lo
	s_trap 2
	s_cbranch_execz .LBB7_1738
	s_branch .LBB7_1739
.LBB7_2145:
	s_andn2_saveexec_b32 s7, s7
	s_cbranch_execz .LBB7_1703
.LBB7_2146:
	v_add_f32_e64 v3, 0x42800000, |v2|
	s_andn2_b32 s6, s6, exec_lo
	v_and_b32_e32 v3, 0xff, v3
	v_cmp_ne_u32_e32 vcc_lo, 0, v3
	s_and_b32 s10, vcc_lo, exec_lo
	s_or_b32 s6, s6, s10
	s_or_b32 exec_lo, exec_lo, s7
	v_mov_b32_e32 v5, 0
	s_and_saveexec_b32 s7, s6
	s_cbranch_execnz .LBB7_1704
	s_branch .LBB7_1705
.LBB7_2147:
	s_andn2_saveexec_b32 s7, s7
	s_cbranch_execz .LBB7_1809
.LBB7_2148:
	v_add_f32_e64 v3, 0x46000000, |v2|
	s_andn2_b32 s5, s5, exec_lo
	v_and_b32_e32 v3, 0xff, v3
	v_cmp_ne_u32_e32 vcc_lo, 0, v3
	s_and_b32 s10, vcc_lo, exec_lo
	s_or_b32 s5, s5, s10
	s_or_b32 exec_lo, exec_lo, s7
	v_mov_b32_e32 v5, 0
	s_and_saveexec_b32 s7, s5
	s_cbranch_execnz .LBB7_1810
	s_branch .LBB7_1811
.LBB7_2149:
	s_or_b32 s1, s1, exec_lo
	s_trap 2
	s_cbranch_execz .LBB7_1857
	s_branch .LBB7_1858
.LBB7_2150:
	s_andn2_saveexec_b32 s5, s5
	s_cbranch_execz .LBB7_1822
.LBB7_2151:
	v_add_f32_e64 v3, 0x42800000, |v2|
	s_andn2_b32 s4, s4, exec_lo
	v_and_b32_e32 v3, 0xff, v3
	v_cmp_ne_u32_e32 vcc_lo, 0, v3
	s_and_b32 s7, vcc_lo, exec_lo
	s_or_b32 s4, s4, s7
	s_or_b32 exec_lo, exec_lo, s5
	v_mov_b32_e32 v5, 0
	s_and_saveexec_b32 s5, s4
	s_cbranch_execnz .LBB7_1823
	s_branch .LBB7_1824
.LBB7_2152:
	s_andn2_saveexec_b32 s7, s7
	s_cbranch_execz .LBB7_1928
.LBB7_2153:
	v_add_f32_e64 v3, 0x46000000, |v2|
	s_andn2_b32 s5, s5, exec_lo
	v_and_b32_e32 v3, 0xff, v3
	v_cmp_ne_u32_e32 vcc_lo, 0, v3
	s_and_b32 s10, vcc_lo, exec_lo
	s_or_b32 s5, s5, s10
	s_or_b32 exec_lo, exec_lo, s7
	v_mov_b32_e32 v7, 0
	s_and_saveexec_b32 s7, s5
	s_cbranch_execnz .LBB7_1929
	s_branch .LBB7_1930
.LBB7_2154:
	s_or_b32 s1, s1, exec_lo
	s_trap 2
	s_cbranch_execz .LBB7_1976
	s_branch .LBB7_1977
.LBB7_2155:
	s_andn2_saveexec_b32 s5, s5
	s_cbranch_execz .LBB7_1941
.LBB7_2156:
	v_add_f32_e64 v3, 0x42800000, |v2|
	s_andn2_b32 s4, s4, exec_lo
	v_and_b32_e32 v3, 0xff, v3
	v_cmp_ne_u32_e32 vcc_lo, 0, v3
	s_and_b32 s7, vcc_lo, exec_lo
	s_or_b32 s4, s4, s7
	s_or_b32 exec_lo, exec_lo, s5
	v_mov_b32_e32 v7, 0
	s_and_saveexec_b32 s5, s4
	s_cbranch_execnz .LBB7_1942
	s_branch .LBB7_1943
.LBB7_2157:
	s_andn2_saveexec_b32 s7, s7
	s_cbranch_execz .LBB7_2048
.LBB7_2158:
	v_add_f32_e64 v3, 0x46000000, |v2|
	s_andn2_b32 s5, s5, exec_lo
	v_and_b32_e32 v3, 0xff, v3
	v_cmp_ne_u32_e32 vcc_lo, 0, v3
	s_and_b32 s8, vcc_lo, exec_lo
	s_or_b32 s5, s5, s8
	s_or_b32 exec_lo, exec_lo, s7
	v_mov_b32_e32 v6, 0
	s_and_saveexec_b32 s7, s5
	s_cbranch_execnz .LBB7_2049
	s_branch .LBB7_2050
.LBB7_2159:
	s_mov_b32 s3, 0
	s_or_b32 s1, s1, exec_lo
	s_trap 2
	s_branch .LBB7_2094
.LBB7_2160:
	s_andn2_saveexec_b32 s5, s5
	s_cbranch_execz .LBB7_2060
.LBB7_2161:
	v_add_f32_e64 v3, 0x42800000, |v2|
	s_andn2_b32 s4, s4, exec_lo
	v_and_b32_e32 v3, 0xff, v3
	v_cmp_ne_u32_e32 vcc_lo, 0, v3
	s_and_b32 s7, vcc_lo, exec_lo
	s_or_b32 s4, s4, s7
	s_or_b32 exec_lo, exec_lo, s5
	v_mov_b32_e32 v6, 0
	s_and_saveexec_b32 s5, s4
	s_cbranch_execnz .LBB7_2061
	s_branch .LBB7_2062
	.section	.rodata,"a",@progbits
	.p2align	6, 0x0
	.amdhsa_kernel _ZN2at6native32elementwise_kernel_manual_unrollILi128ELi4EZNS0_15gpu_kernel_implIZZZNS0_16atan_kernel_cudaERNS_18TensorIteratorBaseEENKUlvE0_clEvENKUlvE_clEvEUldE_EEvS4_RKT_EUlibE0_EEviT1_
		.amdhsa_group_segment_fixed_size 0
		.amdhsa_private_segment_fixed_size 0
		.amdhsa_kernarg_size 360
		.amdhsa_user_sgpr_count 6
		.amdhsa_user_sgpr_private_segment_buffer 1
		.amdhsa_user_sgpr_dispatch_ptr 0
		.amdhsa_user_sgpr_queue_ptr 0
		.amdhsa_user_sgpr_kernarg_segment_ptr 1
		.amdhsa_user_sgpr_dispatch_id 0
		.amdhsa_user_sgpr_flat_scratch_init 0
		.amdhsa_user_sgpr_private_segment_size 0
		.amdhsa_wavefront_size32 1
		.amdhsa_uses_dynamic_stack 0
		.amdhsa_system_sgpr_private_segment_wavefront_offset 0
		.amdhsa_system_sgpr_workgroup_id_x 1
		.amdhsa_system_sgpr_workgroup_id_y 0
		.amdhsa_system_sgpr_workgroup_id_z 0
		.amdhsa_system_sgpr_workgroup_info 0
		.amdhsa_system_vgpr_workitem_id 0
		.amdhsa_next_free_vgpr 25
		.amdhsa_next_free_sgpr 68
		.amdhsa_reserve_vcc 1
		.amdhsa_reserve_flat_scratch 0
		.amdhsa_float_round_mode_32 0
		.amdhsa_float_round_mode_16_64 0
		.amdhsa_float_denorm_mode_32 3
		.amdhsa_float_denorm_mode_16_64 3
		.amdhsa_dx10_clamp 1
		.amdhsa_ieee_mode 1
		.amdhsa_fp16_overflow 0
		.amdhsa_workgroup_processor_mode 1
		.amdhsa_memory_ordered 1
		.amdhsa_forward_progress 1
		.amdhsa_shared_vgpr_count 0
		.amdhsa_exception_fp_ieee_invalid_op 0
		.amdhsa_exception_fp_denorm_src 0
		.amdhsa_exception_fp_ieee_div_zero 0
		.amdhsa_exception_fp_ieee_overflow 0
		.amdhsa_exception_fp_ieee_underflow 0
		.amdhsa_exception_fp_ieee_inexact 0
		.amdhsa_exception_int_div_zero 0
	.end_amdhsa_kernel
	.section	.text._ZN2at6native32elementwise_kernel_manual_unrollILi128ELi4EZNS0_15gpu_kernel_implIZZZNS0_16atan_kernel_cudaERNS_18TensorIteratorBaseEENKUlvE0_clEvENKUlvE_clEvEUldE_EEvS4_RKT_EUlibE0_EEviT1_,"axG",@progbits,_ZN2at6native32elementwise_kernel_manual_unrollILi128ELi4EZNS0_15gpu_kernel_implIZZZNS0_16atan_kernel_cudaERNS_18TensorIteratorBaseEENKUlvE0_clEvENKUlvE_clEvEUldE_EEvS4_RKT_EUlibE0_EEviT1_,comdat
.Lfunc_end7:
	.size	_ZN2at6native32elementwise_kernel_manual_unrollILi128ELi4EZNS0_15gpu_kernel_implIZZZNS0_16atan_kernel_cudaERNS_18TensorIteratorBaseEENKUlvE0_clEvENKUlvE_clEvEUldE_EEvS4_RKT_EUlibE0_EEviT1_, .Lfunc_end7-_ZN2at6native32elementwise_kernel_manual_unrollILi128ELi4EZNS0_15gpu_kernel_implIZZZNS0_16atan_kernel_cudaERNS_18TensorIteratorBaseEENKUlvE0_clEvENKUlvE_clEvEUldE_EEvS4_RKT_EUlibE0_EEviT1_
                                        ; -- End function
	.set _ZN2at6native32elementwise_kernel_manual_unrollILi128ELi4EZNS0_15gpu_kernel_implIZZZNS0_16atan_kernel_cudaERNS_18TensorIteratorBaseEENKUlvE0_clEvENKUlvE_clEvEUldE_EEvS4_RKT_EUlibE0_EEviT1_.num_vgpr, 25
	.set _ZN2at6native32elementwise_kernel_manual_unrollILi128ELi4EZNS0_15gpu_kernel_implIZZZNS0_16atan_kernel_cudaERNS_18TensorIteratorBaseEENKUlvE0_clEvENKUlvE_clEvEUldE_EEvS4_RKT_EUlibE0_EEviT1_.num_agpr, 0
	.set _ZN2at6native32elementwise_kernel_manual_unrollILi128ELi4EZNS0_15gpu_kernel_implIZZZNS0_16atan_kernel_cudaERNS_18TensorIteratorBaseEENKUlvE0_clEvENKUlvE_clEvEUldE_EEvS4_RKT_EUlibE0_EEviT1_.numbered_sgpr, 68
	.set _ZN2at6native32elementwise_kernel_manual_unrollILi128ELi4EZNS0_15gpu_kernel_implIZZZNS0_16atan_kernel_cudaERNS_18TensorIteratorBaseEENKUlvE0_clEvENKUlvE_clEvEUldE_EEvS4_RKT_EUlibE0_EEviT1_.num_named_barrier, 0
	.set _ZN2at6native32elementwise_kernel_manual_unrollILi128ELi4EZNS0_15gpu_kernel_implIZZZNS0_16atan_kernel_cudaERNS_18TensorIteratorBaseEENKUlvE0_clEvENKUlvE_clEvEUldE_EEvS4_RKT_EUlibE0_EEviT1_.private_seg_size, 0
	.set _ZN2at6native32elementwise_kernel_manual_unrollILi128ELi4EZNS0_15gpu_kernel_implIZZZNS0_16atan_kernel_cudaERNS_18TensorIteratorBaseEENKUlvE0_clEvENKUlvE_clEvEUldE_EEvS4_RKT_EUlibE0_EEviT1_.uses_vcc, 1
	.set _ZN2at6native32elementwise_kernel_manual_unrollILi128ELi4EZNS0_15gpu_kernel_implIZZZNS0_16atan_kernel_cudaERNS_18TensorIteratorBaseEENKUlvE0_clEvENKUlvE_clEvEUldE_EEvS4_RKT_EUlibE0_EEviT1_.uses_flat_scratch, 0
	.set _ZN2at6native32elementwise_kernel_manual_unrollILi128ELi4EZNS0_15gpu_kernel_implIZZZNS0_16atan_kernel_cudaERNS_18TensorIteratorBaseEENKUlvE0_clEvENKUlvE_clEvEUldE_EEvS4_RKT_EUlibE0_EEviT1_.has_dyn_sized_stack, 0
	.set _ZN2at6native32elementwise_kernel_manual_unrollILi128ELi4EZNS0_15gpu_kernel_implIZZZNS0_16atan_kernel_cudaERNS_18TensorIteratorBaseEENKUlvE0_clEvENKUlvE_clEvEUldE_EEvS4_RKT_EUlibE0_EEviT1_.has_recursion, 0
	.set _ZN2at6native32elementwise_kernel_manual_unrollILi128ELi4EZNS0_15gpu_kernel_implIZZZNS0_16atan_kernel_cudaERNS_18TensorIteratorBaseEENKUlvE0_clEvENKUlvE_clEvEUldE_EEvS4_RKT_EUlibE0_EEviT1_.has_indirect_call, 0
	.section	.AMDGPU.csdata,"",@progbits
; Kernel info:
; codeLenInByte = 45520
; TotalNumSgprs: 70
; NumVgprs: 25
; ScratchSize: 0
; MemoryBound: 1
; FloatMode: 240
; IeeeMode: 1
; LDSByteSize: 0 bytes/workgroup (compile time only)
; SGPRBlocks: 0
; VGPRBlocks: 3
; NumSGPRsForWavesPerEU: 70
; NumVGPRsForWavesPerEU: 25
; Occupancy: 16
; WaveLimiterHint : 1
; COMPUTE_PGM_RSRC2:SCRATCH_EN: 0
; COMPUTE_PGM_RSRC2:USER_SGPR: 6
; COMPUTE_PGM_RSRC2:TRAP_HANDLER: 0
; COMPUTE_PGM_RSRC2:TGID_X_EN: 1
; COMPUTE_PGM_RSRC2:TGID_Y_EN: 0
; COMPUTE_PGM_RSRC2:TGID_Z_EN: 0
; COMPUTE_PGM_RSRC2:TIDIG_COMP_CNT: 0
	.section	.text._ZN2at6native29vectorized_elementwise_kernelILi16EZZZNS0_16atan_kernel_cudaERNS_18TensorIteratorBaseEENKUlvE0_clEvENKUlvE0_clEvEUlfE_St5arrayIPcLm2EEEEviT0_T1_,"axG",@progbits,_ZN2at6native29vectorized_elementwise_kernelILi16EZZZNS0_16atan_kernel_cudaERNS_18TensorIteratorBaseEENKUlvE0_clEvENKUlvE0_clEvEUlfE_St5arrayIPcLm2EEEEviT0_T1_,comdat
	.globl	_ZN2at6native29vectorized_elementwise_kernelILi16EZZZNS0_16atan_kernel_cudaERNS_18TensorIteratorBaseEENKUlvE0_clEvENKUlvE0_clEvEUlfE_St5arrayIPcLm2EEEEviT0_T1_ ; -- Begin function _ZN2at6native29vectorized_elementwise_kernelILi16EZZZNS0_16atan_kernel_cudaERNS_18TensorIteratorBaseEENKUlvE0_clEvENKUlvE0_clEvEUlfE_St5arrayIPcLm2EEEEviT0_T1_
	.p2align	8
	.type	_ZN2at6native29vectorized_elementwise_kernelILi16EZZZNS0_16atan_kernel_cudaERNS_18TensorIteratorBaseEENKUlvE0_clEvENKUlvE0_clEvEUlfE_St5arrayIPcLm2EEEEviT0_T1_,@function
_ZN2at6native29vectorized_elementwise_kernelILi16EZZZNS0_16atan_kernel_cudaERNS_18TensorIteratorBaseEENKUlvE0_clEvENKUlvE0_clEvEUlfE_St5arrayIPcLm2EEEEviT0_T1_: ; @_ZN2at6native29vectorized_elementwise_kernelILi16EZZZNS0_16atan_kernel_cudaERNS_18TensorIteratorBaseEENKUlvE0_clEvENKUlvE0_clEvEUlfE_St5arrayIPcLm2EEEEviT0_T1_
; %bb.0:
	s_clause 0x1
	s_load_dword s0, s[4:5], 0x0
	s_load_dwordx4 s[8:11], s[4:5], 0x8
	s_lshl_b32 s4, s6, 10
	s_waitcnt lgkmcnt(0)
	s_sub_i32 s3, s0, s4
	s_mov_b32 s0, -1
	s_cmpk_gt_i32 s3, 0x3ff
	s_cbranch_scc0 .LBB8_2
; %bb.1:
	s_ashr_i32 s5, s4, 31
	v_lshlrev_b32_e32 v5, 4, v0
	s_lshl_b64 s[6:7], s[4:5], 2
	s_mov_b32 s5, 0x3b2d2a58
	s_add_u32 s0, s10, s6
	s_addc_u32 s1, s11, s7
	s_add_u32 s6, s8, s6
	global_load_dwordx4 v[1:4], v5, s[0:1]
	s_addc_u32 s7, s9, s7
	s_waitcnt vmcnt(0)
	v_rcp_f32_e64 v6, |v1|
	v_rcp_f32_e64 v7, |v2|
	;; [unrolled: 1-line block ×4, first 2 shown]
	v_cmp_gt_f32_e64 vcc_lo, |v1|, 1.0
	v_cmp_gt_f32_e64 s0, |v2|, 1.0
	v_cmp_gt_f32_e64 s1, |v3|, 1.0
	;; [unrolled: 1-line block ×3, first 2 shown]
	v_cndmask_b32_e64 v6, |v1|, v6, vcc_lo
	v_cndmask_b32_e64 v7, |v2|, v7, s0
	v_cndmask_b32_e64 v8, |v3|, v8, s1
	;; [unrolled: 1-line block ×3, first 2 shown]
	v_mul_f32_e32 v10, v6, v6
	v_mul_f32_e32 v11, v7, v7
	;; [unrolled: 1-line block ×4, first 2 shown]
	v_fmaak_f32 v14, s5, v10, 0xbc7a590c
	v_fmaak_f32 v15, s5, v11, 0xbc7a590c
	;; [unrolled: 1-line block ×28, first 2 shown]
	v_mul_f32_e32 v10, v10, v14
	v_mul_f32_e32 v11, v11, v15
	v_mul_f32_e32 v12, v12, v16
	v_mul_f32_e32 v13, v13, v17
	v_fmac_f32_e32 v6, v6, v10
	v_fmac_f32_e32 v7, v7, v11
	v_fmac_f32_e32 v8, v8, v12
	v_fmac_f32_e32 v9, v9, v13
	v_sub_f32_e32 v10, 0x3fc90fdb, v6
	v_sub_f32_e32 v11, 0x3fc90fdb, v7
	;; [unrolled: 1-line block ×4, first 2 shown]
	v_cndmask_b32_e32 v6, v6, v10, vcc_lo
	v_cndmask_b32_e64 v7, v7, v11, s0
	v_cndmask_b32_e64 v8, v8, v12, s1
	v_cndmask_b32_e64 v9, v9, v13, s2
	s_mov_b32 s0, 0
	v_bfi_b32 v1, 0x7fffffff, v6, v1
	v_bfi_b32 v2, 0x7fffffff, v7, v2
	;; [unrolled: 1-line block ×4, first 2 shown]
	global_store_dwordx4 v5, v[1:4], s[6:7]
.LBB8_2:
	s_andn2_b32 vcc_lo, exec_lo, s0
	s_cbranch_vccnz .LBB8_23
; %bb.3:
	v_cmp_gt_i32_e32 vcc_lo, s3, v0
	v_mov_b32_e32 v8, 0
	v_or_b32_e32 v5, s4, v0
	v_or_b32_e32 v7, 0x100, v0
	v_mov_b32_e32 v10, 0
	v_mov_b32_e32 v1, v0
	s_and_saveexec_b32 s1, vcc_lo
	s_cbranch_execz .LBB8_5
; %bb.4:
	v_mov_b32_e32 v6, 0
	v_lshlrev_b64 v[1:2], 2, v[5:6]
	v_add_co_u32 v1, s0, s10, v1
	v_add_co_ci_u32_e64 v2, null, s11, v2, s0
	global_load_dword v10, v[1:2], off
	v_or_b32_e32 v1, 0x100, v0
.LBB8_5:
	s_or_b32 exec_lo, exec_lo, s1
	s_mov_b32 s1, exec_lo
	v_cmpx_gt_i32_e64 s3, v1
	s_cbranch_execz .LBB8_7
; %bb.6:
	v_add_nc_u32_e32 v2, s4, v1
	v_mov_b32_e32 v3, 0
	v_add_nc_u32_e32 v1, 0x100, v1
	v_lshlrev_b64 v[2:3], 2, v[2:3]
	v_add_co_u32 v2, s0, s10, v2
	v_add_co_ci_u32_e64 v3, null, s11, v3, s0
	global_load_dword v8, v[2:3], off
.LBB8_7:
	s_or_b32 exec_lo, exec_lo, s1
	v_mov_b32_e32 v6, 0
	v_mov_b32_e32 v9, 0
	s_mov_b32 s1, exec_lo
	v_cmpx_gt_i32_e64 s3, v1
	s_cbranch_execz .LBB8_9
; %bb.8:
	v_add_nc_u32_e32 v2, s4, v1
	v_mov_b32_e32 v3, 0
	v_add_nc_u32_e32 v1, 0x100, v1
	v_lshlrev_b64 v[2:3], 2, v[2:3]
	v_add_co_u32 v2, s0, s10, v2
	v_add_co_ci_u32_e64 v3, null, s11, v3, s0
	global_load_dword v9, v[2:3], off
.LBB8_9:
	s_or_b32 exec_lo, exec_lo, s1
	s_mov_b32 s1, exec_lo
	v_cmpx_gt_i32_e64 s3, v1
	s_cbranch_execz .LBB8_11
; %bb.10:
	v_add_nc_u32_e32 v1, s4, v1
	v_mov_b32_e32 v2, 0
	v_lshlrev_b64 v[1:2], 2, v[1:2]
	v_add_co_u32 v1, s0, s10, v1
	v_add_co_ci_u32_e64 v2, null, s11, v2, s0
	global_load_dword v6, v[1:2], off
.LBB8_11:
	s_or_b32 exec_lo, exec_lo, s1
	v_mov_b32_e32 v1, 0
	v_mov_b32_e32 v2, v1
	;; [unrolled: 1-line block ×4, first 2 shown]
	s_and_saveexec_b32 s1, vcc_lo
	s_cbranch_execz .LBB8_13
; %bb.12:
	s_waitcnt vmcnt(0)
	v_rcp_f32_e64 v2, |v10|
	v_cmp_gt_f32_e64 s0, |v10|, 1.0
	s_mov_b32 s2, 0x3b2d2a58
	v_mov_b32_e32 v11, v1
	v_mov_b32_e32 v12, v1
	;; [unrolled: 1-line block ×3, first 2 shown]
	v_cndmask_b32_e64 v2, |v10|, v2, s0
	v_mul_f32_e32 v3, v2, v2
	v_fmaak_f32 v4, s2, v3, 0xbc7a590c
	v_fmaak_f32 v4, v3, v4, 0x3d29fb3f
	v_fmaak_f32 v4, v3, v4, 0xbd97d4d7
	v_fmaak_f32 v4, v3, v4, 0x3dd931b2
	v_fmaak_f32 v4, v3, v4, 0xbe1160e6
	v_fmaak_f32 v4, v3, v4, 0x3e4cb8bf
	v_fmaak_f32 v4, v3, v4, 0xbeaaaa62
	v_mul_f32_e32 v3, v3, v4
	v_fmac_f32_e32 v2, v2, v3
	v_sub_f32_e32 v3, 0x3fc90fdb, v2
	v_cndmask_b32_e64 v2, v2, v3, s0
	v_bfi_b32 v10, 0x7fffffff, v2, v10
	v_mov_b32_e32 v1, v10
	v_mov_b32_e32 v2, v11
	;; [unrolled: 1-line block ×4, first 2 shown]
.LBB8_13:
	s_or_b32 exec_lo, exec_lo, s1
	s_mov_b32 s1, exec_lo
	v_cmpx_gt_i32_e64 s3, v7
	s_cbranch_execz .LBB8_15
; %bb.14:
	s_waitcnt vmcnt(0)
	v_rcp_f32_e64 v2, |v8|
	v_cmp_gt_f32_e64 s0, |v8|, 1.0
	s_mov_b32 s2, 0x3b2d2a58
	v_cndmask_b32_e64 v2, |v8|, v2, s0
	v_mul_f32_e32 v10, v2, v2
	v_fmaak_f32 v11, s2, v10, 0xbc7a590c
	v_fmaak_f32 v11, v10, v11, 0x3d29fb3f
	;; [unrolled: 1-line block ×7, first 2 shown]
	v_mul_f32_e32 v10, v10, v11
	v_fmac_f32_e32 v2, v2, v10
	v_sub_f32_e32 v10, 0x3fc90fdb, v2
	v_cndmask_b32_e64 v2, v2, v10, s0
	v_bfi_b32 v2, 0x7fffffff, v2, v8
.LBB8_15:
	s_or_b32 exec_lo, exec_lo, s1
	s_waitcnt vmcnt(0)
	v_or_b32_e32 v8, 0x200, v0
	s_mov_b32 s1, exec_lo
	v_cmpx_gt_i32_e64 s3, v8
	s_cbranch_execz .LBB8_17
; %bb.16:
	v_rcp_f32_e64 v3, |v9|
	v_cmp_gt_f32_e64 s0, |v9|, 1.0
	s_mov_b32 s2, 0x3b2d2a58
	v_cndmask_b32_e64 v3, |v9|, v3, s0
	v_mul_f32_e32 v8, v3, v3
	v_fmaak_f32 v10, s2, v8, 0xbc7a590c
	v_fmaak_f32 v10, v8, v10, 0x3d29fb3f
	v_fmaak_f32 v10, v8, v10, 0xbd97d4d7
	v_fmaak_f32 v10, v8, v10, 0x3dd931b2
	v_fmaak_f32 v10, v8, v10, 0xbe1160e6
	v_fmaak_f32 v10, v8, v10, 0x3e4cb8bf
	v_fmaak_f32 v10, v8, v10, 0xbeaaaa62
	v_mul_f32_e32 v8, v8, v10
	v_fmac_f32_e32 v3, v3, v8
	v_sub_f32_e32 v8, 0x3fc90fdb, v3
	v_cndmask_b32_e64 v3, v3, v8, s0
	v_bfi_b32 v3, 0x7fffffff, v3, v9
.LBB8_17:
	s_or_b32 exec_lo, exec_lo, s1
	v_or_b32_e32 v8, 0x300, v0
	s_mov_b32 s1, exec_lo
	v_cmpx_gt_i32_e64 s3, v8
	s_cbranch_execnz .LBB8_24
; %bb.18:
	s_or_b32 exec_lo, exec_lo, s1
	s_and_saveexec_b32 s0, vcc_lo
	s_xor_b32 s0, exec_lo, s0
	s_cbranch_execnz .LBB8_25
.LBB8_19:
	s_or_b32 exec_lo, exec_lo, s0
	s_mov_b32 s0, exec_lo
	v_cmpx_gt_i32_e64 s3, v0
	s_cbranch_execnz .LBB8_26
.LBB8_20:
	s_or_b32 exec_lo, exec_lo, s0
	s_mov_b32 s0, exec_lo
	v_cmpx_gt_i32_e64 s3, v0
	s_cbranch_execnz .LBB8_27
.LBB8_21:
	s_or_b32 exec_lo, exec_lo, s0
	s_mov_b32 s0, exec_lo
	v_cmpx_gt_i32_e64 s3, v0
	s_cbranch_execz .LBB8_23
.LBB8_22:
	v_add_nc_u32_e32 v0, s4, v0
	v_mov_b32_e32 v1, 0
	v_lshlrev_b64 v[0:1], 2, v[0:1]
	v_add_co_u32 v0, vcc_lo, s8, v0
	v_add_co_ci_u32_e64 v1, null, s9, v1, vcc_lo
	global_store_dword v[0:1], v4, off
.LBB8_23:
	s_endpgm
.LBB8_24:
	v_rcp_f32_e64 v4, |v6|
	v_cmp_gt_f32_e64 s0, |v6|, 1.0
	s_mov_b32 s2, 0x3b2d2a58
	v_cndmask_b32_e64 v4, |v6|, v4, s0
	v_mul_f32_e32 v8, v4, v4
	v_fmaak_f32 v9, s2, v8, 0xbc7a590c
	v_fmaak_f32 v9, v8, v9, 0x3d29fb3f
	;; [unrolled: 1-line block ×7, first 2 shown]
	v_mul_f32_e32 v8, v8, v9
	v_fmac_f32_e32 v4, v4, v8
	v_sub_f32_e32 v8, 0x3fc90fdb, v4
	v_cndmask_b32_e64 v4, v4, v8, s0
	v_bfi_b32 v4, 0x7fffffff, v4, v6
	s_or_b32 exec_lo, exec_lo, s1
	s_and_saveexec_b32 s0, vcc_lo
	s_xor_b32 s0, exec_lo, s0
	s_cbranch_execz .LBB8_19
.LBB8_25:
	v_mov_b32_e32 v6, 0
	v_mov_b32_e32 v0, v7
	v_lshlrev_b64 v[5:6], 2, v[5:6]
	v_add_co_u32 v5, vcc_lo, s8, v5
	v_add_co_ci_u32_e64 v6, null, s9, v6, vcc_lo
	global_store_dword v[5:6], v1, off
	s_or_b32 exec_lo, exec_lo, s0
	s_mov_b32 s0, exec_lo
	v_cmpx_gt_i32_e64 s3, v0
	s_cbranch_execz .LBB8_20
.LBB8_26:
	v_add_nc_u32_e32 v5, s4, v0
	v_mov_b32_e32 v6, 0
	v_add_nc_u32_e32 v0, 0x100, v0
	v_lshlrev_b64 v[5:6], 2, v[5:6]
	v_add_co_u32 v5, vcc_lo, s8, v5
	v_add_co_ci_u32_e64 v6, null, s9, v6, vcc_lo
	global_store_dword v[5:6], v2, off
	s_or_b32 exec_lo, exec_lo, s0
	s_mov_b32 s0, exec_lo
	v_cmpx_gt_i32_e64 s3, v0
	s_cbranch_execz .LBB8_21
.LBB8_27:
	v_add_nc_u32_e32 v1, s4, v0
	v_mov_b32_e32 v2, 0
	v_add_nc_u32_e32 v0, 0x100, v0
	v_lshlrev_b64 v[1:2], 2, v[1:2]
	v_add_co_u32 v1, vcc_lo, s8, v1
	v_add_co_ci_u32_e64 v2, null, s9, v2, vcc_lo
	global_store_dword v[1:2], v3, off
	s_or_b32 exec_lo, exec_lo, s0
	s_mov_b32 s0, exec_lo
	v_cmpx_gt_i32_e64 s3, v0
	s_cbranch_execnz .LBB8_22
	s_branch .LBB8_23
	.section	.rodata,"a",@progbits
	.p2align	6, 0x0
	.amdhsa_kernel _ZN2at6native29vectorized_elementwise_kernelILi16EZZZNS0_16atan_kernel_cudaERNS_18TensorIteratorBaseEENKUlvE0_clEvENKUlvE0_clEvEUlfE_St5arrayIPcLm2EEEEviT0_T1_
		.amdhsa_group_segment_fixed_size 0
		.amdhsa_private_segment_fixed_size 0
		.amdhsa_kernarg_size 24
		.amdhsa_user_sgpr_count 6
		.amdhsa_user_sgpr_private_segment_buffer 1
		.amdhsa_user_sgpr_dispatch_ptr 0
		.amdhsa_user_sgpr_queue_ptr 0
		.amdhsa_user_sgpr_kernarg_segment_ptr 1
		.amdhsa_user_sgpr_dispatch_id 0
		.amdhsa_user_sgpr_flat_scratch_init 0
		.amdhsa_user_sgpr_private_segment_size 0
		.amdhsa_wavefront_size32 1
		.amdhsa_uses_dynamic_stack 0
		.amdhsa_system_sgpr_private_segment_wavefront_offset 0
		.amdhsa_system_sgpr_workgroup_id_x 1
		.amdhsa_system_sgpr_workgroup_id_y 0
		.amdhsa_system_sgpr_workgroup_id_z 0
		.amdhsa_system_sgpr_workgroup_info 0
		.amdhsa_system_vgpr_workitem_id 0
		.amdhsa_next_free_vgpr 18
		.amdhsa_next_free_sgpr 12
		.amdhsa_reserve_vcc 1
		.amdhsa_reserve_flat_scratch 0
		.amdhsa_float_round_mode_32 0
		.amdhsa_float_round_mode_16_64 0
		.amdhsa_float_denorm_mode_32 3
		.amdhsa_float_denorm_mode_16_64 3
		.amdhsa_dx10_clamp 1
		.amdhsa_ieee_mode 1
		.amdhsa_fp16_overflow 0
		.amdhsa_workgroup_processor_mode 1
		.amdhsa_memory_ordered 1
		.amdhsa_forward_progress 1
		.amdhsa_shared_vgpr_count 0
		.amdhsa_exception_fp_ieee_invalid_op 0
		.amdhsa_exception_fp_denorm_src 0
		.amdhsa_exception_fp_ieee_div_zero 0
		.amdhsa_exception_fp_ieee_overflow 0
		.amdhsa_exception_fp_ieee_underflow 0
		.amdhsa_exception_fp_ieee_inexact 0
		.amdhsa_exception_int_div_zero 0
	.end_amdhsa_kernel
	.section	.text._ZN2at6native29vectorized_elementwise_kernelILi16EZZZNS0_16atan_kernel_cudaERNS_18TensorIteratorBaseEENKUlvE0_clEvENKUlvE0_clEvEUlfE_St5arrayIPcLm2EEEEviT0_T1_,"axG",@progbits,_ZN2at6native29vectorized_elementwise_kernelILi16EZZZNS0_16atan_kernel_cudaERNS_18TensorIteratorBaseEENKUlvE0_clEvENKUlvE0_clEvEUlfE_St5arrayIPcLm2EEEEviT0_T1_,comdat
.Lfunc_end8:
	.size	_ZN2at6native29vectorized_elementwise_kernelILi16EZZZNS0_16atan_kernel_cudaERNS_18TensorIteratorBaseEENKUlvE0_clEvENKUlvE0_clEvEUlfE_St5arrayIPcLm2EEEEviT0_T1_, .Lfunc_end8-_ZN2at6native29vectorized_elementwise_kernelILi16EZZZNS0_16atan_kernel_cudaERNS_18TensorIteratorBaseEENKUlvE0_clEvENKUlvE0_clEvEUlfE_St5arrayIPcLm2EEEEviT0_T1_
                                        ; -- End function
	.set _ZN2at6native29vectorized_elementwise_kernelILi16EZZZNS0_16atan_kernel_cudaERNS_18TensorIteratorBaseEENKUlvE0_clEvENKUlvE0_clEvEUlfE_St5arrayIPcLm2EEEEviT0_T1_.num_vgpr, 18
	.set _ZN2at6native29vectorized_elementwise_kernelILi16EZZZNS0_16atan_kernel_cudaERNS_18TensorIteratorBaseEENKUlvE0_clEvENKUlvE0_clEvEUlfE_St5arrayIPcLm2EEEEviT0_T1_.num_agpr, 0
	.set _ZN2at6native29vectorized_elementwise_kernelILi16EZZZNS0_16atan_kernel_cudaERNS_18TensorIteratorBaseEENKUlvE0_clEvENKUlvE0_clEvEUlfE_St5arrayIPcLm2EEEEviT0_T1_.numbered_sgpr, 12
	.set _ZN2at6native29vectorized_elementwise_kernelILi16EZZZNS0_16atan_kernel_cudaERNS_18TensorIteratorBaseEENKUlvE0_clEvENKUlvE0_clEvEUlfE_St5arrayIPcLm2EEEEviT0_T1_.num_named_barrier, 0
	.set _ZN2at6native29vectorized_elementwise_kernelILi16EZZZNS0_16atan_kernel_cudaERNS_18TensorIteratorBaseEENKUlvE0_clEvENKUlvE0_clEvEUlfE_St5arrayIPcLm2EEEEviT0_T1_.private_seg_size, 0
	.set _ZN2at6native29vectorized_elementwise_kernelILi16EZZZNS0_16atan_kernel_cudaERNS_18TensorIteratorBaseEENKUlvE0_clEvENKUlvE0_clEvEUlfE_St5arrayIPcLm2EEEEviT0_T1_.uses_vcc, 1
	.set _ZN2at6native29vectorized_elementwise_kernelILi16EZZZNS0_16atan_kernel_cudaERNS_18TensorIteratorBaseEENKUlvE0_clEvENKUlvE0_clEvEUlfE_St5arrayIPcLm2EEEEviT0_T1_.uses_flat_scratch, 0
	.set _ZN2at6native29vectorized_elementwise_kernelILi16EZZZNS0_16atan_kernel_cudaERNS_18TensorIteratorBaseEENKUlvE0_clEvENKUlvE0_clEvEUlfE_St5arrayIPcLm2EEEEviT0_T1_.has_dyn_sized_stack, 0
	.set _ZN2at6native29vectorized_elementwise_kernelILi16EZZZNS0_16atan_kernel_cudaERNS_18TensorIteratorBaseEENKUlvE0_clEvENKUlvE0_clEvEUlfE_St5arrayIPcLm2EEEEviT0_T1_.has_recursion, 0
	.set _ZN2at6native29vectorized_elementwise_kernelILi16EZZZNS0_16atan_kernel_cudaERNS_18TensorIteratorBaseEENKUlvE0_clEvENKUlvE0_clEvEUlfE_St5arrayIPcLm2EEEEviT0_T1_.has_indirect_call, 0
	.section	.AMDGPU.csdata,"",@progbits
; Kernel info:
; codeLenInByte = 1864
; TotalNumSgprs: 14
; NumVgprs: 18
; ScratchSize: 0
; MemoryBound: 0
; FloatMode: 240
; IeeeMode: 1
; LDSByteSize: 0 bytes/workgroup (compile time only)
; SGPRBlocks: 0
; VGPRBlocks: 2
; NumSGPRsForWavesPerEU: 14
; NumVGPRsForWavesPerEU: 18
; Occupancy: 16
; WaveLimiterHint : 0
; COMPUTE_PGM_RSRC2:SCRATCH_EN: 0
; COMPUTE_PGM_RSRC2:USER_SGPR: 6
; COMPUTE_PGM_RSRC2:TRAP_HANDLER: 0
; COMPUTE_PGM_RSRC2:TGID_X_EN: 1
; COMPUTE_PGM_RSRC2:TGID_Y_EN: 0
; COMPUTE_PGM_RSRC2:TGID_Z_EN: 0
; COMPUTE_PGM_RSRC2:TIDIG_COMP_CNT: 0
	.section	.text._ZN2at6native29vectorized_elementwise_kernelILi8EZZZNS0_16atan_kernel_cudaERNS_18TensorIteratorBaseEENKUlvE0_clEvENKUlvE0_clEvEUlfE_St5arrayIPcLm2EEEEviT0_T1_,"axG",@progbits,_ZN2at6native29vectorized_elementwise_kernelILi8EZZZNS0_16atan_kernel_cudaERNS_18TensorIteratorBaseEENKUlvE0_clEvENKUlvE0_clEvEUlfE_St5arrayIPcLm2EEEEviT0_T1_,comdat
	.globl	_ZN2at6native29vectorized_elementwise_kernelILi8EZZZNS0_16atan_kernel_cudaERNS_18TensorIteratorBaseEENKUlvE0_clEvENKUlvE0_clEvEUlfE_St5arrayIPcLm2EEEEviT0_T1_ ; -- Begin function _ZN2at6native29vectorized_elementwise_kernelILi8EZZZNS0_16atan_kernel_cudaERNS_18TensorIteratorBaseEENKUlvE0_clEvENKUlvE0_clEvEUlfE_St5arrayIPcLm2EEEEviT0_T1_
	.p2align	8
	.type	_ZN2at6native29vectorized_elementwise_kernelILi8EZZZNS0_16atan_kernel_cudaERNS_18TensorIteratorBaseEENKUlvE0_clEvENKUlvE0_clEvEUlfE_St5arrayIPcLm2EEEEviT0_T1_,@function
_ZN2at6native29vectorized_elementwise_kernelILi8EZZZNS0_16atan_kernel_cudaERNS_18TensorIteratorBaseEENKUlvE0_clEvENKUlvE0_clEvEUlfE_St5arrayIPcLm2EEEEviT0_T1_: ; @_ZN2at6native29vectorized_elementwise_kernelILi8EZZZNS0_16atan_kernel_cudaERNS_18TensorIteratorBaseEENKUlvE0_clEvENKUlvE0_clEvEUlfE_St5arrayIPcLm2EEEEviT0_T1_
; %bb.0:
	s_clause 0x1
	s_load_dword s0, s[4:5], 0x0
	s_load_dwordx4 s[8:11], s[4:5], 0x8
	s_lshl_b32 s4, s6, 10
	s_waitcnt lgkmcnt(0)
	s_sub_i32 s3, s0, s4
	s_mov_b32 s0, -1
	s_cmpk_gt_i32 s3, 0x3ff
	s_cbranch_scc0 .LBB9_2
; %bb.1:
	s_ashr_i32 s5, s4, 31
	v_lshlrev_b32_e32 v5, 4, v0
	s_lshl_b64 s[6:7], s[4:5], 2
	s_mov_b32 s5, 0x3b2d2a58
	s_add_u32 s0, s10, s6
	s_addc_u32 s1, s11, s7
	s_add_u32 s6, s8, s6
	global_load_dwordx4 v[1:4], v5, s[0:1]
	s_addc_u32 s7, s9, s7
	s_waitcnt vmcnt(0)
	v_rcp_f32_e64 v6, |v1|
	v_rcp_f32_e64 v7, |v2|
	;; [unrolled: 1-line block ×4, first 2 shown]
	v_cmp_gt_f32_e64 vcc_lo, |v1|, 1.0
	v_cmp_gt_f32_e64 s0, |v2|, 1.0
	v_cmp_gt_f32_e64 s1, |v3|, 1.0
	;; [unrolled: 1-line block ×3, first 2 shown]
	v_cndmask_b32_e64 v6, |v1|, v6, vcc_lo
	v_cndmask_b32_e64 v7, |v2|, v7, s0
	v_cndmask_b32_e64 v8, |v3|, v8, s1
	;; [unrolled: 1-line block ×3, first 2 shown]
	v_mul_f32_e32 v10, v6, v6
	v_mul_f32_e32 v11, v7, v7
	;; [unrolled: 1-line block ×4, first 2 shown]
	v_fmaak_f32 v14, s5, v10, 0xbc7a590c
	v_fmaak_f32 v15, s5, v11, 0xbc7a590c
	;; [unrolled: 1-line block ×28, first 2 shown]
	v_mul_f32_e32 v10, v10, v14
	v_mul_f32_e32 v11, v11, v15
	;; [unrolled: 1-line block ×4, first 2 shown]
	v_fmac_f32_e32 v6, v6, v10
	v_fmac_f32_e32 v7, v7, v11
	v_fmac_f32_e32 v8, v8, v12
	v_fmac_f32_e32 v9, v9, v13
	v_sub_f32_e32 v10, 0x3fc90fdb, v6
	v_sub_f32_e32 v11, 0x3fc90fdb, v7
	v_sub_f32_e32 v12, 0x3fc90fdb, v8
	v_sub_f32_e32 v13, 0x3fc90fdb, v9
	v_cndmask_b32_e32 v6, v6, v10, vcc_lo
	v_cndmask_b32_e64 v7, v7, v11, s0
	v_cndmask_b32_e64 v8, v8, v12, s1
	;; [unrolled: 1-line block ×3, first 2 shown]
	s_mov_b32 s0, 0
	v_bfi_b32 v1, 0x7fffffff, v6, v1
	v_bfi_b32 v2, 0x7fffffff, v7, v2
	;; [unrolled: 1-line block ×4, first 2 shown]
	global_store_dwordx4 v5, v[1:4], s[6:7]
.LBB9_2:
	s_andn2_b32 vcc_lo, exec_lo, s0
	s_cbranch_vccnz .LBB9_23
; %bb.3:
	v_cmp_gt_i32_e32 vcc_lo, s3, v0
	v_mov_b32_e32 v8, 0
	v_or_b32_e32 v5, s4, v0
	v_or_b32_e32 v7, 0x100, v0
	v_mov_b32_e32 v10, 0
	v_mov_b32_e32 v1, v0
	s_and_saveexec_b32 s1, vcc_lo
	s_cbranch_execz .LBB9_5
; %bb.4:
	v_mov_b32_e32 v6, 0
	v_lshlrev_b64 v[1:2], 2, v[5:6]
	v_add_co_u32 v1, s0, s10, v1
	v_add_co_ci_u32_e64 v2, null, s11, v2, s0
	global_load_dword v10, v[1:2], off
	v_or_b32_e32 v1, 0x100, v0
.LBB9_5:
	s_or_b32 exec_lo, exec_lo, s1
	s_mov_b32 s1, exec_lo
	v_cmpx_gt_i32_e64 s3, v1
	s_cbranch_execz .LBB9_7
; %bb.6:
	v_add_nc_u32_e32 v2, s4, v1
	v_mov_b32_e32 v3, 0
	v_add_nc_u32_e32 v1, 0x100, v1
	v_lshlrev_b64 v[2:3], 2, v[2:3]
	v_add_co_u32 v2, s0, s10, v2
	v_add_co_ci_u32_e64 v3, null, s11, v3, s0
	global_load_dword v8, v[2:3], off
.LBB9_7:
	s_or_b32 exec_lo, exec_lo, s1
	v_mov_b32_e32 v6, 0
	v_mov_b32_e32 v9, 0
	s_mov_b32 s1, exec_lo
	v_cmpx_gt_i32_e64 s3, v1
	s_cbranch_execz .LBB9_9
; %bb.8:
	v_add_nc_u32_e32 v2, s4, v1
	v_mov_b32_e32 v3, 0
	v_add_nc_u32_e32 v1, 0x100, v1
	v_lshlrev_b64 v[2:3], 2, v[2:3]
	v_add_co_u32 v2, s0, s10, v2
	v_add_co_ci_u32_e64 v3, null, s11, v3, s0
	global_load_dword v9, v[2:3], off
.LBB9_9:
	s_or_b32 exec_lo, exec_lo, s1
	s_mov_b32 s1, exec_lo
	v_cmpx_gt_i32_e64 s3, v1
	s_cbranch_execz .LBB9_11
; %bb.10:
	v_add_nc_u32_e32 v1, s4, v1
	v_mov_b32_e32 v2, 0
	v_lshlrev_b64 v[1:2], 2, v[1:2]
	v_add_co_u32 v1, s0, s10, v1
	v_add_co_ci_u32_e64 v2, null, s11, v2, s0
	global_load_dword v6, v[1:2], off
.LBB9_11:
	s_or_b32 exec_lo, exec_lo, s1
	v_mov_b32_e32 v1, 0
	v_mov_b32_e32 v2, v1
	;; [unrolled: 1-line block ×4, first 2 shown]
	s_and_saveexec_b32 s1, vcc_lo
	s_cbranch_execz .LBB9_13
; %bb.12:
	s_waitcnt vmcnt(0)
	v_rcp_f32_e64 v2, |v10|
	v_cmp_gt_f32_e64 s0, |v10|, 1.0
	s_mov_b32 s2, 0x3b2d2a58
	v_mov_b32_e32 v11, v1
	v_mov_b32_e32 v12, v1
	;; [unrolled: 1-line block ×3, first 2 shown]
	v_cndmask_b32_e64 v2, |v10|, v2, s0
	v_mul_f32_e32 v3, v2, v2
	v_fmaak_f32 v4, s2, v3, 0xbc7a590c
	v_fmaak_f32 v4, v3, v4, 0x3d29fb3f
	;; [unrolled: 1-line block ×7, first 2 shown]
	v_mul_f32_e32 v3, v3, v4
	v_fmac_f32_e32 v2, v2, v3
	v_sub_f32_e32 v3, 0x3fc90fdb, v2
	v_cndmask_b32_e64 v2, v2, v3, s0
	v_bfi_b32 v10, 0x7fffffff, v2, v10
	v_mov_b32_e32 v1, v10
	v_mov_b32_e32 v2, v11
	v_mov_b32_e32 v3, v12
	v_mov_b32_e32 v4, v13
.LBB9_13:
	s_or_b32 exec_lo, exec_lo, s1
	s_mov_b32 s1, exec_lo
	v_cmpx_gt_i32_e64 s3, v7
	s_cbranch_execz .LBB9_15
; %bb.14:
	s_waitcnt vmcnt(0)
	v_rcp_f32_e64 v2, |v8|
	v_cmp_gt_f32_e64 s0, |v8|, 1.0
	s_mov_b32 s2, 0x3b2d2a58
	v_cndmask_b32_e64 v2, |v8|, v2, s0
	v_mul_f32_e32 v10, v2, v2
	v_fmaak_f32 v11, s2, v10, 0xbc7a590c
	v_fmaak_f32 v11, v10, v11, 0x3d29fb3f
	;; [unrolled: 1-line block ×7, first 2 shown]
	v_mul_f32_e32 v10, v10, v11
	v_fmac_f32_e32 v2, v2, v10
	v_sub_f32_e32 v10, 0x3fc90fdb, v2
	v_cndmask_b32_e64 v2, v2, v10, s0
	v_bfi_b32 v2, 0x7fffffff, v2, v8
.LBB9_15:
	s_or_b32 exec_lo, exec_lo, s1
	s_waitcnt vmcnt(0)
	v_or_b32_e32 v8, 0x200, v0
	s_mov_b32 s1, exec_lo
	v_cmpx_gt_i32_e64 s3, v8
	s_cbranch_execz .LBB9_17
; %bb.16:
	v_rcp_f32_e64 v3, |v9|
	v_cmp_gt_f32_e64 s0, |v9|, 1.0
	s_mov_b32 s2, 0x3b2d2a58
	v_cndmask_b32_e64 v3, |v9|, v3, s0
	v_mul_f32_e32 v8, v3, v3
	v_fmaak_f32 v10, s2, v8, 0xbc7a590c
	v_fmaak_f32 v10, v8, v10, 0x3d29fb3f
	;; [unrolled: 1-line block ×7, first 2 shown]
	v_mul_f32_e32 v8, v8, v10
	v_fmac_f32_e32 v3, v3, v8
	v_sub_f32_e32 v8, 0x3fc90fdb, v3
	v_cndmask_b32_e64 v3, v3, v8, s0
	v_bfi_b32 v3, 0x7fffffff, v3, v9
.LBB9_17:
	s_or_b32 exec_lo, exec_lo, s1
	v_or_b32_e32 v8, 0x300, v0
	s_mov_b32 s1, exec_lo
	v_cmpx_gt_i32_e64 s3, v8
	s_cbranch_execnz .LBB9_24
; %bb.18:
	s_or_b32 exec_lo, exec_lo, s1
	s_and_saveexec_b32 s0, vcc_lo
	s_xor_b32 s0, exec_lo, s0
	s_cbranch_execnz .LBB9_25
.LBB9_19:
	s_or_b32 exec_lo, exec_lo, s0
	s_mov_b32 s0, exec_lo
	v_cmpx_gt_i32_e64 s3, v0
	s_cbranch_execnz .LBB9_26
.LBB9_20:
	s_or_b32 exec_lo, exec_lo, s0
	s_mov_b32 s0, exec_lo
	v_cmpx_gt_i32_e64 s3, v0
	s_cbranch_execnz .LBB9_27
.LBB9_21:
	s_or_b32 exec_lo, exec_lo, s0
	s_mov_b32 s0, exec_lo
	v_cmpx_gt_i32_e64 s3, v0
	s_cbranch_execz .LBB9_23
.LBB9_22:
	v_add_nc_u32_e32 v0, s4, v0
	v_mov_b32_e32 v1, 0
	v_lshlrev_b64 v[0:1], 2, v[0:1]
	v_add_co_u32 v0, vcc_lo, s8, v0
	v_add_co_ci_u32_e64 v1, null, s9, v1, vcc_lo
	global_store_dword v[0:1], v4, off
.LBB9_23:
	s_endpgm
.LBB9_24:
	v_rcp_f32_e64 v4, |v6|
	v_cmp_gt_f32_e64 s0, |v6|, 1.0
	s_mov_b32 s2, 0x3b2d2a58
	v_cndmask_b32_e64 v4, |v6|, v4, s0
	v_mul_f32_e32 v8, v4, v4
	v_fmaak_f32 v9, s2, v8, 0xbc7a590c
	v_fmaak_f32 v9, v8, v9, 0x3d29fb3f
	v_fmaak_f32 v9, v8, v9, 0xbd97d4d7
	v_fmaak_f32 v9, v8, v9, 0x3dd931b2
	v_fmaak_f32 v9, v8, v9, 0xbe1160e6
	v_fmaak_f32 v9, v8, v9, 0x3e4cb8bf
	v_fmaak_f32 v9, v8, v9, 0xbeaaaa62
	v_mul_f32_e32 v8, v8, v9
	v_fmac_f32_e32 v4, v4, v8
	v_sub_f32_e32 v8, 0x3fc90fdb, v4
	v_cndmask_b32_e64 v4, v4, v8, s0
	v_bfi_b32 v4, 0x7fffffff, v4, v6
	s_or_b32 exec_lo, exec_lo, s1
	s_and_saveexec_b32 s0, vcc_lo
	s_xor_b32 s0, exec_lo, s0
	s_cbranch_execz .LBB9_19
.LBB9_25:
	v_mov_b32_e32 v6, 0
	v_mov_b32_e32 v0, v7
	v_lshlrev_b64 v[5:6], 2, v[5:6]
	v_add_co_u32 v5, vcc_lo, s8, v5
	v_add_co_ci_u32_e64 v6, null, s9, v6, vcc_lo
	global_store_dword v[5:6], v1, off
	s_or_b32 exec_lo, exec_lo, s0
	s_mov_b32 s0, exec_lo
	v_cmpx_gt_i32_e64 s3, v0
	s_cbranch_execz .LBB9_20
.LBB9_26:
	v_add_nc_u32_e32 v5, s4, v0
	v_mov_b32_e32 v6, 0
	v_add_nc_u32_e32 v0, 0x100, v0
	v_lshlrev_b64 v[5:6], 2, v[5:6]
	v_add_co_u32 v5, vcc_lo, s8, v5
	v_add_co_ci_u32_e64 v6, null, s9, v6, vcc_lo
	global_store_dword v[5:6], v2, off
	s_or_b32 exec_lo, exec_lo, s0
	s_mov_b32 s0, exec_lo
	v_cmpx_gt_i32_e64 s3, v0
	s_cbranch_execz .LBB9_21
.LBB9_27:
	v_add_nc_u32_e32 v1, s4, v0
	v_mov_b32_e32 v2, 0
	v_add_nc_u32_e32 v0, 0x100, v0
	v_lshlrev_b64 v[1:2], 2, v[1:2]
	v_add_co_u32 v1, vcc_lo, s8, v1
	v_add_co_ci_u32_e64 v2, null, s9, v2, vcc_lo
	global_store_dword v[1:2], v3, off
	s_or_b32 exec_lo, exec_lo, s0
	s_mov_b32 s0, exec_lo
	v_cmpx_gt_i32_e64 s3, v0
	s_cbranch_execnz .LBB9_22
	s_branch .LBB9_23
	.section	.rodata,"a",@progbits
	.p2align	6, 0x0
	.amdhsa_kernel _ZN2at6native29vectorized_elementwise_kernelILi8EZZZNS0_16atan_kernel_cudaERNS_18TensorIteratorBaseEENKUlvE0_clEvENKUlvE0_clEvEUlfE_St5arrayIPcLm2EEEEviT0_T1_
		.amdhsa_group_segment_fixed_size 0
		.amdhsa_private_segment_fixed_size 0
		.amdhsa_kernarg_size 24
		.amdhsa_user_sgpr_count 6
		.amdhsa_user_sgpr_private_segment_buffer 1
		.amdhsa_user_sgpr_dispatch_ptr 0
		.amdhsa_user_sgpr_queue_ptr 0
		.amdhsa_user_sgpr_kernarg_segment_ptr 1
		.amdhsa_user_sgpr_dispatch_id 0
		.amdhsa_user_sgpr_flat_scratch_init 0
		.amdhsa_user_sgpr_private_segment_size 0
		.amdhsa_wavefront_size32 1
		.amdhsa_uses_dynamic_stack 0
		.amdhsa_system_sgpr_private_segment_wavefront_offset 0
		.amdhsa_system_sgpr_workgroup_id_x 1
		.amdhsa_system_sgpr_workgroup_id_y 0
		.amdhsa_system_sgpr_workgroup_id_z 0
		.amdhsa_system_sgpr_workgroup_info 0
		.amdhsa_system_vgpr_workitem_id 0
		.amdhsa_next_free_vgpr 18
		.amdhsa_next_free_sgpr 12
		.amdhsa_reserve_vcc 1
		.amdhsa_reserve_flat_scratch 0
		.amdhsa_float_round_mode_32 0
		.amdhsa_float_round_mode_16_64 0
		.amdhsa_float_denorm_mode_32 3
		.amdhsa_float_denorm_mode_16_64 3
		.amdhsa_dx10_clamp 1
		.amdhsa_ieee_mode 1
		.amdhsa_fp16_overflow 0
		.amdhsa_workgroup_processor_mode 1
		.amdhsa_memory_ordered 1
		.amdhsa_forward_progress 1
		.amdhsa_shared_vgpr_count 0
		.amdhsa_exception_fp_ieee_invalid_op 0
		.amdhsa_exception_fp_denorm_src 0
		.amdhsa_exception_fp_ieee_div_zero 0
		.amdhsa_exception_fp_ieee_overflow 0
		.amdhsa_exception_fp_ieee_underflow 0
		.amdhsa_exception_fp_ieee_inexact 0
		.amdhsa_exception_int_div_zero 0
	.end_amdhsa_kernel
	.section	.text._ZN2at6native29vectorized_elementwise_kernelILi8EZZZNS0_16atan_kernel_cudaERNS_18TensorIteratorBaseEENKUlvE0_clEvENKUlvE0_clEvEUlfE_St5arrayIPcLm2EEEEviT0_T1_,"axG",@progbits,_ZN2at6native29vectorized_elementwise_kernelILi8EZZZNS0_16atan_kernel_cudaERNS_18TensorIteratorBaseEENKUlvE0_clEvENKUlvE0_clEvEUlfE_St5arrayIPcLm2EEEEviT0_T1_,comdat
.Lfunc_end9:
	.size	_ZN2at6native29vectorized_elementwise_kernelILi8EZZZNS0_16atan_kernel_cudaERNS_18TensorIteratorBaseEENKUlvE0_clEvENKUlvE0_clEvEUlfE_St5arrayIPcLm2EEEEviT0_T1_, .Lfunc_end9-_ZN2at6native29vectorized_elementwise_kernelILi8EZZZNS0_16atan_kernel_cudaERNS_18TensorIteratorBaseEENKUlvE0_clEvENKUlvE0_clEvEUlfE_St5arrayIPcLm2EEEEviT0_T1_
                                        ; -- End function
	.set _ZN2at6native29vectorized_elementwise_kernelILi8EZZZNS0_16atan_kernel_cudaERNS_18TensorIteratorBaseEENKUlvE0_clEvENKUlvE0_clEvEUlfE_St5arrayIPcLm2EEEEviT0_T1_.num_vgpr, 18
	.set _ZN2at6native29vectorized_elementwise_kernelILi8EZZZNS0_16atan_kernel_cudaERNS_18TensorIteratorBaseEENKUlvE0_clEvENKUlvE0_clEvEUlfE_St5arrayIPcLm2EEEEviT0_T1_.num_agpr, 0
	.set _ZN2at6native29vectorized_elementwise_kernelILi8EZZZNS0_16atan_kernel_cudaERNS_18TensorIteratorBaseEENKUlvE0_clEvENKUlvE0_clEvEUlfE_St5arrayIPcLm2EEEEviT0_T1_.numbered_sgpr, 12
	.set _ZN2at6native29vectorized_elementwise_kernelILi8EZZZNS0_16atan_kernel_cudaERNS_18TensorIteratorBaseEENKUlvE0_clEvENKUlvE0_clEvEUlfE_St5arrayIPcLm2EEEEviT0_T1_.num_named_barrier, 0
	.set _ZN2at6native29vectorized_elementwise_kernelILi8EZZZNS0_16atan_kernel_cudaERNS_18TensorIteratorBaseEENKUlvE0_clEvENKUlvE0_clEvEUlfE_St5arrayIPcLm2EEEEviT0_T1_.private_seg_size, 0
	.set _ZN2at6native29vectorized_elementwise_kernelILi8EZZZNS0_16atan_kernel_cudaERNS_18TensorIteratorBaseEENKUlvE0_clEvENKUlvE0_clEvEUlfE_St5arrayIPcLm2EEEEviT0_T1_.uses_vcc, 1
	.set _ZN2at6native29vectorized_elementwise_kernelILi8EZZZNS0_16atan_kernel_cudaERNS_18TensorIteratorBaseEENKUlvE0_clEvENKUlvE0_clEvEUlfE_St5arrayIPcLm2EEEEviT0_T1_.uses_flat_scratch, 0
	.set _ZN2at6native29vectorized_elementwise_kernelILi8EZZZNS0_16atan_kernel_cudaERNS_18TensorIteratorBaseEENKUlvE0_clEvENKUlvE0_clEvEUlfE_St5arrayIPcLm2EEEEviT0_T1_.has_dyn_sized_stack, 0
	.set _ZN2at6native29vectorized_elementwise_kernelILi8EZZZNS0_16atan_kernel_cudaERNS_18TensorIteratorBaseEENKUlvE0_clEvENKUlvE0_clEvEUlfE_St5arrayIPcLm2EEEEviT0_T1_.has_recursion, 0
	.set _ZN2at6native29vectorized_elementwise_kernelILi8EZZZNS0_16atan_kernel_cudaERNS_18TensorIteratorBaseEENKUlvE0_clEvENKUlvE0_clEvEUlfE_St5arrayIPcLm2EEEEviT0_T1_.has_indirect_call, 0
	.section	.AMDGPU.csdata,"",@progbits
; Kernel info:
; codeLenInByte = 1864
; TotalNumSgprs: 14
; NumVgprs: 18
; ScratchSize: 0
; MemoryBound: 0
; FloatMode: 240
; IeeeMode: 1
; LDSByteSize: 0 bytes/workgroup (compile time only)
; SGPRBlocks: 0
; VGPRBlocks: 2
; NumSGPRsForWavesPerEU: 14
; NumVGPRsForWavesPerEU: 18
; Occupancy: 16
; WaveLimiterHint : 0
; COMPUTE_PGM_RSRC2:SCRATCH_EN: 0
; COMPUTE_PGM_RSRC2:USER_SGPR: 6
; COMPUTE_PGM_RSRC2:TRAP_HANDLER: 0
; COMPUTE_PGM_RSRC2:TGID_X_EN: 1
; COMPUTE_PGM_RSRC2:TGID_Y_EN: 0
; COMPUTE_PGM_RSRC2:TGID_Z_EN: 0
; COMPUTE_PGM_RSRC2:TIDIG_COMP_CNT: 0
	.section	.text._ZN2at6native29vectorized_elementwise_kernelILi4EZZZNS0_16atan_kernel_cudaERNS_18TensorIteratorBaseEENKUlvE0_clEvENKUlvE0_clEvEUlfE_St5arrayIPcLm2EEEEviT0_T1_,"axG",@progbits,_ZN2at6native29vectorized_elementwise_kernelILi4EZZZNS0_16atan_kernel_cudaERNS_18TensorIteratorBaseEENKUlvE0_clEvENKUlvE0_clEvEUlfE_St5arrayIPcLm2EEEEviT0_T1_,comdat
	.globl	_ZN2at6native29vectorized_elementwise_kernelILi4EZZZNS0_16atan_kernel_cudaERNS_18TensorIteratorBaseEENKUlvE0_clEvENKUlvE0_clEvEUlfE_St5arrayIPcLm2EEEEviT0_T1_ ; -- Begin function _ZN2at6native29vectorized_elementwise_kernelILi4EZZZNS0_16atan_kernel_cudaERNS_18TensorIteratorBaseEENKUlvE0_clEvENKUlvE0_clEvEUlfE_St5arrayIPcLm2EEEEviT0_T1_
	.p2align	8
	.type	_ZN2at6native29vectorized_elementwise_kernelILi4EZZZNS0_16atan_kernel_cudaERNS_18TensorIteratorBaseEENKUlvE0_clEvENKUlvE0_clEvEUlfE_St5arrayIPcLm2EEEEviT0_T1_,@function
_ZN2at6native29vectorized_elementwise_kernelILi4EZZZNS0_16atan_kernel_cudaERNS_18TensorIteratorBaseEENKUlvE0_clEvENKUlvE0_clEvEUlfE_St5arrayIPcLm2EEEEviT0_T1_: ; @_ZN2at6native29vectorized_elementwise_kernelILi4EZZZNS0_16atan_kernel_cudaERNS_18TensorIteratorBaseEENKUlvE0_clEvENKUlvE0_clEvEUlfE_St5arrayIPcLm2EEEEviT0_T1_
; %bb.0:
	s_clause 0x1
	s_load_dword s0, s[4:5], 0x0
	s_load_dwordx4 s[8:11], s[4:5], 0x8
	s_lshl_b32 s4, s6, 10
	s_waitcnt lgkmcnt(0)
	s_sub_i32 s3, s0, s4
	s_mov_b32 s0, -1
	s_cmpk_gt_i32 s3, 0x3ff
	s_cbranch_scc0 .LBB10_2
; %bb.1:
	s_ashr_i32 s5, s4, 31
	v_lshlrev_b32_e32 v5, 4, v0
	s_lshl_b64 s[6:7], s[4:5], 2
	s_mov_b32 s5, 0x3b2d2a58
	s_add_u32 s0, s10, s6
	s_addc_u32 s1, s11, s7
	s_add_u32 s6, s8, s6
	global_load_dwordx4 v[1:4], v5, s[0:1]
	s_addc_u32 s7, s9, s7
	s_waitcnt vmcnt(0)
	v_rcp_f32_e64 v6, |v1|
	v_rcp_f32_e64 v7, |v2|
	;; [unrolled: 1-line block ×4, first 2 shown]
	v_cmp_gt_f32_e64 vcc_lo, |v1|, 1.0
	v_cmp_gt_f32_e64 s0, |v2|, 1.0
	v_cmp_gt_f32_e64 s1, |v3|, 1.0
	;; [unrolled: 1-line block ×3, first 2 shown]
	v_cndmask_b32_e64 v6, |v1|, v6, vcc_lo
	v_cndmask_b32_e64 v7, |v2|, v7, s0
	v_cndmask_b32_e64 v8, |v3|, v8, s1
	;; [unrolled: 1-line block ×3, first 2 shown]
	v_mul_f32_e32 v10, v6, v6
	v_mul_f32_e32 v11, v7, v7
	;; [unrolled: 1-line block ×4, first 2 shown]
	v_fmaak_f32 v14, s5, v10, 0xbc7a590c
	v_fmaak_f32 v15, s5, v11, 0xbc7a590c
	;; [unrolled: 1-line block ×28, first 2 shown]
	v_mul_f32_e32 v10, v10, v14
	v_mul_f32_e32 v11, v11, v15
	;; [unrolled: 1-line block ×4, first 2 shown]
	v_fmac_f32_e32 v6, v6, v10
	v_fmac_f32_e32 v7, v7, v11
	;; [unrolled: 1-line block ×4, first 2 shown]
	v_sub_f32_e32 v10, 0x3fc90fdb, v6
	v_sub_f32_e32 v11, 0x3fc90fdb, v7
	;; [unrolled: 1-line block ×4, first 2 shown]
	v_cndmask_b32_e32 v6, v6, v10, vcc_lo
	v_cndmask_b32_e64 v7, v7, v11, s0
	v_cndmask_b32_e64 v8, v8, v12, s1
	;; [unrolled: 1-line block ×3, first 2 shown]
	s_mov_b32 s0, 0
	v_bfi_b32 v1, 0x7fffffff, v6, v1
	v_bfi_b32 v2, 0x7fffffff, v7, v2
	;; [unrolled: 1-line block ×4, first 2 shown]
	global_store_dwordx4 v5, v[1:4], s[6:7]
.LBB10_2:
	s_andn2_b32 vcc_lo, exec_lo, s0
	s_cbranch_vccnz .LBB10_23
; %bb.3:
	v_cmp_gt_i32_e32 vcc_lo, s3, v0
	v_mov_b32_e32 v8, 0
	v_or_b32_e32 v5, s4, v0
	v_or_b32_e32 v7, 0x100, v0
	v_mov_b32_e32 v10, 0
	v_mov_b32_e32 v1, v0
	s_and_saveexec_b32 s1, vcc_lo
	s_cbranch_execz .LBB10_5
; %bb.4:
	v_mov_b32_e32 v6, 0
	v_lshlrev_b64 v[1:2], 2, v[5:6]
	v_add_co_u32 v1, s0, s10, v1
	v_add_co_ci_u32_e64 v2, null, s11, v2, s0
	global_load_dword v10, v[1:2], off
	v_or_b32_e32 v1, 0x100, v0
.LBB10_5:
	s_or_b32 exec_lo, exec_lo, s1
	s_mov_b32 s1, exec_lo
	v_cmpx_gt_i32_e64 s3, v1
	s_cbranch_execz .LBB10_7
; %bb.6:
	v_add_nc_u32_e32 v2, s4, v1
	v_mov_b32_e32 v3, 0
	v_add_nc_u32_e32 v1, 0x100, v1
	v_lshlrev_b64 v[2:3], 2, v[2:3]
	v_add_co_u32 v2, s0, s10, v2
	v_add_co_ci_u32_e64 v3, null, s11, v3, s0
	global_load_dword v8, v[2:3], off
.LBB10_7:
	s_or_b32 exec_lo, exec_lo, s1
	v_mov_b32_e32 v6, 0
	v_mov_b32_e32 v9, 0
	s_mov_b32 s1, exec_lo
	v_cmpx_gt_i32_e64 s3, v1
	s_cbranch_execz .LBB10_9
; %bb.8:
	v_add_nc_u32_e32 v2, s4, v1
	v_mov_b32_e32 v3, 0
	v_add_nc_u32_e32 v1, 0x100, v1
	v_lshlrev_b64 v[2:3], 2, v[2:3]
	v_add_co_u32 v2, s0, s10, v2
	v_add_co_ci_u32_e64 v3, null, s11, v3, s0
	global_load_dword v9, v[2:3], off
.LBB10_9:
	s_or_b32 exec_lo, exec_lo, s1
	s_mov_b32 s1, exec_lo
	v_cmpx_gt_i32_e64 s3, v1
	s_cbranch_execz .LBB10_11
; %bb.10:
	v_add_nc_u32_e32 v1, s4, v1
	v_mov_b32_e32 v2, 0
	v_lshlrev_b64 v[1:2], 2, v[1:2]
	v_add_co_u32 v1, s0, s10, v1
	v_add_co_ci_u32_e64 v2, null, s11, v2, s0
	global_load_dword v6, v[1:2], off
.LBB10_11:
	s_or_b32 exec_lo, exec_lo, s1
	v_mov_b32_e32 v1, 0
	v_mov_b32_e32 v2, v1
	;; [unrolled: 1-line block ×4, first 2 shown]
	s_and_saveexec_b32 s1, vcc_lo
	s_cbranch_execz .LBB10_13
; %bb.12:
	s_waitcnt vmcnt(0)
	v_rcp_f32_e64 v2, |v10|
	v_cmp_gt_f32_e64 s0, |v10|, 1.0
	s_mov_b32 s2, 0x3b2d2a58
	v_mov_b32_e32 v11, v1
	v_mov_b32_e32 v12, v1
	;; [unrolled: 1-line block ×3, first 2 shown]
	v_cndmask_b32_e64 v2, |v10|, v2, s0
	v_mul_f32_e32 v3, v2, v2
	v_fmaak_f32 v4, s2, v3, 0xbc7a590c
	v_fmaak_f32 v4, v3, v4, 0x3d29fb3f
	v_fmaak_f32 v4, v3, v4, 0xbd97d4d7
	v_fmaak_f32 v4, v3, v4, 0x3dd931b2
	v_fmaak_f32 v4, v3, v4, 0xbe1160e6
	v_fmaak_f32 v4, v3, v4, 0x3e4cb8bf
	v_fmaak_f32 v4, v3, v4, 0xbeaaaa62
	v_mul_f32_e32 v3, v3, v4
	v_fmac_f32_e32 v2, v2, v3
	v_sub_f32_e32 v3, 0x3fc90fdb, v2
	v_cndmask_b32_e64 v2, v2, v3, s0
	v_bfi_b32 v10, 0x7fffffff, v2, v10
	v_mov_b32_e32 v1, v10
	v_mov_b32_e32 v2, v11
	;; [unrolled: 1-line block ×4, first 2 shown]
.LBB10_13:
	s_or_b32 exec_lo, exec_lo, s1
	s_mov_b32 s1, exec_lo
	v_cmpx_gt_i32_e64 s3, v7
	s_cbranch_execz .LBB10_15
; %bb.14:
	s_waitcnt vmcnt(0)
	v_rcp_f32_e64 v2, |v8|
	v_cmp_gt_f32_e64 s0, |v8|, 1.0
	s_mov_b32 s2, 0x3b2d2a58
	v_cndmask_b32_e64 v2, |v8|, v2, s0
	v_mul_f32_e32 v10, v2, v2
	v_fmaak_f32 v11, s2, v10, 0xbc7a590c
	v_fmaak_f32 v11, v10, v11, 0x3d29fb3f
	;; [unrolled: 1-line block ×7, first 2 shown]
	v_mul_f32_e32 v10, v10, v11
	v_fmac_f32_e32 v2, v2, v10
	v_sub_f32_e32 v10, 0x3fc90fdb, v2
	v_cndmask_b32_e64 v2, v2, v10, s0
	v_bfi_b32 v2, 0x7fffffff, v2, v8
.LBB10_15:
	s_or_b32 exec_lo, exec_lo, s1
	s_waitcnt vmcnt(0)
	v_or_b32_e32 v8, 0x200, v0
	s_mov_b32 s1, exec_lo
	v_cmpx_gt_i32_e64 s3, v8
	s_cbranch_execz .LBB10_17
; %bb.16:
	v_rcp_f32_e64 v3, |v9|
	v_cmp_gt_f32_e64 s0, |v9|, 1.0
	s_mov_b32 s2, 0x3b2d2a58
	v_cndmask_b32_e64 v3, |v9|, v3, s0
	v_mul_f32_e32 v8, v3, v3
	v_fmaak_f32 v10, s2, v8, 0xbc7a590c
	v_fmaak_f32 v10, v8, v10, 0x3d29fb3f
	;; [unrolled: 1-line block ×7, first 2 shown]
	v_mul_f32_e32 v8, v8, v10
	v_fmac_f32_e32 v3, v3, v8
	v_sub_f32_e32 v8, 0x3fc90fdb, v3
	v_cndmask_b32_e64 v3, v3, v8, s0
	v_bfi_b32 v3, 0x7fffffff, v3, v9
.LBB10_17:
	s_or_b32 exec_lo, exec_lo, s1
	v_or_b32_e32 v8, 0x300, v0
	s_mov_b32 s1, exec_lo
	v_cmpx_gt_i32_e64 s3, v8
	s_cbranch_execnz .LBB10_24
; %bb.18:
	s_or_b32 exec_lo, exec_lo, s1
	s_and_saveexec_b32 s0, vcc_lo
	s_xor_b32 s0, exec_lo, s0
	s_cbranch_execnz .LBB10_25
.LBB10_19:
	s_or_b32 exec_lo, exec_lo, s0
	s_mov_b32 s0, exec_lo
	v_cmpx_gt_i32_e64 s3, v0
	s_cbranch_execnz .LBB10_26
.LBB10_20:
	s_or_b32 exec_lo, exec_lo, s0
	s_mov_b32 s0, exec_lo
	v_cmpx_gt_i32_e64 s3, v0
	s_cbranch_execnz .LBB10_27
.LBB10_21:
	s_or_b32 exec_lo, exec_lo, s0
	s_mov_b32 s0, exec_lo
	v_cmpx_gt_i32_e64 s3, v0
	s_cbranch_execz .LBB10_23
.LBB10_22:
	v_add_nc_u32_e32 v0, s4, v0
	v_mov_b32_e32 v1, 0
	v_lshlrev_b64 v[0:1], 2, v[0:1]
	v_add_co_u32 v0, vcc_lo, s8, v0
	v_add_co_ci_u32_e64 v1, null, s9, v1, vcc_lo
	global_store_dword v[0:1], v4, off
.LBB10_23:
	s_endpgm
.LBB10_24:
	v_rcp_f32_e64 v4, |v6|
	v_cmp_gt_f32_e64 s0, |v6|, 1.0
	s_mov_b32 s2, 0x3b2d2a58
	v_cndmask_b32_e64 v4, |v6|, v4, s0
	v_mul_f32_e32 v8, v4, v4
	v_fmaak_f32 v9, s2, v8, 0xbc7a590c
	v_fmaak_f32 v9, v8, v9, 0x3d29fb3f
	;; [unrolled: 1-line block ×7, first 2 shown]
	v_mul_f32_e32 v8, v8, v9
	v_fmac_f32_e32 v4, v4, v8
	v_sub_f32_e32 v8, 0x3fc90fdb, v4
	v_cndmask_b32_e64 v4, v4, v8, s0
	v_bfi_b32 v4, 0x7fffffff, v4, v6
	s_or_b32 exec_lo, exec_lo, s1
	s_and_saveexec_b32 s0, vcc_lo
	s_xor_b32 s0, exec_lo, s0
	s_cbranch_execz .LBB10_19
.LBB10_25:
	v_mov_b32_e32 v6, 0
	v_mov_b32_e32 v0, v7
	v_lshlrev_b64 v[5:6], 2, v[5:6]
	v_add_co_u32 v5, vcc_lo, s8, v5
	v_add_co_ci_u32_e64 v6, null, s9, v6, vcc_lo
	global_store_dword v[5:6], v1, off
	s_or_b32 exec_lo, exec_lo, s0
	s_mov_b32 s0, exec_lo
	v_cmpx_gt_i32_e64 s3, v0
	s_cbranch_execz .LBB10_20
.LBB10_26:
	v_add_nc_u32_e32 v5, s4, v0
	v_mov_b32_e32 v6, 0
	v_add_nc_u32_e32 v0, 0x100, v0
	v_lshlrev_b64 v[5:6], 2, v[5:6]
	v_add_co_u32 v5, vcc_lo, s8, v5
	v_add_co_ci_u32_e64 v6, null, s9, v6, vcc_lo
	global_store_dword v[5:6], v2, off
	s_or_b32 exec_lo, exec_lo, s0
	s_mov_b32 s0, exec_lo
	v_cmpx_gt_i32_e64 s3, v0
	s_cbranch_execz .LBB10_21
.LBB10_27:
	v_add_nc_u32_e32 v1, s4, v0
	v_mov_b32_e32 v2, 0
	v_add_nc_u32_e32 v0, 0x100, v0
	v_lshlrev_b64 v[1:2], 2, v[1:2]
	v_add_co_u32 v1, vcc_lo, s8, v1
	v_add_co_ci_u32_e64 v2, null, s9, v2, vcc_lo
	global_store_dword v[1:2], v3, off
	s_or_b32 exec_lo, exec_lo, s0
	s_mov_b32 s0, exec_lo
	v_cmpx_gt_i32_e64 s3, v0
	s_cbranch_execnz .LBB10_22
	s_branch .LBB10_23
	.section	.rodata,"a",@progbits
	.p2align	6, 0x0
	.amdhsa_kernel _ZN2at6native29vectorized_elementwise_kernelILi4EZZZNS0_16atan_kernel_cudaERNS_18TensorIteratorBaseEENKUlvE0_clEvENKUlvE0_clEvEUlfE_St5arrayIPcLm2EEEEviT0_T1_
		.amdhsa_group_segment_fixed_size 0
		.amdhsa_private_segment_fixed_size 0
		.amdhsa_kernarg_size 24
		.amdhsa_user_sgpr_count 6
		.amdhsa_user_sgpr_private_segment_buffer 1
		.amdhsa_user_sgpr_dispatch_ptr 0
		.amdhsa_user_sgpr_queue_ptr 0
		.amdhsa_user_sgpr_kernarg_segment_ptr 1
		.amdhsa_user_sgpr_dispatch_id 0
		.amdhsa_user_sgpr_flat_scratch_init 0
		.amdhsa_user_sgpr_private_segment_size 0
		.amdhsa_wavefront_size32 1
		.amdhsa_uses_dynamic_stack 0
		.amdhsa_system_sgpr_private_segment_wavefront_offset 0
		.amdhsa_system_sgpr_workgroup_id_x 1
		.amdhsa_system_sgpr_workgroup_id_y 0
		.amdhsa_system_sgpr_workgroup_id_z 0
		.amdhsa_system_sgpr_workgroup_info 0
		.amdhsa_system_vgpr_workitem_id 0
		.amdhsa_next_free_vgpr 18
		.amdhsa_next_free_sgpr 12
		.amdhsa_reserve_vcc 1
		.amdhsa_reserve_flat_scratch 0
		.amdhsa_float_round_mode_32 0
		.amdhsa_float_round_mode_16_64 0
		.amdhsa_float_denorm_mode_32 3
		.amdhsa_float_denorm_mode_16_64 3
		.amdhsa_dx10_clamp 1
		.amdhsa_ieee_mode 1
		.amdhsa_fp16_overflow 0
		.amdhsa_workgroup_processor_mode 1
		.amdhsa_memory_ordered 1
		.amdhsa_forward_progress 1
		.amdhsa_shared_vgpr_count 0
		.amdhsa_exception_fp_ieee_invalid_op 0
		.amdhsa_exception_fp_denorm_src 0
		.amdhsa_exception_fp_ieee_div_zero 0
		.amdhsa_exception_fp_ieee_overflow 0
		.amdhsa_exception_fp_ieee_underflow 0
		.amdhsa_exception_fp_ieee_inexact 0
		.amdhsa_exception_int_div_zero 0
	.end_amdhsa_kernel
	.section	.text._ZN2at6native29vectorized_elementwise_kernelILi4EZZZNS0_16atan_kernel_cudaERNS_18TensorIteratorBaseEENKUlvE0_clEvENKUlvE0_clEvEUlfE_St5arrayIPcLm2EEEEviT0_T1_,"axG",@progbits,_ZN2at6native29vectorized_elementwise_kernelILi4EZZZNS0_16atan_kernel_cudaERNS_18TensorIteratorBaseEENKUlvE0_clEvENKUlvE0_clEvEUlfE_St5arrayIPcLm2EEEEviT0_T1_,comdat
.Lfunc_end10:
	.size	_ZN2at6native29vectorized_elementwise_kernelILi4EZZZNS0_16atan_kernel_cudaERNS_18TensorIteratorBaseEENKUlvE0_clEvENKUlvE0_clEvEUlfE_St5arrayIPcLm2EEEEviT0_T1_, .Lfunc_end10-_ZN2at6native29vectorized_elementwise_kernelILi4EZZZNS0_16atan_kernel_cudaERNS_18TensorIteratorBaseEENKUlvE0_clEvENKUlvE0_clEvEUlfE_St5arrayIPcLm2EEEEviT0_T1_
                                        ; -- End function
	.set _ZN2at6native29vectorized_elementwise_kernelILi4EZZZNS0_16atan_kernel_cudaERNS_18TensorIteratorBaseEENKUlvE0_clEvENKUlvE0_clEvEUlfE_St5arrayIPcLm2EEEEviT0_T1_.num_vgpr, 18
	.set _ZN2at6native29vectorized_elementwise_kernelILi4EZZZNS0_16atan_kernel_cudaERNS_18TensorIteratorBaseEENKUlvE0_clEvENKUlvE0_clEvEUlfE_St5arrayIPcLm2EEEEviT0_T1_.num_agpr, 0
	.set _ZN2at6native29vectorized_elementwise_kernelILi4EZZZNS0_16atan_kernel_cudaERNS_18TensorIteratorBaseEENKUlvE0_clEvENKUlvE0_clEvEUlfE_St5arrayIPcLm2EEEEviT0_T1_.numbered_sgpr, 12
	.set _ZN2at6native29vectorized_elementwise_kernelILi4EZZZNS0_16atan_kernel_cudaERNS_18TensorIteratorBaseEENKUlvE0_clEvENKUlvE0_clEvEUlfE_St5arrayIPcLm2EEEEviT0_T1_.num_named_barrier, 0
	.set _ZN2at6native29vectorized_elementwise_kernelILi4EZZZNS0_16atan_kernel_cudaERNS_18TensorIteratorBaseEENKUlvE0_clEvENKUlvE0_clEvEUlfE_St5arrayIPcLm2EEEEviT0_T1_.private_seg_size, 0
	.set _ZN2at6native29vectorized_elementwise_kernelILi4EZZZNS0_16atan_kernel_cudaERNS_18TensorIteratorBaseEENKUlvE0_clEvENKUlvE0_clEvEUlfE_St5arrayIPcLm2EEEEviT0_T1_.uses_vcc, 1
	.set _ZN2at6native29vectorized_elementwise_kernelILi4EZZZNS0_16atan_kernel_cudaERNS_18TensorIteratorBaseEENKUlvE0_clEvENKUlvE0_clEvEUlfE_St5arrayIPcLm2EEEEviT0_T1_.uses_flat_scratch, 0
	.set _ZN2at6native29vectorized_elementwise_kernelILi4EZZZNS0_16atan_kernel_cudaERNS_18TensorIteratorBaseEENKUlvE0_clEvENKUlvE0_clEvEUlfE_St5arrayIPcLm2EEEEviT0_T1_.has_dyn_sized_stack, 0
	.set _ZN2at6native29vectorized_elementwise_kernelILi4EZZZNS0_16atan_kernel_cudaERNS_18TensorIteratorBaseEENKUlvE0_clEvENKUlvE0_clEvEUlfE_St5arrayIPcLm2EEEEviT0_T1_.has_recursion, 0
	.set _ZN2at6native29vectorized_elementwise_kernelILi4EZZZNS0_16atan_kernel_cudaERNS_18TensorIteratorBaseEENKUlvE0_clEvENKUlvE0_clEvEUlfE_St5arrayIPcLm2EEEEviT0_T1_.has_indirect_call, 0
	.section	.AMDGPU.csdata,"",@progbits
; Kernel info:
; codeLenInByte = 1864
; TotalNumSgprs: 14
; NumVgprs: 18
; ScratchSize: 0
; MemoryBound: 0
; FloatMode: 240
; IeeeMode: 1
; LDSByteSize: 0 bytes/workgroup (compile time only)
; SGPRBlocks: 0
; VGPRBlocks: 2
; NumSGPRsForWavesPerEU: 14
; NumVGPRsForWavesPerEU: 18
; Occupancy: 16
; WaveLimiterHint : 0
; COMPUTE_PGM_RSRC2:SCRATCH_EN: 0
; COMPUTE_PGM_RSRC2:USER_SGPR: 6
; COMPUTE_PGM_RSRC2:TRAP_HANDLER: 0
; COMPUTE_PGM_RSRC2:TGID_X_EN: 1
; COMPUTE_PGM_RSRC2:TGID_Y_EN: 0
; COMPUTE_PGM_RSRC2:TGID_Z_EN: 0
; COMPUTE_PGM_RSRC2:TIDIG_COMP_CNT: 0
	.section	.text._ZN2at6native29vectorized_elementwise_kernelILi2EZZZNS0_16atan_kernel_cudaERNS_18TensorIteratorBaseEENKUlvE0_clEvENKUlvE0_clEvEUlfE_St5arrayIPcLm2EEEEviT0_T1_,"axG",@progbits,_ZN2at6native29vectorized_elementwise_kernelILi2EZZZNS0_16atan_kernel_cudaERNS_18TensorIteratorBaseEENKUlvE0_clEvENKUlvE0_clEvEUlfE_St5arrayIPcLm2EEEEviT0_T1_,comdat
	.globl	_ZN2at6native29vectorized_elementwise_kernelILi2EZZZNS0_16atan_kernel_cudaERNS_18TensorIteratorBaseEENKUlvE0_clEvENKUlvE0_clEvEUlfE_St5arrayIPcLm2EEEEviT0_T1_ ; -- Begin function _ZN2at6native29vectorized_elementwise_kernelILi2EZZZNS0_16atan_kernel_cudaERNS_18TensorIteratorBaseEENKUlvE0_clEvENKUlvE0_clEvEUlfE_St5arrayIPcLm2EEEEviT0_T1_
	.p2align	8
	.type	_ZN2at6native29vectorized_elementwise_kernelILi2EZZZNS0_16atan_kernel_cudaERNS_18TensorIteratorBaseEENKUlvE0_clEvENKUlvE0_clEvEUlfE_St5arrayIPcLm2EEEEviT0_T1_,@function
_ZN2at6native29vectorized_elementwise_kernelILi2EZZZNS0_16atan_kernel_cudaERNS_18TensorIteratorBaseEENKUlvE0_clEvENKUlvE0_clEvEUlfE_St5arrayIPcLm2EEEEviT0_T1_: ; @_ZN2at6native29vectorized_elementwise_kernelILi2EZZZNS0_16atan_kernel_cudaERNS_18TensorIteratorBaseEENKUlvE0_clEvENKUlvE0_clEvEUlfE_St5arrayIPcLm2EEEEviT0_T1_
; %bb.0:
	s_clause 0x1
	s_load_dword s0, s[4:5], 0x0
	s_load_dwordx4 s[8:11], s[4:5], 0x8
	s_lshl_b32 s4, s6, 10
	s_waitcnt lgkmcnt(0)
	s_sub_i32 s3, s0, s4
	s_mov_b32 s0, -1
	s_cmpk_gt_i32 s3, 0x3ff
	s_cbranch_scc0 .LBB11_2
; %bb.1:
	s_ashr_i32 s5, s4, 31
	v_lshlrev_b32_e32 v7, 3, v0
	s_lshl_b64 s[6:7], s[4:5], 2
	s_mov_b32 s5, 0x3b2d2a58
	s_add_u32 s0, s10, s6
	s_addc_u32 s1, s11, s7
	v_add_co_u32 v1, s2, s0, v7
	v_add_co_ci_u32_e64 v2, null, s1, 0, s2
	s_add_u32 s6, s8, s6
	v_add_co_u32 v1, vcc_lo, 0x800, v1
	v_add_co_ci_u32_e64 v2, null, 0, v2, vcc_lo
	s_addc_u32 s7, s9, s7
	s_clause 0x1
	global_load_dwordx2 v[3:4], v7, s[0:1]
	global_load_dwordx2 v[1:2], v[1:2], off
	s_waitcnt vmcnt(1)
	v_rcp_f32_e64 v5, |v3|
	v_rcp_f32_e64 v6, |v4|
	s_waitcnt vmcnt(0)
	v_rcp_f32_e64 v8, |v1|
	v_rcp_f32_e64 v9, |v2|
	v_cmp_gt_f32_e64 vcc_lo, |v3|, 1.0
	v_cmp_gt_f32_e64 s0, |v4|, 1.0
	v_cmp_gt_f32_e64 s1, |v1|, 1.0
	v_cmp_gt_f32_e64 s2, |v2|, 1.0
	v_cndmask_b32_e64 v5, |v3|, v5, vcc_lo
	v_cndmask_b32_e64 v6, |v4|, v6, s0
	v_cndmask_b32_e64 v8, |v1|, v8, s1
	;; [unrolled: 1-line block ×3, first 2 shown]
	v_mul_f32_e32 v10, v5, v5
	v_mul_f32_e32 v11, v6, v6
	v_mul_f32_e32 v12, v8, v8
	v_mul_f32_e32 v13, v9, v9
	v_fmaak_f32 v14, s5, v10, 0xbc7a590c
	v_fmaak_f32 v15, s5, v11, 0xbc7a590c
	;; [unrolled: 1-line block ×28, first 2 shown]
	v_mul_f32_e32 v10, v10, v14
	v_mul_f32_e32 v11, v11, v15
	;; [unrolled: 1-line block ×4, first 2 shown]
	v_fmac_f32_e32 v5, v5, v10
	v_fmac_f32_e32 v6, v6, v11
	;; [unrolled: 1-line block ×4, first 2 shown]
	v_sub_f32_e32 v10, 0x3fc90fdb, v5
	v_sub_f32_e32 v11, 0x3fc90fdb, v6
	;; [unrolled: 1-line block ×4, first 2 shown]
	v_cndmask_b32_e32 v5, v5, v10, vcc_lo
	v_cndmask_b32_e64 v6, v6, v11, s0
	v_add_co_u32 v10, s0, s6, v7
	v_cndmask_b32_e64 v8, v8, v12, s1
	v_cndmask_b32_e64 v9, v9, v13, s2
	v_add_co_ci_u32_e64 v11, null, s7, 0, s0
	v_bfi_b32 v3, 0x7fffffff, v5, v3
	v_add_co_u32 v5, vcc_lo, 0x800, v10
	v_bfi_b32 v4, 0x7fffffff, v6, v4
	v_bfi_b32 v1, 0x7fffffff, v8, v1
	;; [unrolled: 1-line block ×3, first 2 shown]
	v_add_co_ci_u32_e64 v6, null, 0, v11, vcc_lo
	s_mov_b32 s0, 0
	global_store_dwordx2 v7, v[3:4], s[6:7]
	global_store_dwordx2 v[5:6], v[1:2], off
.LBB11_2:
	s_andn2_b32 vcc_lo, exec_lo, s0
	s_cbranch_vccnz .LBB11_23
; %bb.3:
	v_cmp_gt_i32_e32 vcc_lo, s3, v0
	v_mov_b32_e32 v8, 0
	v_or_b32_e32 v5, s4, v0
	v_or_b32_e32 v7, 0x100, v0
	v_mov_b32_e32 v10, 0
	v_mov_b32_e32 v1, v0
	s_and_saveexec_b32 s1, vcc_lo
	s_cbranch_execz .LBB11_5
; %bb.4:
	v_mov_b32_e32 v6, 0
	v_lshlrev_b64 v[1:2], 2, v[5:6]
	v_add_co_u32 v1, s0, s10, v1
	v_add_co_ci_u32_e64 v2, null, s11, v2, s0
	global_load_dword v10, v[1:2], off
	v_or_b32_e32 v1, 0x100, v0
.LBB11_5:
	s_or_b32 exec_lo, exec_lo, s1
	s_mov_b32 s1, exec_lo
	v_cmpx_gt_i32_e64 s3, v1
	s_cbranch_execz .LBB11_7
; %bb.6:
	v_add_nc_u32_e32 v2, s4, v1
	v_mov_b32_e32 v3, 0
	v_add_nc_u32_e32 v1, 0x100, v1
	v_lshlrev_b64 v[2:3], 2, v[2:3]
	v_add_co_u32 v2, s0, s10, v2
	v_add_co_ci_u32_e64 v3, null, s11, v3, s0
	global_load_dword v8, v[2:3], off
.LBB11_7:
	s_or_b32 exec_lo, exec_lo, s1
	v_mov_b32_e32 v6, 0
	v_mov_b32_e32 v9, 0
	s_mov_b32 s1, exec_lo
	v_cmpx_gt_i32_e64 s3, v1
	s_cbranch_execz .LBB11_9
; %bb.8:
	v_add_nc_u32_e32 v2, s4, v1
	v_mov_b32_e32 v3, 0
	v_add_nc_u32_e32 v1, 0x100, v1
	v_lshlrev_b64 v[2:3], 2, v[2:3]
	v_add_co_u32 v2, s0, s10, v2
	v_add_co_ci_u32_e64 v3, null, s11, v3, s0
	global_load_dword v9, v[2:3], off
.LBB11_9:
	s_or_b32 exec_lo, exec_lo, s1
	s_mov_b32 s1, exec_lo
	v_cmpx_gt_i32_e64 s3, v1
	s_cbranch_execz .LBB11_11
; %bb.10:
	v_add_nc_u32_e32 v1, s4, v1
	v_mov_b32_e32 v2, 0
	v_lshlrev_b64 v[1:2], 2, v[1:2]
	v_add_co_u32 v1, s0, s10, v1
	v_add_co_ci_u32_e64 v2, null, s11, v2, s0
	global_load_dword v6, v[1:2], off
.LBB11_11:
	s_or_b32 exec_lo, exec_lo, s1
	v_mov_b32_e32 v1, 0
	v_mov_b32_e32 v2, v1
	;; [unrolled: 1-line block ×4, first 2 shown]
	s_and_saveexec_b32 s1, vcc_lo
	s_cbranch_execz .LBB11_13
; %bb.12:
	s_waitcnt vmcnt(0)
	v_rcp_f32_e64 v2, |v10|
	v_cmp_gt_f32_e64 s0, |v10|, 1.0
	s_mov_b32 s2, 0x3b2d2a58
	v_mov_b32_e32 v11, v1
	v_mov_b32_e32 v12, v1
	;; [unrolled: 1-line block ×3, first 2 shown]
	v_cndmask_b32_e64 v2, |v10|, v2, s0
	v_mul_f32_e32 v3, v2, v2
	v_fmaak_f32 v4, s2, v3, 0xbc7a590c
	v_fmaak_f32 v4, v3, v4, 0x3d29fb3f
	;; [unrolled: 1-line block ×7, first 2 shown]
	v_mul_f32_e32 v3, v3, v4
	v_fmac_f32_e32 v2, v2, v3
	v_sub_f32_e32 v3, 0x3fc90fdb, v2
	v_cndmask_b32_e64 v2, v2, v3, s0
	v_bfi_b32 v10, 0x7fffffff, v2, v10
	v_mov_b32_e32 v1, v10
	v_mov_b32_e32 v2, v11
	v_mov_b32_e32 v3, v12
	v_mov_b32_e32 v4, v13
.LBB11_13:
	s_or_b32 exec_lo, exec_lo, s1
	s_mov_b32 s1, exec_lo
	v_cmpx_gt_i32_e64 s3, v7
	s_cbranch_execz .LBB11_15
; %bb.14:
	s_waitcnt vmcnt(0)
	v_rcp_f32_e64 v2, |v8|
	v_cmp_gt_f32_e64 s0, |v8|, 1.0
	s_mov_b32 s2, 0x3b2d2a58
	v_cndmask_b32_e64 v2, |v8|, v2, s0
	v_mul_f32_e32 v10, v2, v2
	v_fmaak_f32 v11, s2, v10, 0xbc7a590c
	v_fmaak_f32 v11, v10, v11, 0x3d29fb3f
	;; [unrolled: 1-line block ×7, first 2 shown]
	v_mul_f32_e32 v10, v10, v11
	v_fmac_f32_e32 v2, v2, v10
	v_sub_f32_e32 v10, 0x3fc90fdb, v2
	v_cndmask_b32_e64 v2, v2, v10, s0
	v_bfi_b32 v2, 0x7fffffff, v2, v8
.LBB11_15:
	s_or_b32 exec_lo, exec_lo, s1
	s_waitcnt vmcnt(0)
	v_or_b32_e32 v8, 0x200, v0
	s_mov_b32 s1, exec_lo
	v_cmpx_gt_i32_e64 s3, v8
	s_cbranch_execz .LBB11_17
; %bb.16:
	v_rcp_f32_e64 v3, |v9|
	v_cmp_gt_f32_e64 s0, |v9|, 1.0
	s_mov_b32 s2, 0x3b2d2a58
	v_cndmask_b32_e64 v3, |v9|, v3, s0
	v_mul_f32_e32 v8, v3, v3
	v_fmaak_f32 v10, s2, v8, 0xbc7a590c
	v_fmaak_f32 v10, v8, v10, 0x3d29fb3f
	;; [unrolled: 1-line block ×7, first 2 shown]
	v_mul_f32_e32 v8, v8, v10
	v_fmac_f32_e32 v3, v3, v8
	v_sub_f32_e32 v8, 0x3fc90fdb, v3
	v_cndmask_b32_e64 v3, v3, v8, s0
	v_bfi_b32 v3, 0x7fffffff, v3, v9
.LBB11_17:
	s_or_b32 exec_lo, exec_lo, s1
	v_or_b32_e32 v8, 0x300, v0
	s_mov_b32 s1, exec_lo
	v_cmpx_gt_i32_e64 s3, v8
	s_cbranch_execnz .LBB11_24
; %bb.18:
	s_or_b32 exec_lo, exec_lo, s1
	s_and_saveexec_b32 s0, vcc_lo
	s_xor_b32 s0, exec_lo, s0
	s_cbranch_execnz .LBB11_25
.LBB11_19:
	s_or_b32 exec_lo, exec_lo, s0
	s_mov_b32 s0, exec_lo
	v_cmpx_gt_i32_e64 s3, v0
	s_cbranch_execnz .LBB11_26
.LBB11_20:
	s_or_b32 exec_lo, exec_lo, s0
	s_mov_b32 s0, exec_lo
	v_cmpx_gt_i32_e64 s3, v0
	s_cbranch_execnz .LBB11_27
.LBB11_21:
	s_or_b32 exec_lo, exec_lo, s0
	s_mov_b32 s0, exec_lo
	v_cmpx_gt_i32_e64 s3, v0
	s_cbranch_execz .LBB11_23
.LBB11_22:
	v_add_nc_u32_e32 v0, s4, v0
	v_mov_b32_e32 v1, 0
	v_lshlrev_b64 v[0:1], 2, v[0:1]
	v_add_co_u32 v0, vcc_lo, s8, v0
	v_add_co_ci_u32_e64 v1, null, s9, v1, vcc_lo
	global_store_dword v[0:1], v4, off
.LBB11_23:
	s_endpgm
.LBB11_24:
	v_rcp_f32_e64 v4, |v6|
	v_cmp_gt_f32_e64 s0, |v6|, 1.0
	s_mov_b32 s2, 0x3b2d2a58
	v_cndmask_b32_e64 v4, |v6|, v4, s0
	v_mul_f32_e32 v8, v4, v4
	v_fmaak_f32 v9, s2, v8, 0xbc7a590c
	v_fmaak_f32 v9, v8, v9, 0x3d29fb3f
	;; [unrolled: 1-line block ×7, first 2 shown]
	v_mul_f32_e32 v8, v8, v9
	v_fmac_f32_e32 v4, v4, v8
	v_sub_f32_e32 v8, 0x3fc90fdb, v4
	v_cndmask_b32_e64 v4, v4, v8, s0
	v_bfi_b32 v4, 0x7fffffff, v4, v6
	s_or_b32 exec_lo, exec_lo, s1
	s_and_saveexec_b32 s0, vcc_lo
	s_xor_b32 s0, exec_lo, s0
	s_cbranch_execz .LBB11_19
.LBB11_25:
	v_mov_b32_e32 v6, 0
	v_mov_b32_e32 v0, v7
	v_lshlrev_b64 v[5:6], 2, v[5:6]
	v_add_co_u32 v5, vcc_lo, s8, v5
	v_add_co_ci_u32_e64 v6, null, s9, v6, vcc_lo
	global_store_dword v[5:6], v1, off
	s_or_b32 exec_lo, exec_lo, s0
	s_mov_b32 s0, exec_lo
	v_cmpx_gt_i32_e64 s3, v0
	s_cbranch_execz .LBB11_20
.LBB11_26:
	v_add_nc_u32_e32 v5, s4, v0
	v_mov_b32_e32 v6, 0
	v_add_nc_u32_e32 v0, 0x100, v0
	v_lshlrev_b64 v[5:6], 2, v[5:6]
	v_add_co_u32 v5, vcc_lo, s8, v5
	v_add_co_ci_u32_e64 v6, null, s9, v6, vcc_lo
	global_store_dword v[5:6], v2, off
	s_or_b32 exec_lo, exec_lo, s0
	s_mov_b32 s0, exec_lo
	v_cmpx_gt_i32_e64 s3, v0
	s_cbranch_execz .LBB11_21
.LBB11_27:
	v_add_nc_u32_e32 v1, s4, v0
	v_mov_b32_e32 v2, 0
	v_add_nc_u32_e32 v0, 0x100, v0
	v_lshlrev_b64 v[1:2], 2, v[1:2]
	v_add_co_u32 v1, vcc_lo, s8, v1
	v_add_co_ci_u32_e64 v2, null, s9, v2, vcc_lo
	global_store_dword v[1:2], v3, off
	s_or_b32 exec_lo, exec_lo, s0
	s_mov_b32 s0, exec_lo
	v_cmpx_gt_i32_e64 s3, v0
	s_cbranch_execnz .LBB11_22
	s_branch .LBB11_23
	.section	.rodata,"a",@progbits
	.p2align	6, 0x0
	.amdhsa_kernel _ZN2at6native29vectorized_elementwise_kernelILi2EZZZNS0_16atan_kernel_cudaERNS_18TensorIteratorBaseEENKUlvE0_clEvENKUlvE0_clEvEUlfE_St5arrayIPcLm2EEEEviT0_T1_
		.amdhsa_group_segment_fixed_size 0
		.amdhsa_private_segment_fixed_size 0
		.amdhsa_kernarg_size 24
		.amdhsa_user_sgpr_count 6
		.amdhsa_user_sgpr_private_segment_buffer 1
		.amdhsa_user_sgpr_dispatch_ptr 0
		.amdhsa_user_sgpr_queue_ptr 0
		.amdhsa_user_sgpr_kernarg_segment_ptr 1
		.amdhsa_user_sgpr_dispatch_id 0
		.amdhsa_user_sgpr_flat_scratch_init 0
		.amdhsa_user_sgpr_private_segment_size 0
		.amdhsa_wavefront_size32 1
		.amdhsa_uses_dynamic_stack 0
		.amdhsa_system_sgpr_private_segment_wavefront_offset 0
		.amdhsa_system_sgpr_workgroup_id_x 1
		.amdhsa_system_sgpr_workgroup_id_y 0
		.amdhsa_system_sgpr_workgroup_id_z 0
		.amdhsa_system_sgpr_workgroup_info 0
		.amdhsa_system_vgpr_workitem_id 0
		.amdhsa_next_free_vgpr 18
		.amdhsa_next_free_sgpr 12
		.amdhsa_reserve_vcc 1
		.amdhsa_reserve_flat_scratch 0
		.amdhsa_float_round_mode_32 0
		.amdhsa_float_round_mode_16_64 0
		.amdhsa_float_denorm_mode_32 3
		.amdhsa_float_denorm_mode_16_64 3
		.amdhsa_dx10_clamp 1
		.amdhsa_ieee_mode 1
		.amdhsa_fp16_overflow 0
		.amdhsa_workgroup_processor_mode 1
		.amdhsa_memory_ordered 1
		.amdhsa_forward_progress 1
		.amdhsa_shared_vgpr_count 0
		.amdhsa_exception_fp_ieee_invalid_op 0
		.amdhsa_exception_fp_denorm_src 0
		.amdhsa_exception_fp_ieee_div_zero 0
		.amdhsa_exception_fp_ieee_overflow 0
		.amdhsa_exception_fp_ieee_underflow 0
		.amdhsa_exception_fp_ieee_inexact 0
		.amdhsa_exception_int_div_zero 0
	.end_amdhsa_kernel
	.section	.text._ZN2at6native29vectorized_elementwise_kernelILi2EZZZNS0_16atan_kernel_cudaERNS_18TensorIteratorBaseEENKUlvE0_clEvENKUlvE0_clEvEUlfE_St5arrayIPcLm2EEEEviT0_T1_,"axG",@progbits,_ZN2at6native29vectorized_elementwise_kernelILi2EZZZNS0_16atan_kernel_cudaERNS_18TensorIteratorBaseEENKUlvE0_clEvENKUlvE0_clEvEUlfE_St5arrayIPcLm2EEEEviT0_T1_,comdat
.Lfunc_end11:
	.size	_ZN2at6native29vectorized_elementwise_kernelILi2EZZZNS0_16atan_kernel_cudaERNS_18TensorIteratorBaseEENKUlvE0_clEvENKUlvE0_clEvEUlfE_St5arrayIPcLm2EEEEviT0_T1_, .Lfunc_end11-_ZN2at6native29vectorized_elementwise_kernelILi2EZZZNS0_16atan_kernel_cudaERNS_18TensorIteratorBaseEENKUlvE0_clEvENKUlvE0_clEvEUlfE_St5arrayIPcLm2EEEEviT0_T1_
                                        ; -- End function
	.set _ZN2at6native29vectorized_elementwise_kernelILi2EZZZNS0_16atan_kernel_cudaERNS_18TensorIteratorBaseEENKUlvE0_clEvENKUlvE0_clEvEUlfE_St5arrayIPcLm2EEEEviT0_T1_.num_vgpr, 18
	.set _ZN2at6native29vectorized_elementwise_kernelILi2EZZZNS0_16atan_kernel_cudaERNS_18TensorIteratorBaseEENKUlvE0_clEvENKUlvE0_clEvEUlfE_St5arrayIPcLm2EEEEviT0_T1_.num_agpr, 0
	.set _ZN2at6native29vectorized_elementwise_kernelILi2EZZZNS0_16atan_kernel_cudaERNS_18TensorIteratorBaseEENKUlvE0_clEvENKUlvE0_clEvEUlfE_St5arrayIPcLm2EEEEviT0_T1_.numbered_sgpr, 12
	.set _ZN2at6native29vectorized_elementwise_kernelILi2EZZZNS0_16atan_kernel_cudaERNS_18TensorIteratorBaseEENKUlvE0_clEvENKUlvE0_clEvEUlfE_St5arrayIPcLm2EEEEviT0_T1_.num_named_barrier, 0
	.set _ZN2at6native29vectorized_elementwise_kernelILi2EZZZNS0_16atan_kernel_cudaERNS_18TensorIteratorBaseEENKUlvE0_clEvENKUlvE0_clEvEUlfE_St5arrayIPcLm2EEEEviT0_T1_.private_seg_size, 0
	.set _ZN2at6native29vectorized_elementwise_kernelILi2EZZZNS0_16atan_kernel_cudaERNS_18TensorIteratorBaseEENKUlvE0_clEvENKUlvE0_clEvEUlfE_St5arrayIPcLm2EEEEviT0_T1_.uses_vcc, 1
	.set _ZN2at6native29vectorized_elementwise_kernelILi2EZZZNS0_16atan_kernel_cudaERNS_18TensorIteratorBaseEENKUlvE0_clEvENKUlvE0_clEvEUlfE_St5arrayIPcLm2EEEEviT0_T1_.uses_flat_scratch, 0
	.set _ZN2at6native29vectorized_elementwise_kernelILi2EZZZNS0_16atan_kernel_cudaERNS_18TensorIteratorBaseEENKUlvE0_clEvENKUlvE0_clEvEUlfE_St5arrayIPcLm2EEEEviT0_T1_.has_dyn_sized_stack, 0
	.set _ZN2at6native29vectorized_elementwise_kernelILi2EZZZNS0_16atan_kernel_cudaERNS_18TensorIteratorBaseEENKUlvE0_clEvENKUlvE0_clEvEUlfE_St5arrayIPcLm2EEEEviT0_T1_.has_recursion, 0
	.set _ZN2at6native29vectorized_elementwise_kernelILi2EZZZNS0_16atan_kernel_cudaERNS_18TensorIteratorBaseEENKUlvE0_clEvENKUlvE0_clEvEUlfE_St5arrayIPcLm2EEEEviT0_T1_.has_indirect_call, 0
	.section	.AMDGPU.csdata,"",@progbits
; Kernel info:
; codeLenInByte = 1960
; TotalNumSgprs: 14
; NumVgprs: 18
; ScratchSize: 0
; MemoryBound: 0
; FloatMode: 240
; IeeeMode: 1
; LDSByteSize: 0 bytes/workgroup (compile time only)
; SGPRBlocks: 0
; VGPRBlocks: 2
; NumSGPRsForWavesPerEU: 14
; NumVGPRsForWavesPerEU: 18
; Occupancy: 16
; WaveLimiterHint : 1
; COMPUTE_PGM_RSRC2:SCRATCH_EN: 0
; COMPUTE_PGM_RSRC2:USER_SGPR: 6
; COMPUTE_PGM_RSRC2:TRAP_HANDLER: 0
; COMPUTE_PGM_RSRC2:TGID_X_EN: 1
; COMPUTE_PGM_RSRC2:TGID_Y_EN: 0
; COMPUTE_PGM_RSRC2:TGID_Z_EN: 0
; COMPUTE_PGM_RSRC2:TIDIG_COMP_CNT: 0
	.section	.text._ZN2at6native27unrolled_elementwise_kernelIZZZNS0_16atan_kernel_cudaERNS_18TensorIteratorBaseEENKUlvE0_clEvENKUlvE0_clEvEUlfE_St5arrayIPcLm2EELi4E23TrivialOffsetCalculatorILi1EjESB_NS0_6memory15LoadWithoutCastENSC_16StoreWithoutCastEEEviT_T0_T2_T3_T4_T5_,"axG",@progbits,_ZN2at6native27unrolled_elementwise_kernelIZZZNS0_16atan_kernel_cudaERNS_18TensorIteratorBaseEENKUlvE0_clEvENKUlvE0_clEvEUlfE_St5arrayIPcLm2EELi4E23TrivialOffsetCalculatorILi1EjESB_NS0_6memory15LoadWithoutCastENSC_16StoreWithoutCastEEEviT_T0_T2_T3_T4_T5_,comdat
	.globl	_ZN2at6native27unrolled_elementwise_kernelIZZZNS0_16atan_kernel_cudaERNS_18TensorIteratorBaseEENKUlvE0_clEvENKUlvE0_clEvEUlfE_St5arrayIPcLm2EELi4E23TrivialOffsetCalculatorILi1EjESB_NS0_6memory15LoadWithoutCastENSC_16StoreWithoutCastEEEviT_T0_T2_T3_T4_T5_ ; -- Begin function _ZN2at6native27unrolled_elementwise_kernelIZZZNS0_16atan_kernel_cudaERNS_18TensorIteratorBaseEENKUlvE0_clEvENKUlvE0_clEvEUlfE_St5arrayIPcLm2EELi4E23TrivialOffsetCalculatorILi1EjESB_NS0_6memory15LoadWithoutCastENSC_16StoreWithoutCastEEEviT_T0_T2_T3_T4_T5_
	.p2align	8
	.type	_ZN2at6native27unrolled_elementwise_kernelIZZZNS0_16atan_kernel_cudaERNS_18TensorIteratorBaseEENKUlvE0_clEvENKUlvE0_clEvEUlfE_St5arrayIPcLm2EELi4E23TrivialOffsetCalculatorILi1EjESB_NS0_6memory15LoadWithoutCastENSC_16StoreWithoutCastEEEviT_T0_T2_T3_T4_T5_,@function
_ZN2at6native27unrolled_elementwise_kernelIZZZNS0_16atan_kernel_cudaERNS_18TensorIteratorBaseEENKUlvE0_clEvENKUlvE0_clEvEUlfE_St5arrayIPcLm2EELi4E23TrivialOffsetCalculatorILi1EjESB_NS0_6memory15LoadWithoutCastENSC_16StoreWithoutCastEEEviT_T0_T2_T3_T4_T5_: ; @_ZN2at6native27unrolled_elementwise_kernelIZZZNS0_16atan_kernel_cudaERNS_18TensorIteratorBaseEENKUlvE0_clEvENKUlvE0_clEvEUlfE_St5arrayIPcLm2EELi4E23TrivialOffsetCalculatorILi1EjESB_NS0_6memory15LoadWithoutCastENSC_16StoreWithoutCastEEEviT_T0_T2_T3_T4_T5_
; %bb.0:
	s_clause 0x1
	s_load_dword s0, s[4:5], 0x0
	s_load_dwordx4 s[8:11], s[4:5], 0x8
	s_lshl_b32 s1, s6, 10
	v_mov_b32_e32 v8, 0
	v_mov_b32_e32 v10, 0
	v_or_b32_e32 v5, s1, v0
	v_or_b32_e32 v7, 0x100, v0
	v_mov_b32_e32 v1, v0
	s_waitcnt lgkmcnt(0)
	s_sub_i32 s2, s0, s1
	v_cmp_gt_i32_e32 vcc_lo, s2, v0
	s_and_saveexec_b32 s3, vcc_lo
	s_cbranch_execz .LBB12_2
; %bb.1:
	v_mov_b32_e32 v6, 0
	v_lshlrev_b64 v[1:2], 2, v[5:6]
	v_add_co_u32 v1, s0, s10, v1
	v_add_co_ci_u32_e64 v2, null, s11, v2, s0
	global_load_dword v10, v[1:2], off
	v_or_b32_e32 v1, 0x100, v0
.LBB12_2:
	s_or_b32 exec_lo, exec_lo, s3
	s_mov_b32 s3, exec_lo
	v_cmpx_gt_i32_e64 s2, v1
	s_cbranch_execz .LBB12_4
; %bb.3:
	v_add_nc_u32_e32 v2, s1, v1
	v_mov_b32_e32 v3, 0
	v_add_nc_u32_e32 v1, 0x100, v1
	v_lshlrev_b64 v[2:3], 2, v[2:3]
	v_add_co_u32 v2, s0, s10, v2
	v_add_co_ci_u32_e64 v3, null, s11, v3, s0
	global_load_dword v8, v[2:3], off
.LBB12_4:
	s_or_b32 exec_lo, exec_lo, s3
	v_mov_b32_e32 v6, 0
	v_mov_b32_e32 v9, 0
	s_mov_b32 s3, exec_lo
	v_cmpx_gt_i32_e64 s2, v1
	s_cbranch_execz .LBB12_6
; %bb.5:
	v_add_nc_u32_e32 v2, s1, v1
	v_mov_b32_e32 v3, 0
	v_add_nc_u32_e32 v1, 0x100, v1
	v_lshlrev_b64 v[2:3], 2, v[2:3]
	v_add_co_u32 v2, s0, s10, v2
	v_add_co_ci_u32_e64 v3, null, s11, v3, s0
	global_load_dword v9, v[2:3], off
.LBB12_6:
	s_or_b32 exec_lo, exec_lo, s3
	s_mov_b32 s3, exec_lo
	v_cmpx_gt_i32_e64 s2, v1
	s_cbranch_execz .LBB12_8
; %bb.7:
	v_add_nc_u32_e32 v1, s1, v1
	v_mov_b32_e32 v2, 0
	v_lshlrev_b64 v[1:2], 2, v[1:2]
	v_add_co_u32 v1, s0, s10, v1
	v_add_co_ci_u32_e64 v2, null, s11, v2, s0
	global_load_dword v6, v[1:2], off
.LBB12_8:
	s_or_b32 exec_lo, exec_lo, s3
	v_mov_b32_e32 v1, 0
	v_mov_b32_e32 v2, v1
	v_mov_b32_e32 v3, v1
	v_mov_b32_e32 v4, v1
	s_and_saveexec_b32 s3, vcc_lo
	s_cbranch_execz .LBB12_10
; %bb.9:
	s_waitcnt vmcnt(0)
	v_rcp_f32_e64 v2, |v10|
	v_cmp_gt_f32_e64 s0, |v10|, 1.0
	s_mov_b32 s4, 0x3b2d2a58
	v_mov_b32_e32 v11, v1
	v_mov_b32_e32 v12, v1
	;; [unrolled: 1-line block ×3, first 2 shown]
	v_cndmask_b32_e64 v2, |v10|, v2, s0
	v_mul_f32_e32 v3, v2, v2
	v_fmaak_f32 v4, s4, v3, 0xbc7a590c
	v_fmaak_f32 v4, v3, v4, 0x3d29fb3f
	;; [unrolled: 1-line block ×7, first 2 shown]
	v_mul_f32_e32 v3, v3, v4
	v_fmac_f32_e32 v2, v2, v3
	v_sub_f32_e32 v3, 0x3fc90fdb, v2
	v_cndmask_b32_e64 v2, v2, v3, s0
	v_bfi_b32 v10, 0x7fffffff, v2, v10
	v_mov_b32_e32 v1, v10
	v_mov_b32_e32 v2, v11
	;; [unrolled: 1-line block ×4, first 2 shown]
.LBB12_10:
	s_or_b32 exec_lo, exec_lo, s3
	s_mov_b32 s3, exec_lo
	v_cmpx_gt_i32_e64 s2, v7
	s_cbranch_execz .LBB12_12
; %bb.11:
	s_waitcnt vmcnt(0)
	v_rcp_f32_e64 v2, |v8|
	v_cmp_gt_f32_e64 s0, |v8|, 1.0
	s_mov_b32 s4, 0x3b2d2a58
	v_cndmask_b32_e64 v2, |v8|, v2, s0
	v_mul_f32_e32 v10, v2, v2
	v_fmaak_f32 v11, s4, v10, 0xbc7a590c
	v_fmaak_f32 v11, v10, v11, 0x3d29fb3f
	;; [unrolled: 1-line block ×7, first 2 shown]
	v_mul_f32_e32 v10, v10, v11
	v_fmac_f32_e32 v2, v2, v10
	v_sub_f32_e32 v10, 0x3fc90fdb, v2
	v_cndmask_b32_e64 v2, v2, v10, s0
	v_bfi_b32 v2, 0x7fffffff, v2, v8
.LBB12_12:
	s_or_b32 exec_lo, exec_lo, s3
	s_waitcnt vmcnt(0)
	v_or_b32_e32 v8, 0x200, v0
	s_mov_b32 s3, exec_lo
	v_cmpx_gt_i32_e64 s2, v8
	s_cbranch_execz .LBB12_14
; %bb.13:
	v_rcp_f32_e64 v3, |v9|
	v_cmp_gt_f32_e64 s0, |v9|, 1.0
	s_mov_b32 s4, 0x3b2d2a58
	v_cndmask_b32_e64 v3, |v9|, v3, s0
	v_mul_f32_e32 v8, v3, v3
	v_fmaak_f32 v10, s4, v8, 0xbc7a590c
	v_fmaak_f32 v10, v8, v10, 0x3d29fb3f
	;; [unrolled: 1-line block ×7, first 2 shown]
	v_mul_f32_e32 v8, v8, v10
	v_fmac_f32_e32 v3, v3, v8
	v_sub_f32_e32 v8, 0x3fc90fdb, v3
	v_cndmask_b32_e64 v3, v3, v8, s0
	v_bfi_b32 v3, 0x7fffffff, v3, v9
.LBB12_14:
	s_or_b32 exec_lo, exec_lo, s3
	v_or_b32_e32 v8, 0x300, v0
	s_mov_b32 s3, exec_lo
	v_cmpx_gt_i32_e64 s2, v8
	s_cbranch_execnz .LBB12_20
; %bb.15:
	s_or_b32 exec_lo, exec_lo, s3
	s_and_saveexec_b32 s0, vcc_lo
	s_xor_b32 s0, exec_lo, s0
	s_cbranch_execnz .LBB12_21
.LBB12_16:
	s_or_b32 exec_lo, exec_lo, s0
	s_mov_b32 s0, exec_lo
	v_cmpx_gt_i32_e64 s2, v0
	s_cbranch_execnz .LBB12_22
.LBB12_17:
	s_or_b32 exec_lo, exec_lo, s0
	s_mov_b32 s0, exec_lo
	v_cmpx_gt_i32_e64 s2, v0
	s_cbranch_execnz .LBB12_23
.LBB12_18:
	s_or_b32 exec_lo, exec_lo, s0
	s_mov_b32 s0, exec_lo
	v_cmpx_gt_i32_e64 s2, v0
	s_cbranch_execnz .LBB12_24
.LBB12_19:
	s_endpgm
.LBB12_20:
	v_rcp_f32_e64 v4, |v6|
	v_cmp_gt_f32_e64 s0, |v6|, 1.0
	s_mov_b32 s4, 0x3b2d2a58
	v_cndmask_b32_e64 v4, |v6|, v4, s0
	v_mul_f32_e32 v8, v4, v4
	v_fmaak_f32 v9, s4, v8, 0xbc7a590c
	v_fmaak_f32 v9, v8, v9, 0x3d29fb3f
	;; [unrolled: 1-line block ×7, first 2 shown]
	v_mul_f32_e32 v8, v8, v9
	v_fmac_f32_e32 v4, v4, v8
	v_sub_f32_e32 v8, 0x3fc90fdb, v4
	v_cndmask_b32_e64 v4, v4, v8, s0
	v_bfi_b32 v4, 0x7fffffff, v4, v6
	s_or_b32 exec_lo, exec_lo, s3
	s_and_saveexec_b32 s0, vcc_lo
	s_xor_b32 s0, exec_lo, s0
	s_cbranch_execz .LBB12_16
.LBB12_21:
	v_mov_b32_e32 v6, 0
	v_mov_b32_e32 v0, v7
	v_lshlrev_b64 v[5:6], 2, v[5:6]
	v_add_co_u32 v5, vcc_lo, s8, v5
	v_add_co_ci_u32_e64 v6, null, s9, v6, vcc_lo
	global_store_dword v[5:6], v1, off
	s_or_b32 exec_lo, exec_lo, s0
	s_mov_b32 s0, exec_lo
	v_cmpx_gt_i32_e64 s2, v0
	s_cbranch_execz .LBB12_17
.LBB12_22:
	v_add_nc_u32_e32 v5, s1, v0
	v_mov_b32_e32 v6, 0
	v_add_nc_u32_e32 v0, 0x100, v0
	v_lshlrev_b64 v[5:6], 2, v[5:6]
	v_add_co_u32 v5, vcc_lo, s8, v5
	v_add_co_ci_u32_e64 v6, null, s9, v6, vcc_lo
	global_store_dword v[5:6], v2, off
	s_or_b32 exec_lo, exec_lo, s0
	s_mov_b32 s0, exec_lo
	v_cmpx_gt_i32_e64 s2, v0
	s_cbranch_execz .LBB12_18
.LBB12_23:
	v_add_nc_u32_e32 v1, s1, v0
	v_mov_b32_e32 v2, 0
	v_add_nc_u32_e32 v0, 0x100, v0
	v_lshlrev_b64 v[1:2], 2, v[1:2]
	v_add_co_u32 v1, vcc_lo, s8, v1
	v_add_co_ci_u32_e64 v2, null, s9, v2, vcc_lo
	global_store_dword v[1:2], v3, off
	s_or_b32 exec_lo, exec_lo, s0
	s_mov_b32 s0, exec_lo
	v_cmpx_gt_i32_e64 s2, v0
	s_cbranch_execz .LBB12_19
.LBB12_24:
	v_add_nc_u32_e32 v0, s1, v0
	v_mov_b32_e32 v1, 0
	v_lshlrev_b64 v[0:1], 2, v[0:1]
	v_add_co_u32 v0, vcc_lo, s8, v0
	v_add_co_ci_u32_e64 v1, null, s9, v1, vcc_lo
	global_store_dword v[0:1], v4, off
	s_endpgm
	.section	.rodata,"a",@progbits
	.p2align	6, 0x0
	.amdhsa_kernel _ZN2at6native27unrolled_elementwise_kernelIZZZNS0_16atan_kernel_cudaERNS_18TensorIteratorBaseEENKUlvE0_clEvENKUlvE0_clEvEUlfE_St5arrayIPcLm2EELi4E23TrivialOffsetCalculatorILi1EjESB_NS0_6memory15LoadWithoutCastENSC_16StoreWithoutCastEEEviT_T0_T2_T3_T4_T5_
		.amdhsa_group_segment_fixed_size 0
		.amdhsa_private_segment_fixed_size 0
		.amdhsa_kernarg_size 28
		.amdhsa_user_sgpr_count 6
		.amdhsa_user_sgpr_private_segment_buffer 1
		.amdhsa_user_sgpr_dispatch_ptr 0
		.amdhsa_user_sgpr_queue_ptr 0
		.amdhsa_user_sgpr_kernarg_segment_ptr 1
		.amdhsa_user_sgpr_dispatch_id 0
		.amdhsa_user_sgpr_flat_scratch_init 0
		.amdhsa_user_sgpr_private_segment_size 0
		.amdhsa_wavefront_size32 1
		.amdhsa_uses_dynamic_stack 0
		.amdhsa_system_sgpr_private_segment_wavefront_offset 0
		.amdhsa_system_sgpr_workgroup_id_x 1
		.amdhsa_system_sgpr_workgroup_id_y 0
		.amdhsa_system_sgpr_workgroup_id_z 0
		.amdhsa_system_sgpr_workgroup_info 0
		.amdhsa_system_vgpr_workitem_id 0
		.amdhsa_next_free_vgpr 14
		.amdhsa_next_free_sgpr 12
		.amdhsa_reserve_vcc 1
		.amdhsa_reserve_flat_scratch 0
		.amdhsa_float_round_mode_32 0
		.amdhsa_float_round_mode_16_64 0
		.amdhsa_float_denorm_mode_32 3
		.amdhsa_float_denorm_mode_16_64 3
		.amdhsa_dx10_clamp 1
		.amdhsa_ieee_mode 1
		.amdhsa_fp16_overflow 0
		.amdhsa_workgroup_processor_mode 1
		.amdhsa_memory_ordered 1
		.amdhsa_forward_progress 1
		.amdhsa_shared_vgpr_count 0
		.amdhsa_exception_fp_ieee_invalid_op 0
		.amdhsa_exception_fp_denorm_src 0
		.amdhsa_exception_fp_ieee_div_zero 0
		.amdhsa_exception_fp_ieee_overflow 0
		.amdhsa_exception_fp_ieee_underflow 0
		.amdhsa_exception_fp_ieee_inexact 0
		.amdhsa_exception_int_div_zero 0
	.end_amdhsa_kernel
	.section	.text._ZN2at6native27unrolled_elementwise_kernelIZZZNS0_16atan_kernel_cudaERNS_18TensorIteratorBaseEENKUlvE0_clEvENKUlvE0_clEvEUlfE_St5arrayIPcLm2EELi4E23TrivialOffsetCalculatorILi1EjESB_NS0_6memory15LoadWithoutCastENSC_16StoreWithoutCastEEEviT_T0_T2_T3_T4_T5_,"axG",@progbits,_ZN2at6native27unrolled_elementwise_kernelIZZZNS0_16atan_kernel_cudaERNS_18TensorIteratorBaseEENKUlvE0_clEvENKUlvE0_clEvEUlfE_St5arrayIPcLm2EELi4E23TrivialOffsetCalculatorILi1EjESB_NS0_6memory15LoadWithoutCastENSC_16StoreWithoutCastEEEviT_T0_T2_T3_T4_T5_,comdat
.Lfunc_end12:
	.size	_ZN2at6native27unrolled_elementwise_kernelIZZZNS0_16atan_kernel_cudaERNS_18TensorIteratorBaseEENKUlvE0_clEvENKUlvE0_clEvEUlfE_St5arrayIPcLm2EELi4E23TrivialOffsetCalculatorILi1EjESB_NS0_6memory15LoadWithoutCastENSC_16StoreWithoutCastEEEviT_T0_T2_T3_T4_T5_, .Lfunc_end12-_ZN2at6native27unrolled_elementwise_kernelIZZZNS0_16atan_kernel_cudaERNS_18TensorIteratorBaseEENKUlvE0_clEvENKUlvE0_clEvEUlfE_St5arrayIPcLm2EELi4E23TrivialOffsetCalculatorILi1EjESB_NS0_6memory15LoadWithoutCastENSC_16StoreWithoutCastEEEviT_T0_T2_T3_T4_T5_
                                        ; -- End function
	.set _ZN2at6native27unrolled_elementwise_kernelIZZZNS0_16atan_kernel_cudaERNS_18TensorIteratorBaseEENKUlvE0_clEvENKUlvE0_clEvEUlfE_St5arrayIPcLm2EELi4E23TrivialOffsetCalculatorILi1EjESB_NS0_6memory15LoadWithoutCastENSC_16StoreWithoutCastEEEviT_T0_T2_T3_T4_T5_.num_vgpr, 14
	.set _ZN2at6native27unrolled_elementwise_kernelIZZZNS0_16atan_kernel_cudaERNS_18TensorIteratorBaseEENKUlvE0_clEvENKUlvE0_clEvEUlfE_St5arrayIPcLm2EELi4E23TrivialOffsetCalculatorILi1EjESB_NS0_6memory15LoadWithoutCastENSC_16StoreWithoutCastEEEviT_T0_T2_T3_T4_T5_.num_agpr, 0
	.set _ZN2at6native27unrolled_elementwise_kernelIZZZNS0_16atan_kernel_cudaERNS_18TensorIteratorBaseEENKUlvE0_clEvENKUlvE0_clEvEUlfE_St5arrayIPcLm2EELi4E23TrivialOffsetCalculatorILi1EjESB_NS0_6memory15LoadWithoutCastENSC_16StoreWithoutCastEEEviT_T0_T2_T3_T4_T5_.numbered_sgpr, 12
	.set _ZN2at6native27unrolled_elementwise_kernelIZZZNS0_16atan_kernel_cudaERNS_18TensorIteratorBaseEENKUlvE0_clEvENKUlvE0_clEvEUlfE_St5arrayIPcLm2EELi4E23TrivialOffsetCalculatorILi1EjESB_NS0_6memory15LoadWithoutCastENSC_16StoreWithoutCastEEEviT_T0_T2_T3_T4_T5_.num_named_barrier, 0
	.set _ZN2at6native27unrolled_elementwise_kernelIZZZNS0_16atan_kernel_cudaERNS_18TensorIteratorBaseEENKUlvE0_clEvENKUlvE0_clEvEUlfE_St5arrayIPcLm2EELi4E23TrivialOffsetCalculatorILi1EjESB_NS0_6memory15LoadWithoutCastENSC_16StoreWithoutCastEEEviT_T0_T2_T3_T4_T5_.private_seg_size, 0
	.set _ZN2at6native27unrolled_elementwise_kernelIZZZNS0_16atan_kernel_cudaERNS_18TensorIteratorBaseEENKUlvE0_clEvENKUlvE0_clEvEUlfE_St5arrayIPcLm2EELi4E23TrivialOffsetCalculatorILi1EjESB_NS0_6memory15LoadWithoutCastENSC_16StoreWithoutCastEEEviT_T0_T2_T3_T4_T5_.uses_vcc, 1
	.set _ZN2at6native27unrolled_elementwise_kernelIZZZNS0_16atan_kernel_cudaERNS_18TensorIteratorBaseEENKUlvE0_clEvENKUlvE0_clEvEUlfE_St5arrayIPcLm2EELi4E23TrivialOffsetCalculatorILi1EjESB_NS0_6memory15LoadWithoutCastENSC_16StoreWithoutCastEEEviT_T0_T2_T3_T4_T5_.uses_flat_scratch, 0
	.set _ZN2at6native27unrolled_elementwise_kernelIZZZNS0_16atan_kernel_cudaERNS_18TensorIteratorBaseEENKUlvE0_clEvENKUlvE0_clEvEUlfE_St5arrayIPcLm2EELi4E23TrivialOffsetCalculatorILi1EjESB_NS0_6memory15LoadWithoutCastENSC_16StoreWithoutCastEEEviT_T0_T2_T3_T4_T5_.has_dyn_sized_stack, 0
	.set _ZN2at6native27unrolled_elementwise_kernelIZZZNS0_16atan_kernel_cudaERNS_18TensorIteratorBaseEENKUlvE0_clEvENKUlvE0_clEvEUlfE_St5arrayIPcLm2EELi4E23TrivialOffsetCalculatorILi1EjESB_NS0_6memory15LoadWithoutCastENSC_16StoreWithoutCastEEEviT_T0_T2_T3_T4_T5_.has_recursion, 0
	.set _ZN2at6native27unrolled_elementwise_kernelIZZZNS0_16atan_kernel_cudaERNS_18TensorIteratorBaseEENKUlvE0_clEvENKUlvE0_clEvEUlfE_St5arrayIPcLm2EELi4E23TrivialOffsetCalculatorILi1EjESB_NS0_6memory15LoadWithoutCastENSC_16StoreWithoutCastEEEviT_T0_T2_T3_T4_T5_.has_indirect_call, 0
	.section	.AMDGPU.csdata,"",@progbits
; Kernel info:
; codeLenInByte = 1308
; TotalNumSgprs: 14
; NumVgprs: 14
; ScratchSize: 0
; MemoryBound: 0
; FloatMode: 240
; IeeeMode: 1
; LDSByteSize: 0 bytes/workgroup (compile time only)
; SGPRBlocks: 0
; VGPRBlocks: 1
; NumSGPRsForWavesPerEU: 14
; NumVGPRsForWavesPerEU: 14
; Occupancy: 16
; WaveLimiterHint : 0
; COMPUTE_PGM_RSRC2:SCRATCH_EN: 0
; COMPUTE_PGM_RSRC2:USER_SGPR: 6
; COMPUTE_PGM_RSRC2:TRAP_HANDLER: 0
; COMPUTE_PGM_RSRC2:TGID_X_EN: 1
; COMPUTE_PGM_RSRC2:TGID_Y_EN: 0
; COMPUTE_PGM_RSRC2:TGID_Z_EN: 0
; COMPUTE_PGM_RSRC2:TIDIG_COMP_CNT: 0
	.section	.text._ZN2at6native32elementwise_kernel_manual_unrollILi128ELi4EZNS0_22gpu_kernel_impl_nocastIZZZNS0_16atan_kernel_cudaERNS_18TensorIteratorBaseEENKUlvE0_clEvENKUlvE0_clEvEUlfE_EEvS4_RKT_EUlibE_EEviT1_,"axG",@progbits,_ZN2at6native32elementwise_kernel_manual_unrollILi128ELi4EZNS0_22gpu_kernel_impl_nocastIZZZNS0_16atan_kernel_cudaERNS_18TensorIteratorBaseEENKUlvE0_clEvENKUlvE0_clEvEUlfE_EEvS4_RKT_EUlibE_EEviT1_,comdat
	.globl	_ZN2at6native32elementwise_kernel_manual_unrollILi128ELi4EZNS0_22gpu_kernel_impl_nocastIZZZNS0_16atan_kernel_cudaERNS_18TensorIteratorBaseEENKUlvE0_clEvENKUlvE0_clEvEUlfE_EEvS4_RKT_EUlibE_EEviT1_ ; -- Begin function _ZN2at6native32elementwise_kernel_manual_unrollILi128ELi4EZNS0_22gpu_kernel_impl_nocastIZZZNS0_16atan_kernel_cudaERNS_18TensorIteratorBaseEENKUlvE0_clEvENKUlvE0_clEvEUlfE_EEvS4_RKT_EUlibE_EEviT1_
	.p2align	8
	.type	_ZN2at6native32elementwise_kernel_manual_unrollILi128ELi4EZNS0_22gpu_kernel_impl_nocastIZZZNS0_16atan_kernel_cudaERNS_18TensorIteratorBaseEENKUlvE0_clEvENKUlvE0_clEvEUlfE_EEvS4_RKT_EUlibE_EEviT1_,@function
_ZN2at6native32elementwise_kernel_manual_unrollILi128ELi4EZNS0_22gpu_kernel_impl_nocastIZZZNS0_16atan_kernel_cudaERNS_18TensorIteratorBaseEENKUlvE0_clEvENKUlvE0_clEvEUlfE_EEvS4_RKT_EUlibE_EEviT1_: ; @_ZN2at6native32elementwise_kernel_manual_unrollILi128ELi4EZNS0_22gpu_kernel_impl_nocastIZZZNS0_16atan_kernel_cudaERNS_18TensorIteratorBaseEENKUlvE0_clEvENKUlvE0_clEvEUlfE_EEvS4_RKT_EUlibE_EEviT1_
; %bb.0:
	s_clause 0x1
	s_load_dword s22, s[4:5], 0x8
	s_load_dword s27, s[4:5], 0x0
	v_lshl_or_b32 v7, s6, 9, v0
	s_add_u32 s12, s4, 8
	s_addc_u32 s13, s5, 0
	s_mov_b32 s0, exec_lo
	v_or_b32_e32 v13, 0x180, v7
	s_waitcnt lgkmcnt(0)
	s_add_i32 s23, s22, -1
	s_cmp_gt_u32 s23, 1
	s_cselect_b32 s24, -1, 0
	v_cmpx_le_i32_e64 s27, v13
	s_xor_b32 s25, exec_lo, s0
	s_cbranch_execz .LBB13_7
; %bb.1:
	s_clause 0x3
	s_load_dwordx4 s[8:11], s[12:13], 0x4
	s_load_dwordx2 s[14:15], s[12:13], 0x14
	s_load_dwordx4 s[4:7], s[12:13], 0xc4
	s_load_dwordx4 s[0:3], s[12:13], 0x148
	s_cmp_lg_u32 s22, 0
	s_mov_b32 s30, exec_lo
	s_cselect_b32 s29, -1, 0
	s_add_u32 s16, s12, 0xc4
	s_addc_u32 s17, s13, 0
	s_min_u32 s28, s23, 15
	s_cmp_gt_u32 s22, 1
	s_cselect_b32 s26, -1, 0
	v_cmpx_gt_i32_e64 s27, v7
	s_cbranch_execz .LBB13_14
; %bb.2:
	s_andn2_b32 vcc_lo, exec_lo, s24
	s_cbranch_vccnz .LBB13_21
; %bb.3:
	s_andn2_b32 vcc_lo, exec_lo, s29
	s_cbranch_vccnz .LBB13_73
; %bb.4:
	s_add_i32 s33, s28, 1
	s_cmp_eq_u32 s23, 2
	s_cbranch_scc1 .LBB13_75
; %bb.5:
	v_mov_b32_e32 v2, 0
	v_mov_b32_e32 v0, 0
	;; [unrolled: 1-line block ×3, first 2 shown]
	s_and_b32 s31, s33, 28
	s_mov_b32 s34, 0
	s_mov_b64 s[18:19], s[12:13]
	s_mov_b64 s[20:21], s[16:17]
.LBB13_6:                               ; =>This Inner Loop Header: Depth=1
	s_clause 0x1
	s_load_dwordx8 s[36:43], s[18:19], 0x4
	s_load_dwordx4 s[52:55], s[18:19], 0x24
	s_load_dwordx8 s[44:51], s[20:21], 0x0
	s_add_u32 s18, s18, 48
	s_addc_u32 s19, s19, 0
	s_add_i32 s34, s34, 4
	s_add_u32 s20, s20, 32
	s_addc_u32 s21, s21, 0
	s_cmp_lg_u32 s31, s34
	s_waitcnt lgkmcnt(0)
	v_mul_hi_u32 v3, s37, v1
	v_add_nc_u32_e32 v3, v1, v3
	v_lshrrev_b32_e32 v3, s38, v3
	v_mul_hi_u32 v4, s40, v3
	v_mul_lo_u32 v6, v3, s36
	v_add_nc_u32_e32 v4, v3, v4
	v_sub_nc_u32_e32 v1, v1, v6
	v_lshrrev_b32_e32 v4, s41, v4
	v_mul_lo_u32 v6, v1, s44
	v_mul_lo_u32 v9, v1, s45
	v_mul_hi_u32 v5, s43, v4
	v_add_nc_u32_e32 v5, v4, v5
	v_lshrrev_b32_e32 v5, s52, v5
	v_mul_hi_u32 v8, s54, v5
	v_mul_lo_u32 v10, v5, s42
	v_add_nc_u32_e32 v1, v5, v8
	v_mul_lo_u32 v8, v4, s39
	v_sub_nc_u32_e32 v4, v4, v10
	v_lshrrev_b32_e32 v1, s55, v1
	v_mul_lo_u32 v10, v4, s48
	v_mul_lo_u32 v4, v4, s49
	v_sub_nc_u32_e32 v3, v3, v8
	v_mul_lo_u32 v11, v1, s53
	v_mul_lo_u32 v8, v3, s46
	;; [unrolled: 1-line block ×3, first 2 shown]
	v_sub_nc_u32_e32 v5, v5, v11
	v_add3_u32 v0, v6, v0, v8
	v_mul_lo_u32 v11, v5, s50
	v_mul_lo_u32 v5, v5, s51
	v_add3_u32 v2, v9, v2, v3
	v_add3_u32 v0, v10, v0, v11
	;; [unrolled: 1-line block ×3, first 2 shown]
	s_cbranch_scc1 .LBB13_6
	s_branch .LBB13_76
.LBB13_7:
	s_andn2_saveexec_b32 s0, s25
	s_cbranch_execz .LBB13_101
.LBB13_8:
	v_cndmask_b32_e64 v10, 0, 1, s24
	s_andn2_b32 vcc_lo, exec_lo, s24
	s_cbranch_vccnz .LBB13_20
; %bb.9:
	s_cmp_lg_u32 s22, 0
	s_mov_b32 s4, 0
	s_cbranch_scc0 .LBB13_23
; %bb.10:
	s_min_u32 s6, s23, 15
	s_add_i32 s6, s6, 1
	s_cmp_eq_u32 s23, 2
	s_cbranch_scc1 .LBB13_24
; %bb.11:
	v_mov_b32_e32 v2, 0
	v_mov_b32_e32 v0, 0
	;; [unrolled: 1-line block ×3, first 2 shown]
	s_and_b32 s5, s6, 28
	s_add_u32 s0, s12, 0xc4
	s_addc_u32 s1, s13, 0
	s_mov_b32 s7, 0
	s_mov_b64 s[2:3], s[12:13]
.LBB13_12:                              ; =>This Inner Loop Header: Depth=1
	s_clause 0x1
	s_load_dwordx8 s[24:31], s[2:3], 0x4
	s_load_dwordx4 s[8:11], s[2:3], 0x24
	s_load_dwordx8 s[36:43], s[0:1], 0x0
	s_add_u32 s2, s2, 48
	s_addc_u32 s3, s3, 0
	s_add_i32 s7, s7, 4
	s_add_u32 s0, s0, 32
	s_addc_u32 s1, s1, 0
	s_cmp_lg_u32 s5, s7
	s_waitcnt lgkmcnt(0)
	v_mul_hi_u32 v3, s25, v1
	v_add_nc_u32_e32 v3, v1, v3
	v_lshrrev_b32_e32 v3, s26, v3
	v_mul_hi_u32 v4, s28, v3
	v_mul_lo_u32 v6, v3, s24
	v_add_nc_u32_e32 v4, v3, v4
	v_sub_nc_u32_e32 v1, v1, v6
	v_lshrrev_b32_e32 v4, s29, v4
	v_mul_lo_u32 v6, v1, s36
	v_mul_lo_u32 v9, v1, s37
	v_mul_hi_u32 v5, s31, v4
	v_add_nc_u32_e32 v5, v4, v5
	v_lshrrev_b32_e32 v5, s8, v5
	v_mul_hi_u32 v8, s10, v5
	v_mul_lo_u32 v11, v5, s30
	v_add_nc_u32_e32 v1, v5, v8
	v_mul_lo_u32 v8, v4, s27
	v_sub_nc_u32_e32 v4, v4, v11
	v_lshrrev_b32_e32 v1, s11, v1
	v_mul_lo_u32 v11, v4, s40
	v_mul_lo_u32 v4, v4, s41
	v_sub_nc_u32_e32 v3, v3, v8
	v_mul_lo_u32 v12, v1, s9
	v_mul_lo_u32 v8, v3, s38
	;; [unrolled: 1-line block ×3, first 2 shown]
	v_sub_nc_u32_e32 v5, v5, v12
	v_add3_u32 v0, v6, v0, v8
	v_mul_lo_u32 v12, v5, s42
	v_mul_lo_u32 v5, v5, s43
	v_add3_u32 v2, v9, v2, v3
	v_add3_u32 v0, v11, v0, v12
	;; [unrolled: 1-line block ×3, first 2 shown]
	s_cbranch_scc1 .LBB13_12
; %bb.13:
	s_and_b32 s6, s6, 3
	s_cmp_eq_u32 s6, 0
	s_cbranch_scc0 .LBB13_25
	s_branch .LBB13_27
.LBB13_14:
	s_or_b32 exec_lo, exec_lo, s30
	s_mov_b32 s30, exec_lo
	v_cmpx_gt_i32_e64 s27, v7
	s_cbranch_execz .LBB13_83
.LBB13_15:
	s_andn2_b32 vcc_lo, exec_lo, s24
	s_cbranch_vccnz .LBB13_22
; %bb.16:
	s_andn2_b32 vcc_lo, exec_lo, s29
	s_cbranch_vccnz .LBB13_74
; %bb.17:
	s_add_i32 s33, s28, 1
	s_cmp_eq_u32 s23, 2
	s_cbranch_scc1 .LBB13_91
; %bb.18:
	v_mov_b32_e32 v2, 0
	v_mov_b32_e32 v0, 0
	;; [unrolled: 1-line block ×3, first 2 shown]
	s_and_b32 s31, s33, 28
	s_mov_b32 s34, 0
	s_mov_b64 s[18:19], s[12:13]
	s_mov_b64 s[20:21], s[16:17]
.LBB13_19:                              ; =>This Inner Loop Header: Depth=1
	s_clause 0x1
	s_load_dwordx8 s[36:43], s[18:19], 0x4
	s_load_dwordx4 s[52:55], s[18:19], 0x24
	s_load_dwordx8 s[44:51], s[20:21], 0x0
	s_add_u32 s18, s18, 48
	s_addc_u32 s19, s19, 0
	s_add_i32 s34, s34, 4
	s_add_u32 s20, s20, 32
	s_addc_u32 s21, s21, 0
	s_cmp_eq_u32 s31, s34
	s_waitcnt lgkmcnt(0)
	v_mul_hi_u32 v3, s37, v1
	v_add_nc_u32_e32 v3, v1, v3
	v_lshrrev_b32_e32 v3, s38, v3
	v_mul_hi_u32 v4, s40, v3
	v_mul_lo_u32 v6, v3, s36
	v_add_nc_u32_e32 v4, v3, v4
	v_sub_nc_u32_e32 v1, v1, v6
	v_lshrrev_b32_e32 v4, s41, v4
	v_mul_lo_u32 v6, v1, s44
	v_mul_lo_u32 v9, v1, s45
	v_mul_hi_u32 v5, s43, v4
	v_add_nc_u32_e32 v5, v4, v5
	v_lshrrev_b32_e32 v5, s52, v5
	v_mul_hi_u32 v8, s54, v5
	v_mul_lo_u32 v10, v5, s42
	v_add_nc_u32_e32 v1, v5, v8
	v_mul_lo_u32 v8, v4, s39
	v_sub_nc_u32_e32 v4, v4, v10
	v_lshrrev_b32_e32 v1, s55, v1
	v_mul_lo_u32 v10, v4, s48
	v_mul_lo_u32 v4, v4, s49
	v_sub_nc_u32_e32 v3, v3, v8
	v_mul_lo_u32 v11, v1, s53
	v_mul_lo_u32 v8, v3, s46
	v_mul_lo_u32 v3, v3, s47
	v_sub_nc_u32_e32 v5, v5, v11
	v_add3_u32 v0, v6, v0, v8
	v_mul_lo_u32 v11, v5, s50
	v_mul_lo_u32 v5, v5, s51
	v_add3_u32 v2, v9, v2, v3
	v_add3_u32 v0, v10, v0, v11
	;; [unrolled: 1-line block ×3, first 2 shown]
	s_cbranch_scc0 .LBB13_19
	s_branch .LBB13_92
.LBB13_20:
	s_mov_b32 s4, -1
                                        ; implicit-def: $vgpr0
                                        ; implicit-def: $vgpr2
	s_branch .LBB13_27
.LBB13_21:
                                        ; implicit-def: $vgpr0
                                        ; implicit-def: $vgpr2
	s_branch .LBB13_80
.LBB13_22:
                                        ; implicit-def: $vgpr0
                                        ; implicit-def: $vgpr2
	s_branch .LBB13_96
.LBB13_23:
	v_mov_b32_e32 v0, 0
	v_mov_b32_e32 v2, 0
	s_branch .LBB13_27
.LBB13_24:
	v_mov_b32_e32 v0, 0
	v_mov_b32_e32 v2, 0
	;; [unrolled: 1-line block ×3, first 2 shown]
	s_mov_b32 s5, 0
	s_and_b32 s6, s6, 3
	s_cmp_eq_u32 s6, 0
	s_cbranch_scc1 .LBB13_27
.LBB13_25:
	s_lshl_b32 s0, s5, 3
	s_mul_i32 s2, s5, 12
	s_add_u32 s0, s12, s0
	s_addc_u32 s1, s13, 0
	s_add_u32 s0, s0, 0xc4
	s_addc_u32 s1, s1, 0
	s_add_u32 s2, s12, s2
	s_addc_u32 s3, s13, 0
	.p2align	6
.LBB13_26:                              ; =>This Inner Loop Header: Depth=1
	s_clause 0x1
	s_load_dwordx2 s[8:9], s[2:3], 0x4
	s_load_dword s5, s[2:3], 0xc
	s_load_dwordx2 s[10:11], s[0:1], 0x0
	s_add_u32 s2, s2, 12
	s_addc_u32 s3, s3, 0
	s_add_u32 s0, s0, 8
	s_addc_u32 s1, s1, 0
	s_add_i32 s6, s6, -1
	s_cmp_lg_u32 s6, 0
	s_waitcnt lgkmcnt(0)
	v_mul_hi_u32 v3, s9, v1
	v_add_nc_u32_e32 v3, v1, v3
	v_lshrrev_b32_e32 v4, s5, v3
	v_mul_lo_u32 v3, v4, s8
	v_sub_nc_u32_e32 v3, v1, v3
	v_mad_u64_u32 v[0:1], null, v3, s10, v[0:1]
	v_mad_u64_u32 v[2:3], null, v3, s11, v[2:3]
	v_mov_b32_e32 v1, v4
	s_cbranch_scc1 .LBB13_26
.LBB13_27:
	s_andn2_b32 vcc_lo, exec_lo, s4
	s_cbranch_vccnz .LBB13_30
; %bb.28:
	s_clause 0x1
	s_load_dwordx4 s[0:3], s[12:13], 0x4
	s_load_dwordx2 s[4:5], s[12:13], 0xc4
	s_cmp_lt_u32 s22, 2
	s_waitcnt lgkmcnt(0)
	v_mul_hi_u32 v0, s1, v7
	v_add_nc_u32_e32 v0, v7, v0
	v_lshrrev_b32_e32 v1, s2, v0
	v_mul_lo_u32 v0, v1, s0
	v_sub_nc_u32_e32 v2, v7, v0
	v_mul_lo_u32 v0, v2, s4
	v_mul_lo_u32 v2, v2, s5
	s_cbranch_scc1 .LBB13_30
; %bb.29:
	s_clause 0x1
	s_load_dwordx4 s[0:3], s[12:13], 0x10
	s_load_dwordx2 s[4:5], s[12:13], 0xcc
	s_waitcnt lgkmcnt(0)
	v_mul_hi_u32 v3, s1, v1
	v_add_nc_u32_e32 v3, v1, v3
	v_lshrrev_b32_e32 v3, s2, v3
	v_mul_lo_u32 v3, v3, s0
	v_sub_nc_u32_e32 v3, v1, v3
	v_mad_u64_u32 v[0:1], null, v3, s4, v[0:1]
	v_mad_u64_u32 v[2:3], null, v3, s5, v[2:3]
.LBB13_30:
	v_cmp_ne_u32_e32 vcc_lo, 1, v10
	v_add_nc_u32_e32 v1, 0x80, v7
	s_cbranch_vccnz .LBB13_36
; %bb.31:
	s_cmp_lg_u32 s22, 0
	s_mov_b32 s4, 0
	s_cbranch_scc0 .LBB13_37
; %bb.32:
	s_min_u32 s6, s23, 15
	s_add_i32 s6, s6, 1
	s_cmp_eq_u32 s23, 2
	s_cbranch_scc1 .LBB13_38
; %bb.33:
	v_mov_b32_e32 v5, 0
	v_mov_b32_e32 v3, 0
	;; [unrolled: 1-line block ×3, first 2 shown]
	s_and_b32 s5, s6, 28
	s_add_u32 s0, s12, 0xc4
	s_addc_u32 s1, s13, 0
	s_mov_b32 s7, 0
	s_mov_b64 s[2:3], s[12:13]
.LBB13_34:                              ; =>This Inner Loop Header: Depth=1
	s_clause 0x1
	s_load_dwordx8 s[24:31], s[2:3], 0x4
	s_load_dwordx4 s[8:11], s[2:3], 0x24
	s_load_dwordx8 s[36:43], s[0:1], 0x0
	s_add_u32 s2, s2, 48
	s_addc_u32 s3, s3, 0
	s_add_i32 s7, s7, 4
	s_add_u32 s0, s0, 32
	s_addc_u32 s1, s1, 0
	s_cmp_lg_u32 s5, s7
	s_waitcnt lgkmcnt(0)
	v_mul_hi_u32 v6, s25, v4
	v_add_nc_u32_e32 v6, v4, v6
	v_lshrrev_b32_e32 v6, s26, v6
	v_mul_hi_u32 v8, s28, v6
	v_mul_lo_u32 v11, v6, s24
	v_add_nc_u32_e32 v8, v6, v8
	v_sub_nc_u32_e32 v4, v4, v11
	v_lshrrev_b32_e32 v8, s29, v8
	v_mul_lo_u32 v11, v4, s36
	v_mul_lo_u32 v14, v4, s37
	v_mul_hi_u32 v9, s31, v8
	v_add_nc_u32_e32 v9, v8, v9
	v_lshrrev_b32_e32 v9, s8, v9
	v_mul_hi_u32 v12, s10, v9
	v_mul_lo_u32 v15, v9, s30
	v_add_nc_u32_e32 v4, v9, v12
	v_mul_lo_u32 v12, v8, s27
	v_sub_nc_u32_e32 v8, v8, v15
	v_lshrrev_b32_e32 v4, s11, v4
	v_mul_lo_u32 v15, v8, s40
	v_mul_lo_u32 v8, v8, s41
	v_sub_nc_u32_e32 v6, v6, v12
	v_mul_lo_u32 v16, v4, s9
	v_mul_lo_u32 v12, v6, s38
	;; [unrolled: 1-line block ×3, first 2 shown]
	v_sub_nc_u32_e32 v9, v9, v16
	v_add3_u32 v3, v11, v3, v12
	v_mul_lo_u32 v16, v9, s42
	v_mul_lo_u32 v9, v9, s43
	v_add3_u32 v5, v14, v5, v6
	v_add3_u32 v3, v15, v3, v16
	;; [unrolled: 1-line block ×3, first 2 shown]
	s_cbranch_scc1 .LBB13_34
; %bb.35:
	s_and_b32 s6, s6, 3
	s_cmp_eq_u32 s6, 0
	s_cbranch_scc0 .LBB13_39
	s_branch .LBB13_41
.LBB13_36:
	s_mov_b32 s4, -1
                                        ; implicit-def: $vgpr3
                                        ; implicit-def: $vgpr5
	s_branch .LBB13_41
.LBB13_37:
	v_mov_b32_e32 v3, 0
	v_mov_b32_e32 v5, 0
	s_branch .LBB13_41
.LBB13_38:
	v_mov_b32_e32 v3, 0
	v_mov_b32_e32 v5, 0
	;; [unrolled: 1-line block ×3, first 2 shown]
	s_mov_b32 s5, 0
	s_and_b32 s6, s6, 3
	s_cmp_eq_u32 s6, 0
	s_cbranch_scc1 .LBB13_41
.LBB13_39:
	s_lshl_b32 s0, s5, 3
	s_mul_i32 s2, s5, 12
	s_add_u32 s0, s12, s0
	s_addc_u32 s1, s13, 0
	s_add_u32 s0, s0, 0xc4
	s_addc_u32 s1, s1, 0
	;; [unrolled: 2-line block ×3, first 2 shown]
	.p2align	6
.LBB13_40:                              ; =>This Inner Loop Header: Depth=1
	s_clause 0x1
	s_load_dwordx2 s[8:9], s[2:3], 0x4
	s_load_dword s5, s[2:3], 0xc
	s_load_dwordx2 s[10:11], s[0:1], 0x0
	s_add_u32 s2, s2, 12
	s_addc_u32 s3, s3, 0
	s_add_u32 s0, s0, 8
	s_addc_u32 s1, s1, 0
	s_add_i32 s6, s6, -1
	s_cmp_lg_u32 s6, 0
	s_waitcnt lgkmcnt(0)
	v_mul_hi_u32 v6, s9, v4
	v_add_nc_u32_e32 v6, v4, v6
	v_lshrrev_b32_e32 v8, s5, v6
	v_mul_lo_u32 v6, v8, s8
	v_sub_nc_u32_e32 v6, v4, v6
	v_mad_u64_u32 v[3:4], null, v6, s10, v[3:4]
	v_mad_u64_u32 v[5:6], null, v6, s11, v[5:6]
	v_mov_b32_e32 v4, v8
	s_cbranch_scc1 .LBB13_40
.LBB13_41:
	s_andn2_b32 vcc_lo, exec_lo, s4
	s_cbranch_vccnz .LBB13_44
; %bb.42:
	s_clause 0x1
	s_load_dwordx4 s[0:3], s[12:13], 0x4
	s_load_dwordx2 s[4:5], s[12:13], 0xc4
	s_cmp_lt_u32 s22, 2
	s_waitcnt lgkmcnt(0)
	v_mul_hi_u32 v3, s1, v1
	v_add_nc_u32_e32 v3, v1, v3
	v_lshrrev_b32_e32 v4, s2, v3
	v_mul_lo_u32 v3, v4, s0
	v_sub_nc_u32_e32 v1, v1, v3
	v_mul_lo_u32 v3, v1, s4
	v_mul_lo_u32 v5, v1, s5
	s_cbranch_scc1 .LBB13_44
; %bb.43:
	s_clause 0x1
	s_load_dwordx4 s[0:3], s[12:13], 0x10
	s_load_dwordx2 s[4:5], s[12:13], 0xcc
	s_waitcnt lgkmcnt(0)
	v_mul_hi_u32 v1, s1, v4
	v_add_nc_u32_e32 v1, v4, v1
	v_lshrrev_b32_e32 v1, s2, v1
	v_mul_lo_u32 v1, v1, s0
	v_sub_nc_u32_e32 v1, v4, v1
	v_mad_u64_u32 v[3:4], null, v1, s4, v[3:4]
	v_mad_u64_u32 v[5:6], null, v1, s5, v[5:6]
.LBB13_44:
	v_cmp_ne_u32_e32 vcc_lo, 1, v10
	v_add_nc_u32_e32 v1, 0x100, v7
	s_cbranch_vccnz .LBB13_50
; %bb.45:
	s_cmp_lg_u32 s22, 0
	s_mov_b32 s4, 0
	s_cbranch_scc0 .LBB13_51
; %bb.46:
	s_min_u32 s6, s23, 15
	s_add_i32 s6, s6, 1
	s_cmp_eq_u32 s23, 2
	s_cbranch_scc1 .LBB13_52
; %bb.47:
	v_mov_b32_e32 v8, 0
	v_mov_b32_e32 v6, 0
	v_mov_b32_e32 v4, v1
	s_and_b32 s5, s6, 28
	s_add_u32 s0, s12, 0xc4
	s_addc_u32 s1, s13, 0
	s_mov_b32 s7, 0
	s_mov_b64 s[2:3], s[12:13]
.LBB13_48:                              ; =>This Inner Loop Header: Depth=1
	s_clause 0x1
	s_load_dwordx8 s[24:31], s[2:3], 0x4
	s_load_dwordx4 s[8:11], s[2:3], 0x24
	s_load_dwordx8 s[36:43], s[0:1], 0x0
	s_add_u32 s2, s2, 48
	s_addc_u32 s3, s3, 0
	s_add_i32 s7, s7, 4
	s_add_u32 s0, s0, 32
	s_addc_u32 s1, s1, 0
	s_cmp_lg_u32 s5, s7
	s_waitcnt lgkmcnt(0)
	v_mul_hi_u32 v7, s25, v4
	v_add_nc_u32_e32 v7, v4, v7
	v_lshrrev_b32_e32 v7, s26, v7
	v_mul_hi_u32 v9, s28, v7
	v_mul_lo_u32 v12, v7, s24
	v_add_nc_u32_e32 v9, v7, v9
	v_sub_nc_u32_e32 v4, v4, v12
	v_lshrrev_b32_e32 v9, s29, v9
	v_mul_lo_u32 v12, v4, s36
	v_mul_lo_u32 v15, v4, s37
	v_mul_hi_u32 v11, s31, v9
	v_add_nc_u32_e32 v11, v9, v11
	v_lshrrev_b32_e32 v11, s8, v11
	v_mul_hi_u32 v14, s10, v11
	v_mul_lo_u32 v16, v11, s30
	v_add_nc_u32_e32 v4, v11, v14
	v_mul_lo_u32 v14, v9, s27
	v_sub_nc_u32_e32 v9, v9, v16
	v_lshrrev_b32_e32 v4, s11, v4
	v_mul_lo_u32 v16, v9, s40
	v_mul_lo_u32 v9, v9, s41
	v_sub_nc_u32_e32 v7, v7, v14
	v_mul_lo_u32 v17, v4, s9
	v_mul_lo_u32 v14, v7, s38
	;; [unrolled: 1-line block ×3, first 2 shown]
	v_sub_nc_u32_e32 v11, v11, v17
	v_add3_u32 v6, v12, v6, v14
	v_mul_lo_u32 v17, v11, s42
	v_mul_lo_u32 v11, v11, s43
	v_add3_u32 v7, v15, v8, v7
	v_add3_u32 v6, v16, v6, v17
	;; [unrolled: 1-line block ×3, first 2 shown]
	s_cbranch_scc1 .LBB13_48
; %bb.49:
	s_and_b32 s6, s6, 3
	s_cmp_eq_u32 s6, 0
	s_cbranch_scc0 .LBB13_53
	s_branch .LBB13_55
.LBB13_50:
	s_mov_b32 s4, -1
                                        ; implicit-def: $vgpr6
                                        ; implicit-def: $vgpr8
	s_branch .LBB13_55
.LBB13_51:
	v_mov_b32_e32 v6, 0
	v_mov_b32_e32 v8, 0
	s_branch .LBB13_55
.LBB13_52:
	v_mov_b32_e32 v6, 0
	v_mov_b32_e32 v8, 0
	;; [unrolled: 1-line block ×3, first 2 shown]
	s_mov_b32 s5, 0
	s_and_b32 s6, s6, 3
	s_cmp_eq_u32 s6, 0
	s_cbranch_scc1 .LBB13_55
.LBB13_53:
	s_lshl_b32 s0, s5, 3
	s_mul_i32 s2, s5, 12
	s_add_u32 s0, s12, s0
	s_addc_u32 s1, s13, 0
	s_add_u32 s0, s0, 0xc4
	s_addc_u32 s1, s1, 0
	;; [unrolled: 2-line block ×3, first 2 shown]
	.p2align	6
.LBB13_54:                              ; =>This Inner Loop Header: Depth=1
	s_clause 0x1
	s_load_dwordx2 s[8:9], s[2:3], 0x4
	s_load_dword s5, s[2:3], 0xc
	s_load_dwordx2 s[10:11], s[0:1], 0x0
	s_add_u32 s2, s2, 12
	s_addc_u32 s3, s3, 0
	s_add_u32 s0, s0, 8
	s_addc_u32 s1, s1, 0
	s_add_i32 s6, s6, -1
	s_cmp_lg_u32 s6, 0
	s_waitcnt lgkmcnt(0)
	v_mul_hi_u32 v7, s9, v4
	v_add_nc_u32_e32 v7, v4, v7
	v_lshrrev_b32_e32 v11, s5, v7
	v_mul_lo_u32 v7, v11, s8
	v_sub_nc_u32_e32 v4, v4, v7
	v_mad_u64_u32 v[6:7], null, v4, s10, v[6:7]
	v_mad_u64_u32 v[8:9], null, v4, s11, v[8:9]
	v_mov_b32_e32 v4, v11
	s_cbranch_scc1 .LBB13_54
.LBB13_55:
	s_andn2_b32 vcc_lo, exec_lo, s4
	s_cbranch_vccnz .LBB13_58
; %bb.56:
	s_clause 0x1
	s_load_dwordx4 s[0:3], s[12:13], 0x4
	s_load_dwordx2 s[4:5], s[12:13], 0xc4
	s_cmp_lt_u32 s22, 2
	s_waitcnt lgkmcnt(0)
	v_mul_hi_u32 v4, s1, v1
	v_add_nc_u32_e32 v4, v1, v4
	v_lshrrev_b32_e32 v4, s2, v4
	v_mul_lo_u32 v6, v4, s0
	v_sub_nc_u32_e32 v1, v1, v6
	v_mul_lo_u32 v6, v1, s4
	v_mul_lo_u32 v8, v1, s5
	s_cbranch_scc1 .LBB13_58
; %bb.57:
	s_clause 0x1
	s_load_dwordx4 s[0:3], s[12:13], 0x10
	s_load_dwordx2 s[4:5], s[12:13], 0xcc
	s_waitcnt lgkmcnt(0)
	v_mul_hi_u32 v1, s1, v4
	v_add_nc_u32_e32 v1, v4, v1
	v_lshrrev_b32_e32 v1, s2, v1
	v_mul_lo_u32 v1, v1, s0
	v_sub_nc_u32_e32 v1, v4, v1
	v_mad_u64_u32 v[6:7], null, v1, s4, v[6:7]
	v_mad_u64_u32 v[8:9], null, v1, s5, v[8:9]
.LBB13_58:
	v_cmp_ne_u32_e32 vcc_lo, 1, v10
	s_cbranch_vccnz .LBB13_64
; %bb.59:
	s_cmp_lg_u32 s22, 0
	s_mov_b32 s4, 0
	s_cbranch_scc0 .LBB13_65
; %bb.60:
	s_min_u32 s6, s23, 15
	s_add_i32 s6, s6, 1
	s_cmp_eq_u32 s23, 2
	s_cbranch_scc1 .LBB13_66
; %bb.61:
	v_mov_b32_e32 v11, 0
	v_mov_b32_e32 v9, 0
	;; [unrolled: 1-line block ×3, first 2 shown]
	s_and_b32 s5, s6, 28
	s_add_u32 s0, s12, 0xc4
	s_addc_u32 s1, s13, 0
	s_mov_b32 s7, 0
	s_mov_b64 s[2:3], s[12:13]
.LBB13_62:                              ; =>This Inner Loop Header: Depth=1
	s_clause 0x1
	s_load_dwordx8 s[24:31], s[2:3], 0x4
	s_load_dwordx4 s[8:11], s[2:3], 0x24
	s_load_dwordx8 s[36:43], s[0:1], 0x0
	s_add_u32 s2, s2, 48
	s_addc_u32 s3, s3, 0
	s_add_i32 s7, s7, 4
	s_add_u32 s0, s0, 32
	s_addc_u32 s1, s1, 0
	s_cmp_lg_u32 s5, s7
	s_waitcnt lgkmcnt(0)
	v_mul_hi_u32 v4, s25, v1
	v_add_nc_u32_e32 v4, v1, v4
	v_lshrrev_b32_e32 v4, s26, v4
	v_mul_hi_u32 v7, s28, v4
	v_mul_lo_u32 v12, v4, s24
	v_add_nc_u32_e32 v7, v4, v7
	v_sub_nc_u32_e32 v1, v1, v12
	v_lshrrev_b32_e32 v7, s29, v7
	v_mul_lo_u32 v12, v1, s36
	v_mul_lo_u32 v15, v1, s37
	v_mul_hi_u32 v10, s31, v7
	v_add_nc_u32_e32 v10, v7, v10
	v_lshrrev_b32_e32 v10, s8, v10
	v_mul_hi_u32 v14, s10, v10
	v_mul_lo_u32 v16, v10, s30
	v_add_nc_u32_e32 v1, v10, v14
	v_mul_lo_u32 v14, v7, s27
	v_sub_nc_u32_e32 v7, v7, v16
	v_lshrrev_b32_e32 v1, s11, v1
	v_mul_lo_u32 v16, v7, s40
	v_mul_lo_u32 v7, v7, s41
	v_sub_nc_u32_e32 v4, v4, v14
	v_mul_lo_u32 v17, v1, s9
	v_mul_lo_u32 v14, v4, s38
	;; [unrolled: 1-line block ×3, first 2 shown]
	v_sub_nc_u32_e32 v10, v10, v17
	v_add3_u32 v9, v12, v9, v14
	v_mul_lo_u32 v17, v10, s42
	v_mul_lo_u32 v10, v10, s43
	v_add3_u32 v4, v15, v11, v4
	v_add3_u32 v9, v16, v9, v17
	;; [unrolled: 1-line block ×3, first 2 shown]
	s_cbranch_scc1 .LBB13_62
; %bb.63:
	s_and_b32 s6, s6, 3
	s_cmp_eq_u32 s6, 0
	s_cbranch_scc0 .LBB13_67
	s_branch .LBB13_69
.LBB13_64:
	s_mov_b32 s4, -1
                                        ; implicit-def: $vgpr9
                                        ; implicit-def: $vgpr11
	s_branch .LBB13_69
.LBB13_65:
	v_mov_b32_e32 v9, 0
	v_mov_b32_e32 v11, 0
	s_branch .LBB13_69
.LBB13_66:
	v_mov_b32_e32 v9, 0
	v_mov_b32_e32 v11, 0
	;; [unrolled: 1-line block ×3, first 2 shown]
	s_mov_b32 s5, 0
	s_and_b32 s6, s6, 3
	s_cmp_eq_u32 s6, 0
	s_cbranch_scc1 .LBB13_69
.LBB13_67:
	s_lshl_b32 s0, s5, 3
	s_mul_i32 s2, s5, 12
	s_add_u32 s0, s12, s0
	s_addc_u32 s1, s13, 0
	s_add_u32 s0, s0, 0xc4
	s_addc_u32 s1, s1, 0
	;; [unrolled: 2-line block ×3, first 2 shown]
	.p2align	6
.LBB13_68:                              ; =>This Inner Loop Header: Depth=1
	s_clause 0x1
	s_load_dwordx2 s[8:9], s[2:3], 0x4
	s_load_dword s5, s[2:3], 0xc
	s_load_dwordx2 s[10:11], s[0:1], 0x0
	s_add_u32 s2, s2, 12
	s_addc_u32 s3, s3, 0
	s_add_u32 s0, s0, 8
	s_addc_u32 s1, s1, 0
	s_add_i32 s6, s6, -1
	s_cmp_lg_u32 s6, 0
	s_waitcnt lgkmcnt(0)
	v_mul_hi_u32 v4, s9, v1
	v_add_nc_u32_e32 v4, v1, v4
	v_lshrrev_b32_e32 v4, s5, v4
	v_mul_lo_u32 v7, v4, s8
	v_sub_nc_u32_e32 v1, v1, v7
	v_mad_u64_u32 v[9:10], null, v1, s10, v[9:10]
	v_mad_u64_u32 v[11:12], null, v1, s11, v[11:12]
	v_mov_b32_e32 v1, v4
	s_cbranch_scc1 .LBB13_68
.LBB13_69:
	s_andn2_b32 vcc_lo, exec_lo, s4
	s_cbranch_vccnz .LBB13_72
; %bb.70:
	s_clause 0x1
	s_load_dwordx4 s[0:3], s[12:13], 0x4
	s_load_dwordx2 s[4:5], s[12:13], 0xc4
	s_cmp_lt_u32 s22, 2
	s_waitcnt lgkmcnt(0)
	v_mul_hi_u32 v1, s1, v13
	v_add_nc_u32_e32 v1, v13, v1
	v_lshrrev_b32_e32 v1, s2, v1
	v_mul_lo_u32 v4, v1, s0
	v_sub_nc_u32_e32 v4, v13, v4
	v_mul_lo_u32 v9, v4, s4
	v_mul_lo_u32 v11, v4, s5
	s_cbranch_scc1 .LBB13_72
; %bb.71:
	s_clause 0x1
	s_load_dwordx4 s[0:3], s[12:13], 0x10
	s_load_dwordx2 s[4:5], s[12:13], 0xcc
	s_waitcnt lgkmcnt(0)
	v_mul_hi_u32 v4, s1, v1
	v_add_nc_u32_e32 v4, v1, v4
	v_lshrrev_b32_e32 v4, s2, v4
	v_mul_lo_u32 v4, v4, s0
	v_sub_nc_u32_e32 v1, v1, v4
	v_mad_u64_u32 v[9:10], null, v1, s4, v[9:10]
	v_mad_u64_u32 v[11:12], null, v1, s5, v[11:12]
.LBB13_72:
	s_load_dwordx4 s[4:7], s[12:13], 0x148
	s_mov_b32 s3, 0x3b2d2a58
	s_waitcnt lgkmcnt(0)
	s_clause 0x3
	global_load_dword v1, v2, s[6:7]
	global_load_dword v2, v5, s[6:7]
	global_load_dword v4, v8, s[6:7]
	global_load_dword v5, v11, s[6:7]
	s_waitcnt vmcnt(3)
	v_rcp_f32_e64 v7, |v1|
	s_waitcnt vmcnt(2)
	v_rcp_f32_e64 v8, |v2|
	;; [unrolled: 2-line block ×4, first 2 shown]
	v_cmp_gt_f32_e64 vcc_lo, |v1|, 1.0
	v_cmp_gt_f32_e64 s0, |v2|, 1.0
	v_cmp_gt_f32_e64 s1, |v4|, 1.0
	;; [unrolled: 1-line block ×3, first 2 shown]
	v_cndmask_b32_e64 v7, |v1|, v7, vcc_lo
	v_cndmask_b32_e64 v8, |v2|, v8, s0
	v_cndmask_b32_e64 v10, |v4|, v10, s1
	;; [unrolled: 1-line block ×3, first 2 shown]
	v_mul_f32_e32 v12, v7, v7
	v_mul_f32_e32 v13, v8, v8
	;; [unrolled: 1-line block ×4, first 2 shown]
	v_fmaak_f32 v16, s3, v12, 0xbc7a590c
	v_fmaak_f32 v17, s3, v13, 0xbc7a590c
	;; [unrolled: 1-line block ×28, first 2 shown]
	v_mul_f32_e32 v12, v12, v16
	v_mul_f32_e32 v13, v13, v17
	;; [unrolled: 1-line block ×4, first 2 shown]
	v_fmac_f32_e32 v7, v7, v12
	v_fmac_f32_e32 v8, v8, v13
	;; [unrolled: 1-line block ×4, first 2 shown]
	v_sub_f32_e32 v12, 0x3fc90fdb, v7
	v_sub_f32_e32 v13, 0x3fc90fdb, v8
	;; [unrolled: 1-line block ×4, first 2 shown]
	v_cndmask_b32_e32 v7, v7, v12, vcc_lo
	v_cndmask_b32_e64 v8, v8, v13, s0
	v_cndmask_b32_e64 v10, v10, v14, s1
	;; [unrolled: 1-line block ×3, first 2 shown]
	v_bfi_b32 v1, 0x7fffffff, v7, v1
	v_bfi_b32 v2, 0x7fffffff, v8, v2
	;; [unrolled: 1-line block ×4, first 2 shown]
	global_store_dword v0, v1, s[4:5]
	global_store_dword v3, v2, s[4:5]
	;; [unrolled: 1-line block ×4, first 2 shown]
	s_endpgm
.LBB13_73:
	v_mov_b32_e32 v0, 0
	v_mov_b32_e32 v2, 0
	s_branch .LBB13_79
.LBB13_74:
	v_mov_b32_e32 v0, 0
	v_mov_b32_e32 v2, 0
	s_branch .LBB13_95
.LBB13_75:
	v_mov_b32_e32 v0, 0
	v_mov_b32_e32 v2, 0
	;; [unrolled: 1-line block ×3, first 2 shown]
	s_mov_b32 s31, 0
.LBB13_76:
	s_and_b32 s33, s33, 3
	s_cmp_eq_u32 s33, 0
	s_cbranch_scc1 .LBB13_79
; %bb.77:
	s_lshl_b32 s18, s31, 3
	s_mul_i32 s20, s31, 12
	s_add_u32 s18, s12, s18
	s_addc_u32 s19, s13, 0
	s_add_u32 s18, s18, 0xc4
	s_addc_u32 s19, s19, 0
	;; [unrolled: 2-line block ×3, first 2 shown]
	.p2align	6
.LBB13_78:                              ; =>This Inner Loop Header: Depth=1
	s_clause 0x1
	s_load_dwordx2 s[34:35], s[20:21], 0x4
	s_load_dword s31, s[20:21], 0xc
	s_load_dwordx2 s[36:37], s[18:19], 0x0
	s_add_u32 s20, s20, 12
	s_addc_u32 s21, s21, 0
	s_add_u32 s18, s18, 8
	s_addc_u32 s19, s19, 0
	s_add_i32 s33, s33, -1
	s_cmp_lg_u32 s33, 0
	s_waitcnt lgkmcnt(0)
	v_mul_hi_u32 v3, s35, v1
	v_add_nc_u32_e32 v3, v1, v3
	v_lshrrev_b32_e32 v4, s31, v3
	v_mul_lo_u32 v3, v4, s34
	v_sub_nc_u32_e32 v3, v1, v3
	v_mad_u64_u32 v[0:1], null, v3, s36, v[0:1]
	v_mad_u64_u32 v[2:3], null, v3, s37, v[2:3]
	v_mov_b32_e32 v1, v4
	s_cbranch_scc1 .LBB13_78
.LBB13_79:
	s_cbranch_execnz .LBB13_82
.LBB13_80:
	s_waitcnt lgkmcnt(0)
	v_mul_hi_u32 v0, s9, v7
	s_andn2_b32 vcc_lo, exec_lo, s26
	v_add_nc_u32_e32 v0, v7, v0
	v_lshrrev_b32_e32 v1, s10, v0
	v_mul_lo_u32 v0, v1, s8
	v_sub_nc_u32_e32 v2, v7, v0
	v_mul_lo_u32 v0, v2, s4
	v_mul_lo_u32 v2, v2, s5
	s_cbranch_vccnz .LBB13_82
; %bb.81:
	v_mul_hi_u32 v3, s14, v1
	v_add_nc_u32_e32 v3, v1, v3
	v_lshrrev_b32_e32 v3, s15, v3
	v_mul_lo_u32 v3, v3, s11
	v_sub_nc_u32_e32 v3, v1, v3
	v_mad_u64_u32 v[0:1], null, v3, s6, v[0:1]
	v_mad_u64_u32 v[2:3], null, v3, s7, v[2:3]
.LBB13_82:
	s_waitcnt lgkmcnt(0)
	global_load_dword v1, v2, s[2:3]
	s_mov_b32 s18, 0x3b2d2a58
	v_add_nc_u32_e32 v7, 0x80, v7
	s_waitcnt vmcnt(0)
	v_rcp_f32_e64 v2, |v1|
	v_cmp_gt_f32_e64 vcc_lo, |v1|, 1.0
	v_cndmask_b32_e64 v2, |v1|, v2, vcc_lo
	v_mul_f32_e32 v3, v2, v2
	v_fmaak_f32 v4, s18, v3, 0xbc7a590c
	v_fmaak_f32 v4, v3, v4, 0x3d29fb3f
	;; [unrolled: 1-line block ×7, first 2 shown]
	v_mul_f32_e32 v3, v3, v4
	v_fmac_f32_e32 v2, v2, v3
	v_sub_f32_e32 v3, 0x3fc90fdb, v2
	v_cndmask_b32_e32 v2, v2, v3, vcc_lo
	v_bfi_b32 v1, 0x7fffffff, v2, v1
	global_store_dword v0, v1, s[0:1]
	s_or_b32 exec_lo, exec_lo, s30
	s_mov_b32 s30, exec_lo
	v_cmpx_gt_i32_e64 s27, v7
	s_cbranch_execnz .LBB13_15
.LBB13_83:
	s_or_b32 exec_lo, exec_lo, s30
	s_mov_b32 s30, exec_lo
	v_cmpx_gt_i32_e64 s27, v7
	s_cbranch_execz .LBB13_99
.LBB13_84:
	s_andn2_b32 vcc_lo, exec_lo, s24
	s_cbranch_vccnz .LBB13_89
; %bb.85:
	s_andn2_b32 vcc_lo, exec_lo, s29
	s_cbranch_vccnz .LBB13_90
; %bb.86:
	s_add_i32 s33, s28, 1
	s_cmp_eq_u32 s23, 2
	s_cbranch_scc1 .LBB13_102
; %bb.87:
	v_mov_b32_e32 v2, 0
	v_mov_b32_e32 v0, 0
	;; [unrolled: 1-line block ×3, first 2 shown]
	s_and_b32 s31, s33, 28
	s_mov_b32 s34, 0
	s_mov_b64 s[18:19], s[12:13]
	s_mov_b64 s[20:21], s[16:17]
.LBB13_88:                              ; =>This Inner Loop Header: Depth=1
	s_clause 0x1
	s_load_dwordx8 s[36:43], s[18:19], 0x4
	s_load_dwordx4 s[52:55], s[18:19], 0x24
	s_load_dwordx8 s[44:51], s[20:21], 0x0
	s_add_u32 s18, s18, 48
	s_addc_u32 s19, s19, 0
	s_add_i32 s34, s34, 4
	s_add_u32 s20, s20, 32
	s_addc_u32 s21, s21, 0
	s_cmp_eq_u32 s31, s34
	s_waitcnt lgkmcnt(0)
	v_mul_hi_u32 v3, s37, v1
	v_add_nc_u32_e32 v3, v1, v3
	v_lshrrev_b32_e32 v3, s38, v3
	v_mul_hi_u32 v4, s40, v3
	v_mul_lo_u32 v6, v3, s36
	v_add_nc_u32_e32 v4, v3, v4
	v_sub_nc_u32_e32 v1, v1, v6
	v_lshrrev_b32_e32 v4, s41, v4
	v_mul_lo_u32 v6, v1, s44
	v_mul_lo_u32 v9, v1, s45
	v_mul_hi_u32 v5, s43, v4
	v_add_nc_u32_e32 v5, v4, v5
	v_lshrrev_b32_e32 v5, s52, v5
	v_mul_hi_u32 v8, s54, v5
	v_mul_lo_u32 v10, v5, s42
	v_add_nc_u32_e32 v1, v5, v8
	v_mul_lo_u32 v8, v4, s39
	v_sub_nc_u32_e32 v4, v4, v10
	v_lshrrev_b32_e32 v1, s55, v1
	v_mul_lo_u32 v10, v4, s48
	v_mul_lo_u32 v4, v4, s49
	v_sub_nc_u32_e32 v3, v3, v8
	v_mul_lo_u32 v11, v1, s53
	v_mul_lo_u32 v8, v3, s46
	;; [unrolled: 1-line block ×3, first 2 shown]
	v_sub_nc_u32_e32 v5, v5, v11
	v_add3_u32 v0, v6, v0, v8
	v_mul_lo_u32 v11, v5, s50
	v_mul_lo_u32 v5, v5, s51
	v_add3_u32 v2, v9, v2, v3
	v_add3_u32 v0, v10, v0, v11
	;; [unrolled: 1-line block ×3, first 2 shown]
	s_cbranch_scc0 .LBB13_88
	s_branch .LBB13_103
.LBB13_89:
                                        ; implicit-def: $vgpr0
                                        ; implicit-def: $vgpr2
	s_branch .LBB13_107
.LBB13_90:
	v_mov_b32_e32 v0, 0
	v_mov_b32_e32 v2, 0
	s_branch .LBB13_106
.LBB13_91:
	v_mov_b32_e32 v0, 0
	v_mov_b32_e32 v2, 0
	;; [unrolled: 1-line block ×3, first 2 shown]
	s_mov_b32 s31, 0
.LBB13_92:
	s_and_b32 s33, s33, 3
	s_cmp_eq_u32 s33, 0
	s_cbranch_scc1 .LBB13_95
; %bb.93:
	s_lshl_b32 s18, s31, 3
	s_mul_i32 s20, s31, 12
	s_add_u32 s18, s12, s18
	s_addc_u32 s19, s13, 0
	s_add_u32 s18, s18, 0xc4
	s_addc_u32 s19, s19, 0
	;; [unrolled: 2-line block ×3, first 2 shown]
	.p2align	6
.LBB13_94:                              ; =>This Inner Loop Header: Depth=1
	s_clause 0x1
	s_load_dwordx2 s[34:35], s[20:21], 0x4
	s_load_dword s31, s[20:21], 0xc
	s_load_dwordx2 s[36:37], s[18:19], 0x0
	s_add_u32 s20, s20, 12
	s_addc_u32 s21, s21, 0
	s_add_u32 s18, s18, 8
	s_addc_u32 s19, s19, 0
	s_add_i32 s33, s33, -1
	s_cmp_lg_u32 s33, 0
	s_waitcnt lgkmcnt(0)
	v_mul_hi_u32 v3, s35, v1
	v_add_nc_u32_e32 v3, v1, v3
	v_lshrrev_b32_e32 v4, s31, v3
	v_mul_lo_u32 v3, v4, s34
	v_sub_nc_u32_e32 v3, v1, v3
	v_mad_u64_u32 v[0:1], null, v3, s36, v[0:1]
	v_mad_u64_u32 v[2:3], null, v3, s37, v[2:3]
	v_mov_b32_e32 v1, v4
	s_cbranch_scc1 .LBB13_94
.LBB13_95:
	s_cbranch_execnz .LBB13_98
.LBB13_96:
	s_waitcnt lgkmcnt(0)
	v_mul_hi_u32 v0, s9, v7
	s_andn2_b32 vcc_lo, exec_lo, s26
	v_add_nc_u32_e32 v0, v7, v0
	v_lshrrev_b32_e32 v1, s10, v0
	v_mul_lo_u32 v0, v1, s8
	v_sub_nc_u32_e32 v2, v7, v0
	v_mul_lo_u32 v0, v2, s4
	v_mul_lo_u32 v2, v2, s5
	s_cbranch_vccnz .LBB13_98
; %bb.97:
	v_mul_hi_u32 v3, s14, v1
	v_add_nc_u32_e32 v3, v1, v3
	v_lshrrev_b32_e32 v3, s15, v3
	v_mul_lo_u32 v3, v3, s11
	v_sub_nc_u32_e32 v3, v1, v3
	v_mad_u64_u32 v[0:1], null, v3, s6, v[0:1]
	v_mad_u64_u32 v[2:3], null, v3, s7, v[2:3]
.LBB13_98:
	s_waitcnt lgkmcnt(0)
	global_load_dword v1, v2, s[2:3]
	s_mov_b32 s18, 0x3b2d2a58
	v_add_nc_u32_e32 v7, 0x80, v7
	s_waitcnt vmcnt(0)
	v_rcp_f32_e64 v2, |v1|
	v_cmp_gt_f32_e64 vcc_lo, |v1|, 1.0
	v_cndmask_b32_e64 v2, |v1|, v2, vcc_lo
	v_mul_f32_e32 v3, v2, v2
	v_fmaak_f32 v4, s18, v3, 0xbc7a590c
	v_fmaak_f32 v4, v3, v4, 0x3d29fb3f
	;; [unrolled: 1-line block ×7, first 2 shown]
	v_mul_f32_e32 v3, v3, v4
	v_fmac_f32_e32 v2, v2, v3
	v_sub_f32_e32 v3, 0x3fc90fdb, v2
	v_cndmask_b32_e32 v2, v2, v3, vcc_lo
	v_bfi_b32 v1, 0x7fffffff, v2, v1
	global_store_dword v0, v1, s[0:1]
	s_or_b32 exec_lo, exec_lo, s30
	s_mov_b32 s30, exec_lo
	v_cmpx_gt_i32_e64 s27, v7
	s_cbranch_execnz .LBB13_84
.LBB13_99:
	s_or_b32 exec_lo, exec_lo, s30
	s_mov_b32 s20, exec_lo
	v_cmpx_gt_i32_e64 s27, v7
	s_cbranch_execnz .LBB13_110
.LBB13_100:
	s_or_b32 exec_lo, exec_lo, s20
                                        ; implicit-def: $vgpr13
                                        ; implicit-def: $vgpr7
	s_waitcnt lgkmcnt(0)
	s_andn2_saveexec_b32 s0, s25
	s_cbranch_execnz .LBB13_8
.LBB13_101:
	s_endpgm
.LBB13_102:
	v_mov_b32_e32 v0, 0
	v_mov_b32_e32 v2, 0
	;; [unrolled: 1-line block ×3, first 2 shown]
	s_mov_b32 s31, 0
.LBB13_103:
	s_and_b32 s33, s33, 3
	s_cmp_eq_u32 s33, 0
	s_cbranch_scc1 .LBB13_106
; %bb.104:
	s_lshl_b32 s18, s31, 3
	s_mul_i32 s20, s31, 12
	s_add_u32 s18, s12, s18
	s_addc_u32 s19, s13, 0
	s_add_u32 s18, s18, 0xc4
	s_addc_u32 s19, s19, 0
	;; [unrolled: 2-line block ×3, first 2 shown]
	.p2align	6
.LBB13_105:                             ; =>This Inner Loop Header: Depth=1
	s_clause 0x1
	s_load_dwordx2 s[34:35], s[20:21], 0x4
	s_load_dword s31, s[20:21], 0xc
	s_load_dwordx2 s[36:37], s[18:19], 0x0
	s_add_u32 s20, s20, 12
	s_addc_u32 s21, s21, 0
	s_add_u32 s18, s18, 8
	s_addc_u32 s19, s19, 0
	s_add_i32 s33, s33, -1
	s_cmp_lg_u32 s33, 0
	s_waitcnt lgkmcnt(0)
	v_mul_hi_u32 v3, s35, v1
	v_add_nc_u32_e32 v3, v1, v3
	v_lshrrev_b32_e32 v4, s31, v3
	v_mul_lo_u32 v3, v4, s34
	v_sub_nc_u32_e32 v3, v1, v3
	v_mad_u64_u32 v[0:1], null, v3, s36, v[0:1]
	v_mad_u64_u32 v[2:3], null, v3, s37, v[2:3]
	v_mov_b32_e32 v1, v4
	s_cbranch_scc1 .LBB13_105
.LBB13_106:
	s_cbranch_execnz .LBB13_109
.LBB13_107:
	s_waitcnt lgkmcnt(0)
	v_mul_hi_u32 v0, s9, v7
	s_andn2_b32 vcc_lo, exec_lo, s26
	v_add_nc_u32_e32 v0, v7, v0
	v_lshrrev_b32_e32 v1, s10, v0
	v_mul_lo_u32 v0, v1, s8
	v_sub_nc_u32_e32 v2, v7, v0
	v_mul_lo_u32 v0, v2, s4
	v_mul_lo_u32 v2, v2, s5
	s_cbranch_vccnz .LBB13_109
; %bb.108:
	v_mul_hi_u32 v3, s14, v1
	v_add_nc_u32_e32 v3, v1, v3
	v_lshrrev_b32_e32 v3, s15, v3
	v_mul_lo_u32 v3, v3, s11
	v_sub_nc_u32_e32 v3, v1, v3
	v_mad_u64_u32 v[0:1], null, v3, s6, v[0:1]
	v_mad_u64_u32 v[2:3], null, v3, s7, v[2:3]
.LBB13_109:
	s_waitcnt lgkmcnt(0)
	global_load_dword v1, v2, s[2:3]
	s_mov_b32 s18, 0x3b2d2a58
	v_add_nc_u32_e32 v7, 0x80, v7
	s_waitcnt vmcnt(0)
	v_rcp_f32_e64 v2, |v1|
	v_cmp_gt_f32_e64 vcc_lo, |v1|, 1.0
	v_cndmask_b32_e64 v2, |v1|, v2, vcc_lo
	v_mul_f32_e32 v3, v2, v2
	v_fmaak_f32 v4, s18, v3, 0xbc7a590c
	v_fmaak_f32 v4, v3, v4, 0x3d29fb3f
	v_fmaak_f32 v4, v3, v4, 0xbd97d4d7
	v_fmaak_f32 v4, v3, v4, 0x3dd931b2
	v_fmaak_f32 v4, v3, v4, 0xbe1160e6
	v_fmaak_f32 v4, v3, v4, 0x3e4cb8bf
	v_fmaak_f32 v4, v3, v4, 0xbeaaaa62
	v_mul_f32_e32 v3, v3, v4
	v_fmac_f32_e32 v2, v2, v3
	v_sub_f32_e32 v3, 0x3fc90fdb, v2
	v_cndmask_b32_e32 v2, v2, v3, vcc_lo
	v_bfi_b32 v1, 0x7fffffff, v2, v1
	global_store_dword v0, v1, s[0:1]
	s_or_b32 exec_lo, exec_lo, s30
	s_mov_b32 s20, exec_lo
	v_cmpx_gt_i32_e64 s27, v7
	s_cbranch_execz .LBB13_100
.LBB13_110:
	s_andn2_b32 vcc_lo, exec_lo, s24
	s_cbranch_vccnz .LBB13_115
; %bb.111:
	s_andn2_b32 vcc_lo, exec_lo, s29
	s_cbranch_vccnz .LBB13_116
; %bb.112:
	s_add_i32 s28, s28, 1
	s_cmp_eq_u32 s23, 2
	s_cbranch_scc1 .LBB13_117
; %bb.113:
	v_mov_b32_e32 v2, 0
	v_mov_b32_e32 v0, 0
	;; [unrolled: 1-line block ×3, first 2 shown]
	s_and_b32 s21, s28, 28
	s_mov_b32 s27, 0
	s_mov_b64 s[18:19], s[12:13]
.LBB13_114:                             ; =>This Inner Loop Header: Depth=1
	s_clause 0x1
	s_load_dwordx8 s[36:43], s[18:19], 0x4
	s_load_dwordx4 s[52:55], s[18:19], 0x24
	s_load_dwordx8 s[44:51], s[16:17], 0x0
	s_add_u32 s18, s18, 48
	s_addc_u32 s19, s19, 0
	s_add_i32 s27, s27, 4
	s_add_u32 s16, s16, 32
	s_addc_u32 s17, s17, 0
	s_cmp_eq_u32 s21, s27
	s_waitcnt lgkmcnt(0)
	v_mul_hi_u32 v3, s37, v1
	v_add_nc_u32_e32 v3, v1, v3
	v_lshrrev_b32_e32 v3, s38, v3
	v_mul_hi_u32 v4, s40, v3
	v_mul_lo_u32 v6, v3, s36
	v_add_nc_u32_e32 v4, v3, v4
	v_sub_nc_u32_e32 v1, v1, v6
	v_lshrrev_b32_e32 v4, s41, v4
	v_mul_lo_u32 v6, v1, s44
	v_mul_lo_u32 v9, v1, s45
	v_mul_hi_u32 v5, s43, v4
	v_add_nc_u32_e32 v5, v4, v5
	v_lshrrev_b32_e32 v5, s52, v5
	v_mul_hi_u32 v8, s54, v5
	v_mul_lo_u32 v10, v5, s42
	v_add_nc_u32_e32 v1, v5, v8
	v_mul_lo_u32 v8, v4, s39
	v_sub_nc_u32_e32 v4, v4, v10
	v_lshrrev_b32_e32 v1, s55, v1
	v_mul_lo_u32 v10, v4, s48
	v_mul_lo_u32 v4, v4, s49
	v_sub_nc_u32_e32 v3, v3, v8
	v_mul_lo_u32 v11, v1, s53
	v_mul_lo_u32 v8, v3, s46
	;; [unrolled: 1-line block ×3, first 2 shown]
	v_sub_nc_u32_e32 v5, v5, v11
	v_add3_u32 v0, v6, v0, v8
	v_mul_lo_u32 v11, v5, s50
	v_mul_lo_u32 v5, v5, s51
	v_add3_u32 v2, v9, v2, v3
	v_add3_u32 v0, v10, v0, v11
	;; [unrolled: 1-line block ×3, first 2 shown]
	s_cbranch_scc0 .LBB13_114
	s_branch .LBB13_118
.LBB13_115:
                                        ; implicit-def: $vgpr0
                                        ; implicit-def: $vgpr2
	s_branch .LBB13_122
.LBB13_116:
	v_mov_b32_e32 v0, 0
	v_mov_b32_e32 v2, 0
	s_branch .LBB13_121
.LBB13_117:
	v_mov_b32_e32 v0, 0
	v_mov_b32_e32 v2, 0
	;; [unrolled: 1-line block ×3, first 2 shown]
	s_mov_b32 s21, 0
.LBB13_118:
	s_and_b32 s27, s28, 3
	s_cmp_eq_u32 s27, 0
	s_cbranch_scc1 .LBB13_121
; %bb.119:
	s_lshl_b32 s16, s21, 3
	s_mul_i32 s18, s21, 12
	s_add_u32 s16, s12, s16
	s_addc_u32 s17, s13, 0
	s_add_u32 s16, s16, 0xc4
	s_addc_u32 s17, s17, 0
	;; [unrolled: 2-line block ×3, first 2 shown]
	.p2align	6
.LBB13_120:                             ; =>This Inner Loop Header: Depth=1
	s_clause 0x1
	s_load_dwordx2 s[28:29], s[18:19], 0x4
	s_load_dword s21, s[18:19], 0xc
	s_load_dwordx2 s[30:31], s[16:17], 0x0
	s_add_u32 s18, s18, 12
	s_addc_u32 s19, s19, 0
	s_add_u32 s16, s16, 8
	s_addc_u32 s17, s17, 0
	s_add_i32 s27, s27, -1
	s_cmp_lg_u32 s27, 0
	s_waitcnt lgkmcnt(0)
	v_mul_hi_u32 v3, s29, v1
	v_add_nc_u32_e32 v3, v1, v3
	v_lshrrev_b32_e32 v4, s21, v3
	v_mul_lo_u32 v3, v4, s28
	v_sub_nc_u32_e32 v3, v1, v3
	v_mad_u64_u32 v[0:1], null, v3, s30, v[0:1]
	v_mad_u64_u32 v[2:3], null, v3, s31, v[2:3]
	v_mov_b32_e32 v1, v4
	s_cbranch_scc1 .LBB13_120
.LBB13_121:
	s_cbranch_execnz .LBB13_124
.LBB13_122:
	s_waitcnt lgkmcnt(0)
	v_mul_hi_u32 v0, s9, v7
	s_andn2_b32 vcc_lo, exec_lo, s26
	v_add_nc_u32_e32 v0, v7, v0
	v_lshrrev_b32_e32 v1, s10, v0
	v_mul_lo_u32 v0, v1, s8
	v_sub_nc_u32_e32 v2, v7, v0
	v_mul_lo_u32 v0, v2, s4
	v_mul_lo_u32 v2, v2, s5
	s_cbranch_vccnz .LBB13_124
; %bb.123:
	v_mul_hi_u32 v3, s14, v1
	v_add_nc_u32_e32 v3, v1, v3
	v_lshrrev_b32_e32 v3, s15, v3
	v_mul_lo_u32 v3, v3, s11
	v_sub_nc_u32_e32 v3, v1, v3
	v_mad_u64_u32 v[0:1], null, v3, s6, v[0:1]
	v_mad_u64_u32 v[2:3], null, v3, s7, v[2:3]
.LBB13_124:
	s_waitcnt lgkmcnt(0)
	global_load_dword v1, v2, s[2:3]
	s_mov_b32 s2, 0x3b2d2a58
	s_waitcnt vmcnt(0)
	v_rcp_f32_e64 v2, |v1|
	v_cmp_gt_f32_e64 vcc_lo, |v1|, 1.0
	v_cndmask_b32_e64 v2, |v1|, v2, vcc_lo
	v_mul_f32_e32 v3, v2, v2
	v_fmaak_f32 v4, s2, v3, 0xbc7a590c
	v_fmaak_f32 v4, v3, v4, 0x3d29fb3f
	;; [unrolled: 1-line block ×7, first 2 shown]
	v_mul_f32_e32 v3, v3, v4
	v_fmac_f32_e32 v2, v2, v3
	v_sub_f32_e32 v3, 0x3fc90fdb, v2
	v_cndmask_b32_e32 v2, v2, v3, vcc_lo
	v_bfi_b32 v1, 0x7fffffff, v2, v1
	global_store_dword v0, v1, s[0:1]
	s_or_b32 exec_lo, exec_lo, s20
                                        ; implicit-def: $vgpr13
                                        ; implicit-def: $vgpr7
	s_andn2_saveexec_b32 s0, s25
	s_cbranch_execz .LBB13_101
	s_branch .LBB13_8
	.section	.rodata,"a",@progbits
	.p2align	6, 0x0
	.amdhsa_kernel _ZN2at6native32elementwise_kernel_manual_unrollILi128ELi4EZNS0_22gpu_kernel_impl_nocastIZZZNS0_16atan_kernel_cudaERNS_18TensorIteratorBaseEENKUlvE0_clEvENKUlvE0_clEvEUlfE_EEvS4_RKT_EUlibE_EEviT1_
		.amdhsa_group_segment_fixed_size 0
		.amdhsa_private_segment_fixed_size 0
		.amdhsa_kernarg_size 360
		.amdhsa_user_sgpr_count 6
		.amdhsa_user_sgpr_private_segment_buffer 1
		.amdhsa_user_sgpr_dispatch_ptr 0
		.amdhsa_user_sgpr_queue_ptr 0
		.amdhsa_user_sgpr_kernarg_segment_ptr 1
		.amdhsa_user_sgpr_dispatch_id 0
		.amdhsa_user_sgpr_flat_scratch_init 0
		.amdhsa_user_sgpr_private_segment_size 0
		.amdhsa_wavefront_size32 1
		.amdhsa_uses_dynamic_stack 0
		.amdhsa_system_sgpr_private_segment_wavefront_offset 0
		.amdhsa_system_sgpr_workgroup_id_x 1
		.amdhsa_system_sgpr_workgroup_id_y 0
		.amdhsa_system_sgpr_workgroup_id_z 0
		.amdhsa_system_sgpr_workgroup_info 0
		.amdhsa_system_vgpr_workitem_id 0
		.amdhsa_next_free_vgpr 20
		.amdhsa_next_free_sgpr 56
		.amdhsa_reserve_vcc 1
		.amdhsa_reserve_flat_scratch 0
		.amdhsa_float_round_mode_32 0
		.amdhsa_float_round_mode_16_64 0
		.amdhsa_float_denorm_mode_32 3
		.amdhsa_float_denorm_mode_16_64 3
		.amdhsa_dx10_clamp 1
		.amdhsa_ieee_mode 1
		.amdhsa_fp16_overflow 0
		.amdhsa_workgroup_processor_mode 1
		.amdhsa_memory_ordered 1
		.amdhsa_forward_progress 1
		.amdhsa_shared_vgpr_count 0
		.amdhsa_exception_fp_ieee_invalid_op 0
		.amdhsa_exception_fp_denorm_src 0
		.amdhsa_exception_fp_ieee_div_zero 0
		.amdhsa_exception_fp_ieee_overflow 0
		.amdhsa_exception_fp_ieee_underflow 0
		.amdhsa_exception_fp_ieee_inexact 0
		.amdhsa_exception_int_div_zero 0
	.end_amdhsa_kernel
	.section	.text._ZN2at6native32elementwise_kernel_manual_unrollILi128ELi4EZNS0_22gpu_kernel_impl_nocastIZZZNS0_16atan_kernel_cudaERNS_18TensorIteratorBaseEENKUlvE0_clEvENKUlvE0_clEvEUlfE_EEvS4_RKT_EUlibE_EEviT1_,"axG",@progbits,_ZN2at6native32elementwise_kernel_manual_unrollILi128ELi4EZNS0_22gpu_kernel_impl_nocastIZZZNS0_16atan_kernel_cudaERNS_18TensorIteratorBaseEENKUlvE0_clEvENKUlvE0_clEvEUlfE_EEvS4_RKT_EUlibE_EEviT1_,comdat
.Lfunc_end13:
	.size	_ZN2at6native32elementwise_kernel_manual_unrollILi128ELi4EZNS0_22gpu_kernel_impl_nocastIZZZNS0_16atan_kernel_cudaERNS_18TensorIteratorBaseEENKUlvE0_clEvENKUlvE0_clEvEUlfE_EEvS4_RKT_EUlibE_EEviT1_, .Lfunc_end13-_ZN2at6native32elementwise_kernel_manual_unrollILi128ELi4EZNS0_22gpu_kernel_impl_nocastIZZZNS0_16atan_kernel_cudaERNS_18TensorIteratorBaseEENKUlvE0_clEvENKUlvE0_clEvEUlfE_EEvS4_RKT_EUlibE_EEviT1_
                                        ; -- End function
	.set _ZN2at6native32elementwise_kernel_manual_unrollILi128ELi4EZNS0_22gpu_kernel_impl_nocastIZZZNS0_16atan_kernel_cudaERNS_18TensorIteratorBaseEENKUlvE0_clEvENKUlvE0_clEvEUlfE_EEvS4_RKT_EUlibE_EEviT1_.num_vgpr, 20
	.set _ZN2at6native32elementwise_kernel_manual_unrollILi128ELi4EZNS0_22gpu_kernel_impl_nocastIZZZNS0_16atan_kernel_cudaERNS_18TensorIteratorBaseEENKUlvE0_clEvENKUlvE0_clEvEUlfE_EEvS4_RKT_EUlibE_EEviT1_.num_agpr, 0
	.set _ZN2at6native32elementwise_kernel_manual_unrollILi128ELi4EZNS0_22gpu_kernel_impl_nocastIZZZNS0_16atan_kernel_cudaERNS_18TensorIteratorBaseEENKUlvE0_clEvENKUlvE0_clEvEUlfE_EEvS4_RKT_EUlibE_EEviT1_.numbered_sgpr, 56
	.set _ZN2at6native32elementwise_kernel_manual_unrollILi128ELi4EZNS0_22gpu_kernel_impl_nocastIZZZNS0_16atan_kernel_cudaERNS_18TensorIteratorBaseEENKUlvE0_clEvENKUlvE0_clEvEUlfE_EEvS4_RKT_EUlibE_EEviT1_.num_named_barrier, 0
	.set _ZN2at6native32elementwise_kernel_manual_unrollILi128ELi4EZNS0_22gpu_kernel_impl_nocastIZZZNS0_16atan_kernel_cudaERNS_18TensorIteratorBaseEENKUlvE0_clEvENKUlvE0_clEvEUlfE_EEvS4_RKT_EUlibE_EEviT1_.private_seg_size, 0
	.set _ZN2at6native32elementwise_kernel_manual_unrollILi128ELi4EZNS0_22gpu_kernel_impl_nocastIZZZNS0_16atan_kernel_cudaERNS_18TensorIteratorBaseEENKUlvE0_clEvENKUlvE0_clEvEUlfE_EEvS4_RKT_EUlibE_EEviT1_.uses_vcc, 1
	.set _ZN2at6native32elementwise_kernel_manual_unrollILi128ELi4EZNS0_22gpu_kernel_impl_nocastIZZZNS0_16atan_kernel_cudaERNS_18TensorIteratorBaseEENKUlvE0_clEvENKUlvE0_clEvEUlfE_EEvS4_RKT_EUlibE_EEviT1_.uses_flat_scratch, 0
	.set _ZN2at6native32elementwise_kernel_manual_unrollILi128ELi4EZNS0_22gpu_kernel_impl_nocastIZZZNS0_16atan_kernel_cudaERNS_18TensorIteratorBaseEENKUlvE0_clEvENKUlvE0_clEvEUlfE_EEvS4_RKT_EUlibE_EEviT1_.has_dyn_sized_stack, 0
	.set _ZN2at6native32elementwise_kernel_manual_unrollILi128ELi4EZNS0_22gpu_kernel_impl_nocastIZZZNS0_16atan_kernel_cudaERNS_18TensorIteratorBaseEENKUlvE0_clEvENKUlvE0_clEvEUlfE_EEvS4_RKT_EUlibE_EEviT1_.has_recursion, 0
	.set _ZN2at6native32elementwise_kernel_manual_unrollILi128ELi4EZNS0_22gpu_kernel_impl_nocastIZZZNS0_16atan_kernel_cudaERNS_18TensorIteratorBaseEENKUlvE0_clEvENKUlvE0_clEvEUlfE_EEvS4_RKT_EUlibE_EEviT1_.has_indirect_call, 0
	.section	.AMDGPU.csdata,"",@progbits
; Kernel info:
; codeLenInByte = 7096
; TotalNumSgprs: 58
; NumVgprs: 20
; ScratchSize: 0
; MemoryBound: 0
; FloatMode: 240
; IeeeMode: 1
; LDSByteSize: 0 bytes/workgroup (compile time only)
; SGPRBlocks: 0
; VGPRBlocks: 2
; NumSGPRsForWavesPerEU: 58
; NumVGPRsForWavesPerEU: 20
; Occupancy: 16
; WaveLimiterHint : 1
; COMPUTE_PGM_RSRC2:SCRATCH_EN: 0
; COMPUTE_PGM_RSRC2:USER_SGPR: 6
; COMPUTE_PGM_RSRC2:TRAP_HANDLER: 0
; COMPUTE_PGM_RSRC2:TGID_X_EN: 1
; COMPUTE_PGM_RSRC2:TGID_Y_EN: 0
; COMPUTE_PGM_RSRC2:TGID_Z_EN: 0
; COMPUTE_PGM_RSRC2:TIDIG_COMP_CNT: 0
	.section	.text._ZN2at6native32elementwise_kernel_manual_unrollILi128ELi4EZNS0_15gpu_kernel_implIZZZNS0_16atan_kernel_cudaERNS_18TensorIteratorBaseEENKUlvE0_clEvENKUlvE0_clEvEUlfE_EEvS4_RKT_EUlibE_EEviT1_,"axG",@progbits,_ZN2at6native32elementwise_kernel_manual_unrollILi128ELi4EZNS0_15gpu_kernel_implIZZZNS0_16atan_kernel_cudaERNS_18TensorIteratorBaseEENKUlvE0_clEvENKUlvE0_clEvEUlfE_EEvS4_RKT_EUlibE_EEviT1_,comdat
	.globl	_ZN2at6native32elementwise_kernel_manual_unrollILi128ELi4EZNS0_15gpu_kernel_implIZZZNS0_16atan_kernel_cudaERNS_18TensorIteratorBaseEENKUlvE0_clEvENKUlvE0_clEvEUlfE_EEvS4_RKT_EUlibE_EEviT1_ ; -- Begin function _ZN2at6native32elementwise_kernel_manual_unrollILi128ELi4EZNS0_15gpu_kernel_implIZZZNS0_16atan_kernel_cudaERNS_18TensorIteratorBaseEENKUlvE0_clEvENKUlvE0_clEvEUlfE_EEvS4_RKT_EUlibE_EEviT1_
	.p2align	8
	.type	_ZN2at6native32elementwise_kernel_manual_unrollILi128ELi4EZNS0_15gpu_kernel_implIZZZNS0_16atan_kernel_cudaERNS_18TensorIteratorBaseEENKUlvE0_clEvENKUlvE0_clEvEUlfE_EEvS4_RKT_EUlibE_EEviT1_,@function
_ZN2at6native32elementwise_kernel_manual_unrollILi128ELi4EZNS0_15gpu_kernel_implIZZZNS0_16atan_kernel_cudaERNS_18TensorIteratorBaseEENKUlvE0_clEvENKUlvE0_clEvEUlfE_EEvS4_RKT_EUlibE_EEviT1_: ; @_ZN2at6native32elementwise_kernel_manual_unrollILi128ELi4EZNS0_15gpu_kernel_implIZZZNS0_16atan_kernel_cudaERNS_18TensorIteratorBaseEENKUlvE0_clEvENKUlvE0_clEvEUlfE_EEvS4_RKT_EUlibE_EEviT1_
; %bb.0:
	v_mov_b32_e32 v1, 0
	s_clause 0x2
	s_load_dword s12, s[4:5], 0x0
	s_load_dwordx2 s[2:3], s[4:5], 0x18
	s_load_dwordx4 s[8:11], s[4:5], 0x8
	v_lshl_or_b32 v4, s6, 9, v0
	s_mov_b32 s7, 0
	global_load_ushort v1, v1, s[4:5] offset:33
	s_mov_b32 s4, 0
	v_or_b32_e32 v0, 0x180, v4
	s_waitcnt vmcnt(0)
	v_readfirstlane_b32 s1, v1
	s_and_b32 s0, 0xffff, s1
	s_lshr_b32 s5, s0, 8
	s_mov_b32 s0, exec_lo
	s_waitcnt lgkmcnt(0)
	v_cmpx_le_i32_e64 s12, v0
	s_xor_b32 s6, exec_lo, s0
	s_cbranch_execz .LBB14_1031
; %bb.1:
	s_mov_b32 s17, -1
	s_mov_b32 s15, 0
	s_mov_b32 s13, 0
	s_mov_b32 s14, exec_lo
	v_cmpx_gt_i32_e64 s12, v4
	s_cbranch_execz .LBB14_252
; %bb.2:
	v_mul_lo_u32 v0, v4, s3
	s_and_b32 s0, 0xffff, s5
	s_cmp_lt_i32 s0, 11
	v_ashrrev_i32_e32 v1, 31, v0
	v_add_co_u32 v0, vcc_lo, s10, v0
	v_add_co_ci_u32_e64 v1, null, s11, v1, vcc_lo
	s_cbranch_scc1 .LBB14_9
; %bb.3:
	s_cmp_gt_i32 s0, 25
	s_cbranch_scc0 .LBB14_18
; %bb.4:
	s_cmp_gt_i32 s0, 28
	s_cbranch_scc0 .LBB14_21
	;; [unrolled: 3-line block ×4, first 2 shown]
; %bb.7:
	s_cmp_eq_u32 s0, 46
	s_mov_b32 s16, 0
	s_cbranch_scc0 .LBB14_27
; %bb.8:
	global_load_dword v2, v[0:1], off
	s_mov_b32 s7, -1
	s_waitcnt vmcnt(0)
	v_lshlrev_b32_e32 v2, 16, v2
	s_branch .LBB14_29
.LBB14_9:
                                        ; implicit-def: $vgpr2
	s_cbranch_execnz .LBB14_202
.LBB14_10:
	s_andn2_b32 vcc_lo, exec_lo, s7
	s_cbranch_vccnz .LBB14_249
.LBB14_11:
	s_waitcnt vmcnt(0)
	v_rcp_f32_e64 v0, |v2|
	v_cmp_gt_f32_e64 vcc_lo, |v2|, 1.0
	s_mov_b32 s0, 0x3b2d2a58
	s_and_b32 s7, s1, 0xff
	s_cmp_lt_i32 s7, 11
	v_cndmask_b32_e64 v0, |v2|, v0, vcc_lo
	v_mul_f32_e32 v1, v0, v0
	v_fmaak_f32 v3, s0, v1, 0xbc7a590c
	v_fmaak_f32 v3, v1, v3, 0x3d29fb3f
	;; [unrolled: 1-line block ×7, first 2 shown]
	v_mul_f32_e32 v1, v1, v3
	v_fmac_f32_e32 v0, v0, v1
	v_mul_lo_u32 v1, v4, s2
	v_sub_f32_e32 v3, 0x3fc90fdb, v0
	v_ashrrev_i32_e32 v5, 31, v1
	v_cndmask_b32_e32 v3, v0, v3, vcc_lo
	v_add_co_u32 v0, vcc_lo, s8, v1
	v_add_co_ci_u32_e64 v1, null, s9, v5, vcc_lo
	v_bfi_b32 v2, 0x7fffffff, v3, v2
	s_cbranch_scc1 .LBB14_19
; %bb.12:
	s_and_b32 s16, 0xffff, s7
	s_cmp_gt_i32 s16, 25
	s_cbranch_scc0 .LBB14_22
; %bb.13:
	s_cmp_gt_i32 s16, 28
	s_cbranch_scc0 .LBB14_24
; %bb.14:
	;; [unrolled: 3-line block ×4, first 2 shown]
	s_mov_b32 s18, 0
	s_mov_b32 s0, -1
	s_cmp_eq_u32 s16, 46
	s_mov_b32 s17, 0
	s_cbranch_scc0 .LBB14_33
; %bb.17:
	v_bfe_u32 v5, v2, 16, 1
	v_cmp_o_f32_e32 vcc_lo, v2, v2
	v_mov_b32_e32 v6, 0x7fc0
	s_mov_b32 s17, -1
	s_mov_b32 s0, 0
	v_add3_u32 v5, v2, v5, 0x7fff
	v_cndmask_b32_sdwa v5, v6, v5, vcc_lo dst_sel:DWORD dst_unused:UNUSED_PAD src0_sel:DWORD src1_sel:WORD_1
	global_store_dword v[0:1], v5, off
	s_branch .LBB14_33
.LBB14_18:
                                        ; implicit-def: $vgpr2
	s_cbranch_execnz .LBB14_167
	s_branch .LBB14_201
.LBB14_19:
	s_mov_b32 s0, 0
	s_mov_b32 s17, 0
	s_cbranch_execnz .LBB14_102
.LBB14_20:
	s_andn2_b32 vcc_lo, exec_lo, s17
	s_cbranch_vccnz .LBB14_250
	s_branch .LBB14_140
.LBB14_21:
	s_mov_b32 s16, -1
                                        ; implicit-def: $vgpr2
	s_branch .LBB14_148
.LBB14_22:
	s_mov_b32 s18, -1
	s_mov_b32 s0, 0
	s_mov_b32 s17, 0
	s_branch .LBB14_60
.LBB14_23:
	s_mov_b32 s16, -1
                                        ; implicit-def: $vgpr2
	s_branch .LBB14_143
.LBB14_24:
	s_mov_b32 s18, -1
	s_mov_b32 s0, 0
	s_mov_b32 s17, 0
	s_branch .LBB14_43
.LBB14_25:
	s_mov_b32 s16, -1
	s_branch .LBB14_28
.LBB14_26:
	s_mov_b32 s18, -1
	s_mov_b32 s0, 0
	s_mov_b32 s17, 0
	s_branch .LBB14_39
.LBB14_27:
	s_mov_b32 s13, -1
.LBB14_28:
                                        ; implicit-def: $vgpr2
.LBB14_29:
	s_and_b32 vcc_lo, exec_lo, s16
	s_cbranch_vccz .LBB14_142
; %bb.30:
	s_cmp_eq_u32 s0, 44
	s_cbranch_scc0 .LBB14_141
; %bb.31:
	global_load_ubyte v2, v[0:1], off
	s_mov_b32 s13, 0
	s_mov_b32 s7, -1
	s_waitcnt vmcnt(0)
	v_lshlrev_b32_e32 v3, 23, v2
	v_cmp_ne_u32_e32 vcc_lo, 0xff, v2
	v_cndmask_b32_e32 v3, 0x7f800001, v3, vcc_lo
	v_cmp_ne_u32_e32 vcc_lo, 0, v2
	v_cndmask_b32_e32 v2, 0x400000, v3, vcc_lo
	s_branch .LBB14_142
.LBB14_32:
	s_mov_b32 s18, -1
	s_mov_b32 s0, 0
	s_mov_b32 s17, 0
.LBB14_33:
	s_and_b32 vcc_lo, exec_lo, s18
	s_cbranch_vccz .LBB14_38
; %bb.34:
	s_cmp_eq_u32 s16, 44
	s_mov_b32 s0, -1
	s_cbranch_scc0 .LBB14_38
; %bb.35:
	v_bfe_u32 v6, v2, 23, 8
	v_mov_b32_e32 v5, 0xff
	s_mov_b32 s17, exec_lo
	v_cmpx_ne_u32_e32 0xff, v6
	s_cbranch_execz .LBB14_37
; %bb.36:
	v_and_b32_e32 v5, 0x400000, v2
	v_and_or_b32 v6, 0x3fffff, v2, v6
	v_cmp_ne_u32_e32 vcc_lo, 0, v5
	v_cmp_ne_u32_e64 s0, 0, v6
	v_lshrrev_b32_e32 v5, 23, v2
	s_and_b32 s0, vcc_lo, s0
	v_cndmask_b32_e64 v6, 0, 1, s0
	v_add_nc_u32_e32 v5, v5, v6
.LBB14_37:
	s_or_b32 exec_lo, exec_lo, s17
	s_mov_b32 s17, -1
	s_mov_b32 s0, 0
	global_store_byte v[0:1], v5, off
.LBB14_38:
	s_mov_b32 s18, 0
.LBB14_39:
	s_and_b32 vcc_lo, exec_lo, s18
	s_cbranch_vccz .LBB14_42
; %bb.40:
	s_cmp_eq_u32 s16, 29
	s_mov_b32 s0, -1
	s_cbranch_scc0 .LBB14_42
; %bb.41:
	v_trunc_f32_e32 v5, v2
	s_mov_b32 s17, -1
	s_mov_b32 s0, 0
	s_mov_b32 s18, 0
	v_mul_f32_e32 v6, 0x2f800000, v5
	v_floor_f32_e32 v6, v6
	v_fmamk_f32 v5, v6, 0xcf800000, v5
	v_cvt_u32_f32_e32 v6, v6
	v_cvt_u32_f32_e32 v5, v5
	global_store_dwordx2 v[0:1], v[5:6], off
	s_branch .LBB14_43
.LBB14_42:
	s_mov_b32 s18, 0
.LBB14_43:
	s_and_b32 vcc_lo, exec_lo, s18
	s_cbranch_vccz .LBB14_59
; %bb.44:
	s_cmp_lt_i32 s16, 27
	s_mov_b32 s17, -1
	s_cbranch_scc1 .LBB14_50
; %bb.45:
	v_cvt_u32_f32_e32 v5, v2
	s_cmp_gt_i32 s16, 27
	s_cbranch_scc0 .LBB14_47
; %bb.46:
	s_mov_b32 s17, 0
	global_store_dword v[0:1], v5, off
.LBB14_47:
	s_andn2_b32 vcc_lo, exec_lo, s17
	s_cbranch_vccnz .LBB14_49
; %bb.48:
	global_store_short v[0:1], v5, off
.LBB14_49:
	s_mov_b32 s17, 0
.LBB14_50:
	s_andn2_b32 vcc_lo, exec_lo, s17
	s_cbranch_vccnz .LBB14_58
; %bb.51:
	v_and_b32_e32 v5, 0x7fffffff, v3
	v_mov_b32_e32 v6, 0x80
	s_mov_b32 s17, exec_lo
	v_cmpx_gt_u32_e32 0x43800000, v5
	s_cbranch_execz .LBB14_57
; %bb.52:
	v_cmp_lt_u32_e32 vcc_lo, 0x3bffffff, v5
	s_mov_b32 s18, 0
                                        ; implicit-def: $vgpr5
	s_and_saveexec_b32 s19, vcc_lo
	s_xor_b32 s19, exec_lo, s19
	s_cbranch_execz .LBB14_279
; %bb.53:
	v_bfe_u32 v5, v2, 20, 1
	s_mov_b32 s18, exec_lo
	v_add3_u32 v5, v2, v5, 0x487ffff
	v_lshrrev_b32_e32 v5, 20, v5
	s_andn2_saveexec_b32 s19, s19
	s_cbranch_execnz .LBB14_280
.LBB14_54:
	s_or_b32 exec_lo, exec_lo, s19
	v_mov_b32_e32 v6, 0
	s_and_saveexec_b32 s19, s18
.LBB14_55:
	v_lshrrev_b32_e32 v6, 24, v2
	v_and_or_b32 v6, 0x80, v6, v5
.LBB14_56:
	s_or_b32 exec_lo, exec_lo, s19
.LBB14_57:
	s_or_b32 exec_lo, exec_lo, s17
	global_store_byte v[0:1], v6, off
.LBB14_58:
	s_mov_b32 s17, -1
.LBB14_59:
	s_mov_b32 s18, 0
.LBB14_60:
	s_and_b32 vcc_lo, exec_lo, s18
	s_cbranch_vccz .LBB14_101
; %bb.61:
	s_cmp_gt_i32 s16, 22
	s_mov_b32 s18, -1
	s_cbranch_scc0 .LBB14_93
; %bb.62:
	s_cmp_lt_i32 s16, 24
	s_mov_b32 s17, -1
	s_cbranch_scc1 .LBB14_82
; %bb.63:
	s_cmp_gt_i32 s16, 24
	s_cbranch_scc0 .LBB14_71
; %bb.64:
	v_and_b32_e32 v5, 0x7fffffff, v3
	v_mov_b32_e32 v6, 0x80
	s_mov_b32 s17, exec_lo
	v_cmpx_gt_u32_e32 0x47800000, v5
	s_cbranch_execz .LBB14_70
; %bb.65:
	v_cmp_lt_u32_e32 vcc_lo, 0x37ffffff, v5
	s_mov_b32 s18, 0
                                        ; implicit-def: $vgpr5
	s_and_saveexec_b32 s19, vcc_lo
	s_xor_b32 s19, exec_lo, s19
	s_cbranch_execz .LBB14_283
; %bb.66:
	v_bfe_u32 v5, v2, 21, 1
	s_mov_b32 s18, exec_lo
	v_add3_u32 v5, v2, v5, 0x88fffff
	v_lshrrev_b32_e32 v5, 21, v5
	s_andn2_saveexec_b32 s19, s19
	s_cbranch_execnz .LBB14_284
.LBB14_67:
	s_or_b32 exec_lo, exec_lo, s19
	v_mov_b32_e32 v6, 0
	s_and_saveexec_b32 s19, s18
.LBB14_68:
	v_lshrrev_b32_e32 v6, 24, v2
	v_and_or_b32 v6, 0x80, v6, v5
.LBB14_69:
	s_or_b32 exec_lo, exec_lo, s19
.LBB14_70:
	s_or_b32 exec_lo, exec_lo, s17
	s_mov_b32 s17, 0
	global_store_byte v[0:1], v6, off
.LBB14_71:
	s_and_b32 vcc_lo, exec_lo, s17
	s_cbranch_vccz .LBB14_81
; %bb.72:
	v_and_b32_e32 v6, 0x7fffffff, v3
	s_mov_b32 s17, exec_lo
                                        ; implicit-def: $vgpr5
	v_cmpx_gt_u32_e32 0x43f00000, v6
	s_xor_b32 s17, exec_lo, s17
	s_cbranch_execz .LBB14_78
; %bb.73:
	s_mov_b32 s18, exec_lo
                                        ; implicit-def: $vgpr5
	v_cmpx_lt_u32_e32 0x3c7fffff, v6
	s_xor_b32 s18, exec_lo, s18
; %bb.74:
	v_bfe_u32 v5, v2, 20, 1
	v_add3_u32 v5, v2, v5, 0x407ffff
	v_and_b32_e32 v6, 0xff00000, v5
	v_lshrrev_b32_e32 v5, 20, v5
	v_cmp_ne_u32_e32 vcc_lo, 0x7f00000, v6
	v_cndmask_b32_e32 v5, 0x7e, v5, vcc_lo
; %bb.75:
	s_andn2_saveexec_b32 s18, s18
; %bb.76:
	v_add_f32_e64 v5, 0x46800000, |v3|
; %bb.77:
	s_or_b32 exec_lo, exec_lo, s18
                                        ; implicit-def: $vgpr6
.LBB14_78:
	s_andn2_saveexec_b32 s17, s17
; %bb.79:
	v_mov_b32_e32 v5, 0x7f
	v_cmp_lt_u32_e32 vcc_lo, 0x7f800000, v6
	v_cndmask_b32_e32 v5, 0x7e, v5, vcc_lo
; %bb.80:
	s_or_b32 exec_lo, exec_lo, s17
	v_lshrrev_b32_e32 v6, 24, v2
	v_and_or_b32 v5, 0x80, v6, v5
	global_store_byte v[0:1], v5, off
.LBB14_81:
	s_mov_b32 s17, 0
.LBB14_82:
	s_andn2_b32 vcc_lo, exec_lo, s17
	s_cbranch_vccnz .LBB14_92
; %bb.83:
	v_and_b32_e32 v6, 0x7fffffff, v3
	s_mov_b32 s17, exec_lo
                                        ; implicit-def: $vgpr5
	v_cmpx_gt_u32_e32 0x47800000, v6
	s_xor_b32 s17, exec_lo, s17
	s_cbranch_execz .LBB14_89
; %bb.84:
	s_mov_b32 s18, exec_lo
                                        ; implicit-def: $vgpr5
	v_cmpx_lt_u32_e32 0x387fffff, v6
	s_xor_b32 s18, exec_lo, s18
; %bb.85:
	v_bfe_u32 v3, v2, 21, 1
	v_add3_u32 v3, v2, v3, 0x80fffff
	v_lshrrev_b32_e32 v5, 21, v3
                                        ; implicit-def: $vgpr3
; %bb.86:
	s_andn2_saveexec_b32 s18, s18
; %bb.87:
	v_add_f32_e64 v5, 0x43000000, |v3|
; %bb.88:
	s_or_b32 exec_lo, exec_lo, s18
                                        ; implicit-def: $vgpr6
.LBB14_89:
	s_andn2_saveexec_b32 s17, s17
; %bb.90:
	v_mov_b32_e32 v3, 0x7f
	v_cmp_lt_u32_e32 vcc_lo, 0x7f800000, v6
	v_cndmask_b32_e32 v5, 0x7c, v3, vcc_lo
; %bb.91:
	s_or_b32 exec_lo, exec_lo, s17
	v_lshrrev_b32_e32 v3, 24, v2
	v_and_or_b32 v3, 0x80, v3, v5
	global_store_byte v[0:1], v3, off
.LBB14_92:
	s_mov_b32 s18, 0
	s_mov_b32 s17, -1
.LBB14_93:
	s_andn2_b32 vcc_lo, exec_lo, s18
	s_cbranch_vccnz .LBB14_101
; %bb.94:
	s_cmp_gt_i32 s16, 14
	s_mov_b32 s18, -1
	s_cbranch_scc0 .LBB14_98
; %bb.95:
	s_cmp_eq_u32 s16, 15
	s_mov_b32 s0, -1
	s_cbranch_scc0 .LBB14_97
; %bb.96:
	v_bfe_u32 v3, v2, 16, 1
	v_cmp_o_f32_e32 vcc_lo, v2, v2
	v_mov_b32_e32 v5, 0x7fc0
	s_mov_b32 s17, -1
	s_mov_b32 s0, 0
	v_add3_u32 v3, v2, v3, 0x7fff
	v_cndmask_b32_sdwa v3, v5, v3, vcc_lo dst_sel:DWORD dst_unused:UNUSED_PAD src0_sel:DWORD src1_sel:WORD_1
	global_store_short v[0:1], v3, off
.LBB14_97:
	s_mov_b32 s18, 0
.LBB14_98:
	s_and_b32 vcc_lo, exec_lo, s18
	s_cbranch_vccz .LBB14_101
; %bb.99:
	s_cmp_eq_u32 s16, 11
	s_mov_b32 s0, -1
	s_cbranch_scc0 .LBB14_101
; %bb.100:
	v_cmp_neq_f32_e32 vcc_lo, 0, v2
	s_mov_b32 s0, 0
	s_mov_b32 s17, -1
	v_cndmask_b32_e64 v3, 0, 1, vcc_lo
	global_store_byte v[0:1], v3, off
.LBB14_101:
	s_branch .LBB14_20
.LBB14_102:
	s_and_b32 s7, 0xffff, s7
	s_mov_b32 s16, -1
	s_cmp_lt_i32 s7, 5
	s_cbranch_scc1 .LBB14_123
; %bb.103:
	s_cmp_lt_i32 s7, 8
	s_cbranch_scc1 .LBB14_113
; %bb.104:
	;; [unrolled: 3-line block ×3, first 2 shown]
	s_cmp_gt_i32 s7, 9
	s_cbranch_scc0 .LBB14_107
; %bb.106:
	v_cvt_f64_f32_e32 v[5:6], v2
	v_mov_b32_e32 v7, 0
	s_mov_b32 s16, 0
	v_mov_b32_e32 v8, v7
	global_store_dwordx4 v[0:1], v[5:8], off
.LBB14_107:
	s_andn2_b32 vcc_lo, exec_lo, s16
	s_cbranch_vccnz .LBB14_109
; %bb.108:
	v_mov_b32_e32 v3, 0
	global_store_dwordx2 v[0:1], v[2:3], off
.LBB14_109:
	s_mov_b32 s16, 0
.LBB14_110:
	s_andn2_b32 vcc_lo, exec_lo, s16
	s_cbranch_vccnz .LBB14_112
; %bb.111:
	v_cvt_f16_f32_e32 v3, v2
	v_and_b32_e32 v3, 0xffff, v3
	global_store_dword v[0:1], v3, off
.LBB14_112:
	s_mov_b32 s16, 0
.LBB14_113:
	s_andn2_b32 vcc_lo, exec_lo, s16
	s_cbranch_vccnz .LBB14_122
; %bb.114:
	s_cmp_lt_i32 s7, 6
	s_mov_b32 s16, -1
	s_cbranch_scc1 .LBB14_120
; %bb.115:
	s_cmp_gt_i32 s7, 6
	s_cbranch_scc0 .LBB14_117
; %bb.116:
	v_cvt_f64_f32_e32 v[5:6], v2
	s_mov_b32 s16, 0
	global_store_dwordx2 v[0:1], v[5:6], off
.LBB14_117:
	s_andn2_b32 vcc_lo, exec_lo, s16
	s_cbranch_vccnz .LBB14_119
; %bb.118:
	global_store_dword v[0:1], v2, off
.LBB14_119:
	s_mov_b32 s16, 0
.LBB14_120:
	s_andn2_b32 vcc_lo, exec_lo, s16
	s_cbranch_vccnz .LBB14_122
; %bb.121:
	v_cvt_f16_f32_e32 v3, v2
	global_store_short v[0:1], v3, off
.LBB14_122:
	s_mov_b32 s16, 0
.LBB14_123:
	s_andn2_b32 vcc_lo, exec_lo, s16
	s_cbranch_vccnz .LBB14_139
; %bb.124:
	s_cmp_lt_i32 s7, 2
	s_mov_b32 s16, -1
	s_cbranch_scc1 .LBB14_134
; %bb.125:
	s_cmp_lt_i32 s7, 3
	s_cbranch_scc1 .LBB14_131
; %bb.126:
	s_cmp_gt_i32 s7, 3
	s_cbranch_scc0 .LBB14_128
; %bb.127:
	v_trunc_f32_e32 v3, v2
	s_mov_b32 s16, 0
	v_mul_f32_e64 v5, 0x2f800000, |v3|
	v_floor_f32_e32 v5, v5
	v_fma_f32 v6, 0xcf800000, v5, |v3|
	v_ashrrev_i32_e32 v3, 31, v3
	v_cvt_u32_f32_e32 v5, v5
	v_cvt_u32_f32_e32 v6, v6
	v_xor_b32_e32 v7, v5, v3
	v_xor_b32_e32 v6, v6, v3
	v_sub_co_u32 v5, vcc_lo, v6, v3
	v_sub_co_ci_u32_e64 v6, null, v7, v3, vcc_lo
	global_store_dwordx2 v[0:1], v[5:6], off
.LBB14_128:
	s_andn2_b32 vcc_lo, exec_lo, s16
	s_cbranch_vccnz .LBB14_130
; %bb.129:
	v_cvt_i32_f32_e32 v3, v2
	global_store_dword v[0:1], v3, off
.LBB14_130:
	s_mov_b32 s16, 0
.LBB14_131:
	s_andn2_b32 vcc_lo, exec_lo, s16
	s_cbranch_vccnz .LBB14_133
; %bb.132:
	v_cvt_i32_f32_e32 v3, v2
	global_store_short v[0:1], v3, off
.LBB14_133:
	s_mov_b32 s16, 0
.LBB14_134:
	s_andn2_b32 vcc_lo, exec_lo, s16
	s_cbranch_vccnz .LBB14_139
; %bb.135:
	s_cmp_gt_i32 s7, 0
	s_mov_b32 s7, -1
	s_cbranch_scc0 .LBB14_137
; %bb.136:
	v_cvt_i32_f32_e32 v3, v2
	s_mov_b32 s7, 0
	global_store_byte v[0:1], v3, off
.LBB14_137:
	s_andn2_b32 vcc_lo, exec_lo, s7
	s_cbranch_vccnz .LBB14_139
; %bb.138:
	v_trunc_f32_e32 v2, v2
	v_mul_f32_e64 v3, 0x2f800000, |v2|
	v_floor_f32_e32 v3, v3
	v_fma_f32 v3, 0xcf800000, v3, |v2|
	v_ashrrev_i32_e32 v2, 31, v2
	v_cvt_u32_f32_e32 v3, v3
	v_xor_b32_e32 v3, v3, v2
	v_sub_nc_u32_e32 v2, v3, v2
	global_store_byte v[0:1], v2, off
.LBB14_139:
.LBB14_140:
	v_add_nc_u32_e32 v4, 0x80, v4
	s_mov_b32 s16, -1
	s_branch .LBB14_251
.LBB14_141:
	s_mov_b32 s13, -1
                                        ; implicit-def: $vgpr2
.LBB14_142:
	s_mov_b32 s16, 0
.LBB14_143:
	s_and_b32 vcc_lo, exec_lo, s16
	s_cbranch_vccz .LBB14_147
; %bb.144:
	s_cmp_eq_u32 s0, 29
	s_cbranch_scc0 .LBB14_146
; %bb.145:
	global_load_dwordx2 v[2:3], v[0:1], off
	s_mov_b32 s7, -1
	s_mov_b32 s13, 0
	s_mov_b32 s16, 0
	s_waitcnt vmcnt(0)
	v_ffbh_u32_e32 v5, v3
	v_min_u32_e32 v5, 32, v5
	v_lshlrev_b64 v[2:3], v5, v[2:3]
	v_min_u32_e32 v2, 1, v2
	v_or_b32_e32 v2, v3, v2
	v_sub_nc_u32_e32 v3, 32, v5
	v_cvt_f32_u32_e32 v2, v2
	v_ldexp_f32 v2, v2, v3
	s_branch .LBB14_148
.LBB14_146:
	s_mov_b32 s13, -1
                                        ; implicit-def: $vgpr2
.LBB14_147:
	s_mov_b32 s16, 0
.LBB14_148:
	s_and_b32 vcc_lo, exec_lo, s16
	s_cbranch_vccz .LBB14_166
; %bb.149:
	s_cmp_lt_i32 s0, 27
	s_cbranch_scc1 .LBB14_152
; %bb.150:
	s_cmp_gt_i32 s0, 27
	s_cbranch_scc0 .LBB14_153
; %bb.151:
	global_load_dword v2, v[0:1], off
	s_mov_b32 s7, 0
	s_waitcnt vmcnt(0)
	v_cvt_f32_u32_e32 v2, v2
	s_branch .LBB14_154
.LBB14_152:
	s_mov_b32 s7, -1
                                        ; implicit-def: $vgpr2
	s_branch .LBB14_157
.LBB14_153:
	s_mov_b32 s7, -1
                                        ; implicit-def: $vgpr2
.LBB14_154:
	s_andn2_b32 vcc_lo, exec_lo, s7
	s_cbranch_vccnz .LBB14_156
; %bb.155:
	global_load_ushort v2, v[0:1], off
	s_waitcnt vmcnt(0)
	v_cvt_f32_u32_e32 v2, v2
.LBB14_156:
	s_mov_b32 s7, 0
.LBB14_157:
	s_andn2_b32 vcc_lo, exec_lo, s7
	s_cbranch_vccnz .LBB14_165
; %bb.158:
	global_load_ubyte v3, v[0:1], off
	s_mov_b32 s7, 0
	s_mov_b32 s16, exec_lo
	s_waitcnt vmcnt(0)
	v_cmpx_lt_i16_e32 0x7f, v3
	s_xor_b32 s16, exec_lo, s16
	s_cbranch_execz .LBB14_178
; %bb.159:
	s_mov_b32 s7, -1
	s_mov_b32 s17, exec_lo
	v_cmpx_eq_u16_e32 0x80, v3
; %bb.160:
	s_xor_b32 s7, exec_lo, -1
; %bb.161:
	s_or_b32 exec_lo, exec_lo, s17
	s_and_b32 s7, s7, exec_lo
	s_or_saveexec_b32 s16, s16
	v_mov_b32_e32 v2, 0x7f800001
	s_xor_b32 exec_lo, exec_lo, s16
	s_cbranch_execnz .LBB14_179
.LBB14_162:
	s_or_b32 exec_lo, exec_lo, s16
	s_and_saveexec_b32 s16, s7
	s_cbranch_execz .LBB14_164
.LBB14_163:
	v_and_b32_e32 v2, 0xffff, v3
	v_lshlrev_b32_e32 v3, 24, v3
	v_and_b32_e32 v5, 7, v2
	v_bfe_u32 v8, v2, 3, 4
	v_and_b32_e32 v3, 0x80000000, v3
	v_ffbh_u32_e32 v6, v5
	v_cmp_eq_u32_e32 vcc_lo, 0, v8
	v_min_u32_e32 v6, 32, v6
	v_subrev_nc_u32_e32 v7, 28, v6
	v_sub_nc_u32_e32 v6, 29, v6
	v_lshlrev_b32_e32 v2, v7, v2
	v_cndmask_b32_e32 v6, v8, v6, vcc_lo
	v_and_b32_e32 v2, 7, v2
	v_cndmask_b32_e32 v2, v5, v2, vcc_lo
	v_lshl_add_u32 v5, v6, 23, 0x3b800000
	v_lshlrev_b32_e32 v2, 20, v2
	v_or3_b32 v2, v3, v5, v2
.LBB14_164:
	s_or_b32 exec_lo, exec_lo, s16
.LBB14_165:
	s_mov_b32 s7, -1
.LBB14_166:
	s_branch .LBB14_201
.LBB14_167:
	s_cmp_gt_i32 s0, 22
	s_cbranch_scc0 .LBB14_177
; %bb.168:
	s_cmp_lt_i32 s0, 24
	s_cbranch_scc1 .LBB14_180
; %bb.169:
	s_cmp_gt_i32 s0, 24
	s_cbranch_scc0 .LBB14_181
; %bb.170:
	global_load_ubyte v3, v[0:1], off
	s_mov_b32 s7, 0
	s_mov_b32 s16, exec_lo
	s_waitcnt vmcnt(0)
	v_cmpx_lt_i16_e32 0x7f, v3
	s_xor_b32 s16, exec_lo, s16
	s_cbranch_execz .LBB14_193
; %bb.171:
	s_mov_b32 s7, -1
	s_mov_b32 s17, exec_lo
	v_cmpx_eq_u16_e32 0x80, v3
; %bb.172:
	s_xor_b32 s7, exec_lo, -1
; %bb.173:
	s_or_b32 exec_lo, exec_lo, s17
	s_and_b32 s7, s7, exec_lo
	s_or_saveexec_b32 s16, s16
	v_mov_b32_e32 v2, 0x7f800001
	s_xor_b32 exec_lo, exec_lo, s16
	s_cbranch_execnz .LBB14_194
.LBB14_174:
	s_or_b32 exec_lo, exec_lo, s16
	s_and_saveexec_b32 s16, s7
	s_cbranch_execz .LBB14_176
.LBB14_175:
	v_and_b32_e32 v2, 0xffff, v3
	v_lshlrev_b32_e32 v3, 24, v3
	v_and_b32_e32 v5, 3, v2
	v_bfe_u32 v8, v2, 2, 5
	v_and_b32_e32 v3, 0x80000000, v3
	v_ffbh_u32_e32 v6, v5
	v_cmp_eq_u32_e32 vcc_lo, 0, v8
	v_min_u32_e32 v6, 32, v6
	v_subrev_nc_u32_e32 v7, 29, v6
	v_sub_nc_u32_e32 v6, 30, v6
	v_lshlrev_b32_e32 v2, v7, v2
	v_cndmask_b32_e32 v6, v8, v6, vcc_lo
	v_and_b32_e32 v2, 3, v2
	v_cndmask_b32_e32 v2, v5, v2, vcc_lo
	v_lshl_add_u32 v5, v6, 23, 0x37800000
	v_lshlrev_b32_e32 v2, 21, v2
	v_or3_b32 v2, v3, v5, v2
.LBB14_176:
	s_or_b32 exec_lo, exec_lo, s16
	s_mov_b32 s7, 0
	s_branch .LBB14_182
.LBB14_177:
	s_mov_b32 s16, -1
                                        ; implicit-def: $vgpr2
	s_branch .LBB14_188
.LBB14_178:
	s_or_saveexec_b32 s16, s16
	v_mov_b32_e32 v2, 0x7f800001
	s_xor_b32 exec_lo, exec_lo, s16
	s_cbranch_execz .LBB14_162
.LBB14_179:
	v_cmp_ne_u16_e32 vcc_lo, 0, v3
	v_mov_b32_e32 v2, 0
	s_andn2_b32 s7, s7, exec_lo
	s_and_b32 s17, vcc_lo, exec_lo
	s_or_b32 s7, s7, s17
	s_or_b32 exec_lo, exec_lo, s16
	s_and_saveexec_b32 s16, s7
	s_cbranch_execnz .LBB14_163
	s_branch .LBB14_164
.LBB14_180:
	s_mov_b32 s7, -1
                                        ; implicit-def: $vgpr2
	s_branch .LBB14_185
.LBB14_181:
	s_mov_b32 s7, -1
                                        ; implicit-def: $vgpr2
.LBB14_182:
	s_and_b32 vcc_lo, exec_lo, s7
	s_cbranch_vccz .LBB14_184
; %bb.183:
	global_load_ubyte v2, v[0:1], off
	s_waitcnt vmcnt(0)
	v_lshlrev_b32_e32 v2, 24, v2
	v_and_b32_e32 v3, 0x7f000000, v2
	v_ffbh_u32_e32 v5, v3
	v_add_nc_u32_e32 v7, 0x1000000, v3
	v_cmp_ne_u32_e32 vcc_lo, 0, v3
	v_min_u32_e32 v5, 32, v5
	v_sub_nc_u32_e64 v5, v5, 4 clamp
	v_lshlrev_b32_e32 v6, v5, v3
	v_lshlrev_b32_e32 v5, 23, v5
	v_lshrrev_b32_e32 v6, 4, v6
	v_sub_nc_u32_e32 v5, v6, v5
	v_ashrrev_i32_e32 v6, 8, v7
	v_add_nc_u32_e32 v5, 0x3c000000, v5
	v_and_or_b32 v5, 0x7f800000, v6, v5
	v_cndmask_b32_e32 v3, 0, v5, vcc_lo
	v_and_or_b32 v2, 0x80000000, v2, v3
.LBB14_184:
	s_mov_b32 s7, 0
.LBB14_185:
	s_andn2_b32 vcc_lo, exec_lo, s7
	s_cbranch_vccnz .LBB14_187
; %bb.186:
	global_load_ubyte v2, v[0:1], off
	s_waitcnt vmcnt(0)
	v_lshlrev_b32_e32 v3, 25, v2
	v_lshlrev_b16 v2, 8, v2
	v_lshrrev_b32_e32 v5, 4, v3
	v_and_or_b32 v6, 0x7f00, v2, 0.5
	v_cmp_gt_u32_e32 vcc_lo, 0x8000000, v3
	v_bfe_i32 v2, v2, 0, 16
	v_or_b32_e32 v5, 0x70000000, v5
	v_add_f32_e32 v6, -0.5, v6
	v_mul_f32_e32 v5, 0x7800000, v5
	v_cndmask_b32_e32 v3, v5, v6, vcc_lo
	v_and_or_b32 v2, 0x80000000, v2, v3
.LBB14_187:
	s_mov_b32 s16, 0
	s_mov_b32 s7, -1
.LBB14_188:
	s_andn2_b32 vcc_lo, exec_lo, s16
	s_cbranch_vccnz .LBB14_201
; %bb.189:
	s_cmp_gt_i32 s0, 14
	s_cbranch_scc0 .LBB14_192
; %bb.190:
	s_cmp_eq_u32 s0, 15
	s_cbranch_scc0 .LBB14_195
; %bb.191:
	global_load_ushort v2, v[0:1], off
	s_mov_b32 s7, -1
	s_mov_b32 s13, 0
	s_waitcnt vmcnt(0)
	v_lshlrev_b32_e32 v2, 16, v2
	s_branch .LBB14_196
.LBB14_192:
	s_mov_b32 s16, -1
                                        ; implicit-def: $vgpr2
	s_branch .LBB14_197
.LBB14_193:
	s_or_saveexec_b32 s16, s16
	v_mov_b32_e32 v2, 0x7f800001
	s_xor_b32 exec_lo, exec_lo, s16
	s_cbranch_execz .LBB14_174
.LBB14_194:
	v_cmp_ne_u16_e32 vcc_lo, 0, v3
	v_mov_b32_e32 v2, 0
	s_andn2_b32 s7, s7, exec_lo
	s_and_b32 s17, vcc_lo, exec_lo
	s_or_b32 s7, s7, s17
	s_or_b32 exec_lo, exec_lo, s16
	s_and_saveexec_b32 s16, s7
	s_cbranch_execnz .LBB14_175
	s_branch .LBB14_176
.LBB14_195:
	s_mov_b32 s13, -1
                                        ; implicit-def: $vgpr2
.LBB14_196:
	s_mov_b32 s16, 0
.LBB14_197:
	s_and_b32 vcc_lo, exec_lo, s16
	s_cbranch_vccz .LBB14_201
; %bb.198:
	s_cmp_eq_u32 s0, 11
	s_cbranch_scc0 .LBB14_200
; %bb.199:
	global_load_ubyte v2, v[0:1], off
	s_mov_b32 s13, 0
	s_mov_b32 s7, -1
	s_waitcnt vmcnt(0)
	v_cmp_ne_u16_e32 vcc_lo, 0, v2
	v_cndmask_b32_e64 v2, 0, 1.0, vcc_lo
	s_branch .LBB14_201
.LBB14_200:
	s_mov_b32 s13, -1
                                        ; implicit-def: $vgpr2
.LBB14_201:
	s_branch .LBB14_10
.LBB14_202:
	s_cmp_lt_i32 s0, 5
	s_cbranch_scc1 .LBB14_207
; %bb.203:
	s_cmp_lt_i32 s0, 8
	s_cbranch_scc1 .LBB14_208
; %bb.204:
	;; [unrolled: 3-line block ×3, first 2 shown]
	s_cmp_gt_i32 s0, 9
	s_cbranch_scc0 .LBB14_210
; %bb.206:
	global_load_dwordx2 v[2:3], v[0:1], off
	s_mov_b32 s7, 0
	s_waitcnt vmcnt(0)
	v_cvt_f32_f64_e32 v2, v[2:3]
	s_branch .LBB14_211
.LBB14_207:
                                        ; implicit-def: $vgpr2
	s_branch .LBB14_229
.LBB14_208:
	s_mov_b32 s7, -1
                                        ; implicit-def: $vgpr2
	s_branch .LBB14_217
.LBB14_209:
	s_mov_b32 s7, -1
                                        ; implicit-def: $vgpr2
	s_branch .LBB14_214
.LBB14_210:
	s_mov_b32 s7, -1
                                        ; implicit-def: $vgpr2
.LBB14_211:
	s_andn2_b32 vcc_lo, exec_lo, s7
	s_cbranch_vccnz .LBB14_213
; %bb.212:
	global_load_dword v2, v[0:1], off
.LBB14_213:
	s_mov_b32 s7, 0
.LBB14_214:
	s_andn2_b32 vcc_lo, exec_lo, s7
	s_cbranch_vccnz .LBB14_216
; %bb.215:
	global_load_dword v2, v[0:1], off
	s_waitcnt vmcnt(0)
	v_cvt_f32_f16_e32 v2, v2
.LBB14_216:
	s_mov_b32 s7, 0
.LBB14_217:
	s_andn2_b32 vcc_lo, exec_lo, s7
	s_cbranch_vccnz .LBB14_228
; %bb.218:
	s_cmp_lt_i32 s0, 6
	s_cbranch_scc1 .LBB14_221
; %bb.219:
	s_cmp_gt_i32 s0, 6
	s_cbranch_scc0 .LBB14_222
; %bb.220:
	global_load_dwordx2 v[2:3], v[0:1], off
	s_mov_b32 s7, 0
	s_waitcnt vmcnt(0)
	v_cvt_f32_f64_e32 v2, v[2:3]
	s_branch .LBB14_223
.LBB14_221:
	s_mov_b32 s7, -1
                                        ; implicit-def: $vgpr2
	s_branch .LBB14_226
.LBB14_222:
	s_mov_b32 s7, -1
                                        ; implicit-def: $vgpr2
.LBB14_223:
	s_andn2_b32 vcc_lo, exec_lo, s7
	s_cbranch_vccnz .LBB14_225
; %bb.224:
	global_load_dword v2, v[0:1], off
.LBB14_225:
	s_mov_b32 s7, 0
.LBB14_226:
	s_andn2_b32 vcc_lo, exec_lo, s7
	s_cbranch_vccnz .LBB14_228
; %bb.227:
	global_load_ushort v2, v[0:1], off
	s_waitcnt vmcnt(0)
	v_cvt_f32_f16_e32 v2, v2
.LBB14_228:
	s_cbranch_execnz .LBB14_248
.LBB14_229:
	s_cmp_lt_i32 s0, 2
	s_cbranch_scc1 .LBB14_233
; %bb.230:
	s_cmp_lt_i32 s0, 3
	s_cbranch_scc1 .LBB14_234
; %bb.231:
	s_cmp_gt_i32 s0, 3
	s_cbranch_scc0 .LBB14_235
; %bb.232:
	global_load_dwordx2 v[2:3], v[0:1], off
	s_mov_b32 s7, 0
	s_waitcnt vmcnt(0)
	v_xor_b32_e32 v5, v2, v3
	v_ffbh_i32_e32 v6, v3
	v_ashrrev_i32_e32 v5, 31, v5
	v_add_nc_u32_e32 v6, -1, v6
	v_add_nc_u32_e32 v5, 32, v5
	v_min_u32_e32 v5, v6, v5
	v_lshlrev_b64 v[2:3], v5, v[2:3]
	v_min_u32_e32 v2, 1, v2
	v_or_b32_e32 v2, v3, v2
	v_sub_nc_u32_e32 v3, 32, v5
	v_cvt_f32_i32_e32 v2, v2
	v_ldexp_f32 v2, v2, v3
	s_branch .LBB14_236
.LBB14_233:
	s_mov_b32 s7, -1
                                        ; implicit-def: $vgpr2
	s_branch .LBB14_242
.LBB14_234:
	s_mov_b32 s7, -1
                                        ; implicit-def: $vgpr2
	s_branch .LBB14_239
.LBB14_235:
	s_mov_b32 s7, -1
                                        ; implicit-def: $vgpr2
.LBB14_236:
	s_andn2_b32 vcc_lo, exec_lo, s7
	s_cbranch_vccnz .LBB14_238
; %bb.237:
	global_load_dword v2, v[0:1], off
	s_waitcnt vmcnt(0)
	v_cvt_f32_i32_e32 v2, v2
.LBB14_238:
	s_mov_b32 s7, 0
.LBB14_239:
	s_andn2_b32 vcc_lo, exec_lo, s7
	s_cbranch_vccnz .LBB14_241
; %bb.240:
	global_load_sshort v2, v[0:1], off
	s_waitcnt vmcnt(0)
	v_cvt_f32_i32_e32 v2, v2
.LBB14_241:
	s_mov_b32 s7, 0
.LBB14_242:
	s_andn2_b32 vcc_lo, exec_lo, s7
	s_cbranch_vccnz .LBB14_248
; %bb.243:
	s_cmp_gt_i32 s0, 0
	s_mov_b32 s0, 0
	s_cbranch_scc0 .LBB14_245
; %bb.244:
	global_load_sbyte v2, v[0:1], off
	s_waitcnt vmcnt(0)
	v_cvt_f32_i32_e32 v2, v2
	s_branch .LBB14_246
.LBB14_245:
	s_mov_b32 s0, -1
                                        ; implicit-def: $vgpr2
.LBB14_246:
	s_andn2_b32 vcc_lo, exec_lo, s0
	s_cbranch_vccnz .LBB14_248
; %bb.247:
	global_load_ubyte v0, v[0:1], off
	s_waitcnt vmcnt(0)
	v_cvt_f32_ubyte0_e32 v2, v0
.LBB14_248:
	s_branch .LBB14_11
.LBB14_249:
	s_mov_b32 s0, 0
.LBB14_250:
	s_mov_b32 s16, 0
                                        ; implicit-def: $vgpr4
.LBB14_251:
	s_and_b32 s7, s0, exec_lo
	s_and_b32 s13, s13, exec_lo
	s_orn2_b32 s17, s16, exec_lo
.LBB14_252:
	s_or_b32 exec_lo, exec_lo, s14
	s_mov_b32 s16, 0
	s_mov_b32 s0, 0
                                        ; implicit-def: $vgpr0_vgpr1
                                        ; implicit-def: $vgpr3
	s_and_saveexec_b32 s14, s17
	s_cbranch_execz .LBB14_261
; %bb.253:
	s_mov_b32 s0, -1
	s_mov_b32 s15, s13
	s_mov_b32 s16, s7
	s_mov_b32 s17, exec_lo
	v_cmpx_gt_i32_e64 s12, v4
	s_cbranch_execz .LBB14_515
; %bb.254:
	v_mul_lo_u32 v0, v4, s3
	s_and_b32 s0, 0xffff, s5
	s_cmp_lt_i32 s0, 11
	v_ashrrev_i32_e32 v1, 31, v0
	v_add_co_u32 v0, vcc_lo, s10, v0
	v_add_co_ci_u32_e64 v1, null, s11, v1, vcc_lo
	s_cbranch_scc1 .LBB14_264
; %bb.255:
	s_cmp_gt_i32 s0, 25
	s_cbranch_scc0 .LBB14_273
; %bb.256:
	s_cmp_gt_i32 s0, 28
	s_cbranch_scc0 .LBB14_275
	;; [unrolled: 3-line block ×4, first 2 shown]
; %bb.259:
	s_cmp_eq_u32 s0, 46
	s_mov_b32 s18, 0
	s_cbranch_scc0 .LBB14_285
; %bb.260:
	global_load_dword v2, v[0:1], off
	s_mov_b32 s16, -1
	s_mov_b32 s15, 0
	s_waitcnt vmcnt(0)
	v_lshlrev_b32_e32 v2, 16, v2
	s_branch .LBB14_287
.LBB14_261:
	s_or_b32 exec_lo, exec_lo, s14
	s_mov_b32 s12, 0
	s_and_saveexec_b32 s14, s13
	s_cbranch_execnz .LBB14_863
.LBB14_262:
	s_or_b32 exec_lo, exec_lo, s14
	s_and_saveexec_b32 s13, s15
	s_xor_b32 s13, exec_lo, s13
	s_cbranch_execz .LBB14_864
.LBB14_263:
	global_load_ubyte v2, v[0:1], off
	s_or_b32 s0, s0, exec_lo
	s_waitcnt vmcnt(0)
	v_cmp_ne_u16_e32 vcc_lo, 0, v2
	v_cndmask_b32_e64 v3, 0, 1.0, vcc_lo
	s_or_b32 exec_lo, exec_lo, s13
	s_and_saveexec_b32 s13, s16
	s_cbranch_execz .LBB14_910
	s_branch .LBB14_865
.LBB14_264:
	s_mov_b32 s16, 0
	s_mov_b32 s15, s13
                                        ; implicit-def: $vgpr2
	s_cbranch_execnz .LBB14_464
.LBB14_265:
	s_andn2_b32 vcc_lo, exec_lo, s16
	s_cbranch_vccnz .LBB14_512
.LBB14_266:
	s_waitcnt vmcnt(0)
	v_rcp_f32_e64 v0, |v2|
	v_cmp_gt_f32_e64 vcc_lo, |v2|, 1.0
	s_mov_b32 s0, 0x3b2d2a58
	s_and_b32 s16, s1, 0xff
	s_cmp_lt_i32 s16, 11
	v_cndmask_b32_e64 v0, |v2|, v0, vcc_lo
	v_mul_f32_e32 v1, v0, v0
	v_fmaak_f32 v3, s0, v1, 0xbc7a590c
	v_fmaak_f32 v3, v1, v3, 0x3d29fb3f
	;; [unrolled: 1-line block ×7, first 2 shown]
	v_mul_f32_e32 v1, v1, v3
	v_fmac_f32_e32 v0, v0, v1
	v_mul_lo_u32 v1, v4, s2
	v_sub_f32_e32 v3, 0x3fc90fdb, v0
	v_ashrrev_i32_e32 v5, 31, v1
	v_cndmask_b32_e32 v3, v0, v3, vcc_lo
	v_add_co_u32 v0, vcc_lo, s8, v1
	v_add_co_ci_u32_e64 v1, null, s9, v5, vcc_lo
	v_bfi_b32 v2, 0x7fffffff, v3, v2
	s_cbranch_scc1 .LBB14_274
; %bb.267:
	s_and_b32 s18, 0xffff, s16
	s_cmp_gt_i32 s18, 25
	s_cbranch_scc0 .LBB14_276
; %bb.268:
	s_cmp_gt_i32 s18, 28
	s_cbranch_scc0 .LBB14_278
; %bb.269:
	s_cmp_gt_i32 s18, 43
	s_cbranch_scc0 .LBB14_282
; %bb.270:
	s_cmp_gt_i32 s18, 45
	s_cbranch_scc0 .LBB14_290
; %bb.271:
	s_mov_b32 s20, 0
	s_mov_b32 s0, -1
	s_cmp_eq_u32 s18, 46
	s_mov_b32 s19, 0
	s_cbranch_scc0 .LBB14_291
; %bb.272:
	v_bfe_u32 v5, v2, 16, 1
	v_cmp_o_f32_e32 vcc_lo, v2, v2
	v_mov_b32_e32 v6, 0x7fc0
	s_mov_b32 s19, -1
	s_mov_b32 s0, 0
	v_add3_u32 v5, v2, v5, 0x7fff
	v_cndmask_b32_sdwa v5, v6, v5, vcc_lo dst_sel:DWORD dst_unused:UNUSED_PAD src0_sel:DWORD src1_sel:WORD_1
	global_store_dword v[0:1], v5, off
	s_branch .LBB14_291
.LBB14_273:
	s_mov_b32 s18, -1
	s_mov_b32 s16, 0
	s_mov_b32 s15, s13
                                        ; implicit-def: $vgpr2
	s_branch .LBB14_428
.LBB14_274:
	s_mov_b32 s18, -1
	s_mov_b32 s19, 0
	s_mov_b32 s0, s7
	s_branch .LBB14_360
.LBB14_275:
	s_mov_b32 s18, -1
	s_mov_b32 s16, 0
	s_mov_b32 s15, s13
                                        ; implicit-def: $vgpr2
	s_branch .LBB14_409
.LBB14_276:
	s_mov_b32 s20, -1
	s_mov_b32 s19, 0
	s_mov_b32 s0, s7
	s_branch .LBB14_318
.LBB14_277:
	s_mov_b32 s18, -1
	s_mov_b32 s16, 0
	s_mov_b32 s15, s13
                                        ; implicit-def: $vgpr2
	s_branch .LBB14_404
.LBB14_278:
	s_mov_b32 s20, -1
	s_mov_b32 s19, 0
	s_mov_b32 s0, s7
	s_branch .LBB14_301
.LBB14_279:
	s_andn2_saveexec_b32 s19, s19
	s_cbranch_execz .LBB14_54
.LBB14_280:
	v_add_f32_e64 v5, 0x46000000, |v3|
	s_andn2_b32 s18, s18, exec_lo
	v_and_b32_e32 v5, 0xff, v5
	v_cmp_ne_u32_e32 vcc_lo, 0, v5
	s_and_b32 s20, vcc_lo, exec_lo
	s_or_b32 s18, s18, s20
	s_or_b32 exec_lo, exec_lo, s19
	v_mov_b32_e32 v6, 0
	s_and_saveexec_b32 s19, s18
	s_cbranch_execnz .LBB14_55
	s_branch .LBB14_56
.LBB14_281:
	s_mov_b32 s18, -1
	s_mov_b32 s16, 0
	s_mov_b32 s15, s13
	s_branch .LBB14_286
.LBB14_282:
	s_mov_b32 s20, -1
	s_mov_b32 s19, 0
	s_mov_b32 s0, s7
	s_branch .LBB14_297
.LBB14_283:
	s_andn2_saveexec_b32 s19, s19
	s_cbranch_execz .LBB14_67
.LBB14_284:
	v_add_f32_e64 v5, 0x42800000, |v3|
	s_andn2_b32 s18, s18, exec_lo
	v_and_b32_e32 v5, 0xff, v5
	v_cmp_ne_u32_e32 vcc_lo, 0, v5
	s_and_b32 s20, vcc_lo, exec_lo
	s_or_b32 s18, s18, s20
	s_or_b32 exec_lo, exec_lo, s19
	v_mov_b32_e32 v6, 0
	s_and_saveexec_b32 s19, s18
	s_cbranch_execnz .LBB14_68
	s_branch .LBB14_69
.LBB14_285:
	s_mov_b32 s15, -1
	s_mov_b32 s16, 0
.LBB14_286:
                                        ; implicit-def: $vgpr2
.LBB14_287:
	s_and_b32 vcc_lo, exec_lo, s18
	s_cbranch_vccz .LBB14_403
; %bb.288:
	s_cmp_eq_u32 s0, 44
	s_cbranch_scc0 .LBB14_402
; %bb.289:
	global_load_ubyte v2, v[0:1], off
	s_mov_b32 s15, 0
	s_mov_b32 s16, -1
	s_waitcnt vmcnt(0)
	v_lshlrev_b32_e32 v3, 23, v2
	v_cmp_ne_u32_e32 vcc_lo, 0xff, v2
	v_cndmask_b32_e32 v3, 0x7f800001, v3, vcc_lo
	v_cmp_ne_u32_e32 vcc_lo, 0, v2
	v_cndmask_b32_e32 v2, 0x400000, v3, vcc_lo
	s_branch .LBB14_403
.LBB14_290:
	s_mov_b32 s20, -1
	s_mov_b32 s19, 0
	s_mov_b32 s0, s7
.LBB14_291:
	s_and_b32 vcc_lo, exec_lo, s20
	s_cbranch_vccz .LBB14_296
; %bb.292:
	s_cmp_eq_u32 s18, 44
	s_mov_b32 s0, -1
	s_cbranch_scc0 .LBB14_296
; %bb.293:
	v_bfe_u32 v6, v2, 23, 8
	v_mov_b32_e32 v5, 0xff
	s_mov_b32 s19, exec_lo
	v_cmpx_ne_u32_e32 0xff, v6
	s_cbranch_execz .LBB14_295
; %bb.294:
	v_and_b32_e32 v5, 0x400000, v2
	v_and_or_b32 v6, 0x3fffff, v2, v6
	v_cmp_ne_u32_e32 vcc_lo, 0, v5
	v_cmp_ne_u32_e64 s0, 0, v6
	v_lshrrev_b32_e32 v5, 23, v2
	s_and_b32 s0, vcc_lo, s0
	v_cndmask_b32_e64 v6, 0, 1, s0
	v_add_nc_u32_e32 v5, v5, v6
.LBB14_295:
	s_or_b32 exec_lo, exec_lo, s19
	s_mov_b32 s19, -1
	s_mov_b32 s0, 0
	global_store_byte v[0:1], v5, off
.LBB14_296:
	s_mov_b32 s20, 0
.LBB14_297:
	s_and_b32 vcc_lo, exec_lo, s20
	s_cbranch_vccz .LBB14_300
; %bb.298:
	s_cmp_eq_u32 s18, 29
	s_mov_b32 s0, -1
	s_cbranch_scc0 .LBB14_300
; %bb.299:
	v_trunc_f32_e32 v5, v2
	s_mov_b32 s19, -1
	s_mov_b32 s0, 0
	s_mov_b32 s20, 0
	v_mul_f32_e32 v6, 0x2f800000, v5
	v_floor_f32_e32 v6, v6
	v_fmamk_f32 v5, v6, 0xcf800000, v5
	v_cvt_u32_f32_e32 v6, v6
	v_cvt_u32_f32_e32 v5, v5
	global_store_dwordx2 v[0:1], v[5:6], off
	s_branch .LBB14_301
.LBB14_300:
	s_mov_b32 s20, 0
.LBB14_301:
	s_and_b32 vcc_lo, exec_lo, s20
	s_cbranch_vccz .LBB14_317
; %bb.302:
	s_cmp_lt_i32 s18, 27
	s_mov_b32 s19, -1
	s_cbranch_scc1 .LBB14_308
; %bb.303:
	v_cvt_u32_f32_e32 v5, v2
	s_cmp_gt_i32 s18, 27
	s_cbranch_scc0 .LBB14_305
; %bb.304:
	s_mov_b32 s19, 0
	global_store_dword v[0:1], v5, off
.LBB14_305:
	s_andn2_b32 vcc_lo, exec_lo, s19
	s_cbranch_vccnz .LBB14_307
; %bb.306:
	global_store_short v[0:1], v5, off
.LBB14_307:
	s_mov_b32 s19, 0
.LBB14_308:
	s_andn2_b32 vcc_lo, exec_lo, s19
	s_cbranch_vccnz .LBB14_316
; %bb.309:
	v_and_b32_e32 v5, 0x7fffffff, v3
	v_mov_b32_e32 v6, 0x80
	s_mov_b32 s19, exec_lo
	v_cmpx_gt_u32_e32 0x43800000, v5
	s_cbranch_execz .LBB14_315
; %bb.310:
	v_cmp_lt_u32_e32 vcc_lo, 0x3bffffff, v5
	s_mov_b32 s20, 0
                                        ; implicit-def: $vgpr5
	s_and_saveexec_b32 s21, vcc_lo
	s_xor_b32 s21, exec_lo, s21
	s_cbranch_execz .LBB14_528
; %bb.311:
	v_bfe_u32 v5, v2, 20, 1
	s_mov_b32 s20, exec_lo
	v_add3_u32 v5, v2, v5, 0x487ffff
	v_lshrrev_b32_e32 v5, 20, v5
	s_andn2_saveexec_b32 s21, s21
	s_cbranch_execnz .LBB14_529
.LBB14_312:
	s_or_b32 exec_lo, exec_lo, s21
	v_mov_b32_e32 v6, 0
	s_and_saveexec_b32 s21, s20
.LBB14_313:
	v_lshrrev_b32_e32 v6, 24, v2
	v_and_or_b32 v6, 0x80, v6, v5
.LBB14_314:
	s_or_b32 exec_lo, exec_lo, s21
.LBB14_315:
	s_or_b32 exec_lo, exec_lo, s19
	global_store_byte v[0:1], v6, off
.LBB14_316:
	s_mov_b32 s19, -1
.LBB14_317:
	s_mov_b32 s20, 0
.LBB14_318:
	s_and_b32 vcc_lo, exec_lo, s20
	s_cbranch_vccz .LBB14_359
; %bb.319:
	s_cmp_gt_i32 s18, 22
	s_mov_b32 s20, -1
	s_cbranch_scc0 .LBB14_351
; %bb.320:
	s_cmp_lt_i32 s18, 24
	s_mov_b32 s19, -1
	s_cbranch_scc1 .LBB14_340
; %bb.321:
	s_cmp_gt_i32 s18, 24
	s_cbranch_scc0 .LBB14_329
; %bb.322:
	v_and_b32_e32 v5, 0x7fffffff, v3
	v_mov_b32_e32 v6, 0x80
	s_mov_b32 s19, exec_lo
	v_cmpx_gt_u32_e32 0x47800000, v5
	s_cbranch_execz .LBB14_328
; %bb.323:
	v_cmp_lt_u32_e32 vcc_lo, 0x37ffffff, v5
	s_mov_b32 s20, 0
                                        ; implicit-def: $vgpr5
	s_and_saveexec_b32 s21, vcc_lo
	s_xor_b32 s21, exec_lo, s21
	s_cbranch_execz .LBB14_531
; %bb.324:
	v_bfe_u32 v5, v2, 21, 1
	s_mov_b32 s20, exec_lo
	v_add3_u32 v5, v2, v5, 0x88fffff
	v_lshrrev_b32_e32 v5, 21, v5
	s_andn2_saveexec_b32 s21, s21
	s_cbranch_execnz .LBB14_532
.LBB14_325:
	s_or_b32 exec_lo, exec_lo, s21
	v_mov_b32_e32 v6, 0
	s_and_saveexec_b32 s21, s20
.LBB14_326:
	v_lshrrev_b32_e32 v6, 24, v2
	v_and_or_b32 v6, 0x80, v6, v5
.LBB14_327:
	s_or_b32 exec_lo, exec_lo, s21
.LBB14_328:
	s_or_b32 exec_lo, exec_lo, s19
	s_mov_b32 s19, 0
	global_store_byte v[0:1], v6, off
.LBB14_329:
	s_and_b32 vcc_lo, exec_lo, s19
	s_cbranch_vccz .LBB14_339
; %bb.330:
	v_and_b32_e32 v6, 0x7fffffff, v3
	s_mov_b32 s19, exec_lo
                                        ; implicit-def: $vgpr5
	v_cmpx_gt_u32_e32 0x43f00000, v6
	s_xor_b32 s19, exec_lo, s19
	s_cbranch_execz .LBB14_336
; %bb.331:
	s_mov_b32 s20, exec_lo
                                        ; implicit-def: $vgpr5
	v_cmpx_lt_u32_e32 0x3c7fffff, v6
	s_xor_b32 s20, exec_lo, s20
; %bb.332:
	v_bfe_u32 v5, v2, 20, 1
	v_add3_u32 v5, v2, v5, 0x407ffff
	v_and_b32_e32 v6, 0xff00000, v5
	v_lshrrev_b32_e32 v5, 20, v5
	v_cmp_ne_u32_e32 vcc_lo, 0x7f00000, v6
	v_cndmask_b32_e32 v5, 0x7e, v5, vcc_lo
; %bb.333:
	s_andn2_saveexec_b32 s20, s20
; %bb.334:
	v_add_f32_e64 v5, 0x46800000, |v3|
; %bb.335:
	s_or_b32 exec_lo, exec_lo, s20
                                        ; implicit-def: $vgpr6
.LBB14_336:
	s_andn2_saveexec_b32 s19, s19
; %bb.337:
	v_mov_b32_e32 v5, 0x7f
	v_cmp_lt_u32_e32 vcc_lo, 0x7f800000, v6
	v_cndmask_b32_e32 v5, 0x7e, v5, vcc_lo
; %bb.338:
	s_or_b32 exec_lo, exec_lo, s19
	v_lshrrev_b32_e32 v6, 24, v2
	v_and_or_b32 v5, 0x80, v6, v5
	global_store_byte v[0:1], v5, off
.LBB14_339:
	s_mov_b32 s19, 0
.LBB14_340:
	s_andn2_b32 vcc_lo, exec_lo, s19
	s_cbranch_vccnz .LBB14_350
; %bb.341:
	v_and_b32_e32 v6, 0x7fffffff, v3
	s_mov_b32 s19, exec_lo
                                        ; implicit-def: $vgpr5
	v_cmpx_gt_u32_e32 0x47800000, v6
	s_xor_b32 s19, exec_lo, s19
	s_cbranch_execz .LBB14_347
; %bb.342:
	s_mov_b32 s20, exec_lo
                                        ; implicit-def: $vgpr5
	v_cmpx_lt_u32_e32 0x387fffff, v6
	s_xor_b32 s20, exec_lo, s20
; %bb.343:
	v_bfe_u32 v3, v2, 21, 1
	v_add3_u32 v3, v2, v3, 0x80fffff
	v_lshrrev_b32_e32 v5, 21, v3
                                        ; implicit-def: $vgpr3
; %bb.344:
	s_andn2_saveexec_b32 s20, s20
; %bb.345:
	v_add_f32_e64 v5, 0x43000000, |v3|
; %bb.346:
	s_or_b32 exec_lo, exec_lo, s20
                                        ; implicit-def: $vgpr6
.LBB14_347:
	s_andn2_saveexec_b32 s19, s19
; %bb.348:
	v_mov_b32_e32 v3, 0x7f
	v_cmp_lt_u32_e32 vcc_lo, 0x7f800000, v6
	v_cndmask_b32_e32 v5, 0x7c, v3, vcc_lo
; %bb.349:
	s_or_b32 exec_lo, exec_lo, s19
	v_lshrrev_b32_e32 v3, 24, v2
	v_and_or_b32 v3, 0x80, v3, v5
	global_store_byte v[0:1], v3, off
.LBB14_350:
	s_mov_b32 s20, 0
	s_mov_b32 s19, -1
.LBB14_351:
	s_andn2_b32 vcc_lo, exec_lo, s20
	s_cbranch_vccnz .LBB14_359
; %bb.352:
	s_cmp_gt_i32 s18, 14
	s_mov_b32 s20, -1
	s_cbranch_scc0 .LBB14_356
; %bb.353:
	s_cmp_eq_u32 s18, 15
	s_mov_b32 s0, -1
	s_cbranch_scc0 .LBB14_355
; %bb.354:
	v_bfe_u32 v3, v2, 16, 1
	v_cmp_o_f32_e32 vcc_lo, v2, v2
	v_mov_b32_e32 v5, 0x7fc0
	s_mov_b32 s19, -1
	s_mov_b32 s0, 0
	v_add3_u32 v3, v2, v3, 0x7fff
	v_cndmask_b32_sdwa v3, v5, v3, vcc_lo dst_sel:DWORD dst_unused:UNUSED_PAD src0_sel:DWORD src1_sel:WORD_1
	global_store_short v[0:1], v3, off
.LBB14_355:
	s_mov_b32 s20, 0
.LBB14_356:
	s_and_b32 vcc_lo, exec_lo, s20
	s_cbranch_vccz .LBB14_359
; %bb.357:
	s_cmp_eq_u32 s18, 11
	s_mov_b32 s0, -1
	s_cbranch_scc0 .LBB14_359
; %bb.358:
	v_cmp_neq_f32_e32 vcc_lo, 0, v2
	s_mov_b32 s0, 0
	s_mov_b32 s19, -1
	v_cndmask_b32_e64 v3, 0, 1, vcc_lo
	global_store_byte v[0:1], v3, off
.LBB14_359:
	s_mov_b32 s18, 0
.LBB14_360:
	s_and_b32 vcc_lo, exec_lo, s18
	s_cbranch_vccz .LBB14_399
; %bb.361:
	s_and_b32 s16, 0xffff, s16
	s_mov_b32 s18, -1
	s_cmp_lt_i32 s16, 5
	s_cbranch_scc1 .LBB14_382
; %bb.362:
	s_cmp_lt_i32 s16, 8
	s_cbranch_scc1 .LBB14_372
; %bb.363:
	;; [unrolled: 3-line block ×3, first 2 shown]
	s_cmp_gt_i32 s16, 9
	s_cbranch_scc0 .LBB14_366
; %bb.365:
	v_cvt_f64_f32_e32 v[5:6], v2
	v_mov_b32_e32 v7, 0
	s_mov_b32 s18, 0
	v_mov_b32_e32 v8, v7
	global_store_dwordx4 v[0:1], v[5:8], off
.LBB14_366:
	s_andn2_b32 vcc_lo, exec_lo, s18
	s_cbranch_vccnz .LBB14_368
; %bb.367:
	v_mov_b32_e32 v3, 0
	global_store_dwordx2 v[0:1], v[2:3], off
.LBB14_368:
	s_mov_b32 s18, 0
.LBB14_369:
	s_andn2_b32 vcc_lo, exec_lo, s18
	s_cbranch_vccnz .LBB14_371
; %bb.370:
	v_cvt_f16_f32_e32 v3, v2
	v_and_b32_e32 v3, 0xffff, v3
	global_store_dword v[0:1], v3, off
.LBB14_371:
	s_mov_b32 s18, 0
.LBB14_372:
	s_andn2_b32 vcc_lo, exec_lo, s18
	s_cbranch_vccnz .LBB14_381
; %bb.373:
	s_cmp_lt_i32 s16, 6
	s_mov_b32 s18, -1
	s_cbranch_scc1 .LBB14_379
; %bb.374:
	s_cmp_gt_i32 s16, 6
	s_cbranch_scc0 .LBB14_376
; %bb.375:
	v_cvt_f64_f32_e32 v[5:6], v2
	s_mov_b32 s18, 0
	global_store_dwordx2 v[0:1], v[5:6], off
.LBB14_376:
	s_andn2_b32 vcc_lo, exec_lo, s18
	s_cbranch_vccnz .LBB14_378
; %bb.377:
	global_store_dword v[0:1], v2, off
.LBB14_378:
	s_mov_b32 s18, 0
.LBB14_379:
	s_andn2_b32 vcc_lo, exec_lo, s18
	s_cbranch_vccnz .LBB14_381
; %bb.380:
	v_cvt_f16_f32_e32 v3, v2
	global_store_short v[0:1], v3, off
.LBB14_381:
	s_mov_b32 s18, 0
.LBB14_382:
	s_andn2_b32 vcc_lo, exec_lo, s18
	s_cbranch_vccnz .LBB14_398
; %bb.383:
	s_cmp_lt_i32 s16, 2
	s_mov_b32 s18, -1
	s_cbranch_scc1 .LBB14_393
; %bb.384:
	s_cmp_lt_i32 s16, 3
	s_cbranch_scc1 .LBB14_390
; %bb.385:
	s_cmp_gt_i32 s16, 3
	s_cbranch_scc0 .LBB14_387
; %bb.386:
	v_trunc_f32_e32 v3, v2
	s_mov_b32 s18, 0
	v_mul_f32_e64 v5, 0x2f800000, |v3|
	v_floor_f32_e32 v5, v5
	v_fma_f32 v6, 0xcf800000, v5, |v3|
	v_ashrrev_i32_e32 v3, 31, v3
	v_cvt_u32_f32_e32 v5, v5
	v_cvt_u32_f32_e32 v6, v6
	v_xor_b32_e32 v7, v5, v3
	v_xor_b32_e32 v6, v6, v3
	v_sub_co_u32 v5, vcc_lo, v6, v3
	v_sub_co_ci_u32_e64 v6, null, v7, v3, vcc_lo
	global_store_dwordx2 v[0:1], v[5:6], off
.LBB14_387:
	s_andn2_b32 vcc_lo, exec_lo, s18
	s_cbranch_vccnz .LBB14_389
; %bb.388:
	v_cvt_i32_f32_e32 v3, v2
	global_store_dword v[0:1], v3, off
.LBB14_389:
	s_mov_b32 s18, 0
.LBB14_390:
	s_andn2_b32 vcc_lo, exec_lo, s18
	s_cbranch_vccnz .LBB14_392
; %bb.391:
	v_cvt_i32_f32_e32 v3, v2
	global_store_short v[0:1], v3, off
.LBB14_392:
	s_mov_b32 s18, 0
.LBB14_393:
	s_andn2_b32 vcc_lo, exec_lo, s18
	s_cbranch_vccnz .LBB14_398
; %bb.394:
	s_cmp_gt_i32 s16, 0
	s_mov_b32 s16, -1
	s_cbranch_scc0 .LBB14_396
; %bb.395:
	v_cvt_i32_f32_e32 v3, v2
	s_mov_b32 s16, 0
	global_store_byte v[0:1], v3, off
.LBB14_396:
	s_andn2_b32 vcc_lo, exec_lo, s16
	s_cbranch_vccnz .LBB14_398
; %bb.397:
	v_trunc_f32_e32 v2, v2
	v_mul_f32_e64 v3, 0x2f800000, |v2|
	v_floor_f32_e32 v3, v3
	v_fma_f32 v3, 0xcf800000, v3, |v2|
	v_ashrrev_i32_e32 v2, 31, v2
	v_cvt_u32_f32_e32 v3, v3
	v_xor_b32_e32 v3, v3, v2
	v_sub_nc_u32_e32 v2, v3, v2
	global_store_byte v[0:1], v2, off
.LBB14_398:
	s_mov_b32 s19, -1
.LBB14_399:
	s_andn2_b32 vcc_lo, exec_lo, s19
	s_cbranch_vccnz .LBB14_401
; %bb.400:
	v_add_nc_u32_e32 v4, 0x80, v4
	s_mov_b32 s18, -1
	s_branch .LBB14_514
.LBB14_401:
	s_mov_b32 s18, 0
	s_branch .LBB14_513
.LBB14_402:
	s_mov_b32 s15, -1
                                        ; implicit-def: $vgpr2
.LBB14_403:
	s_mov_b32 s18, 0
.LBB14_404:
	s_and_b32 vcc_lo, exec_lo, s18
	s_cbranch_vccz .LBB14_408
; %bb.405:
	s_cmp_eq_u32 s0, 29
	s_cbranch_scc0 .LBB14_407
; %bb.406:
	global_load_dwordx2 v[2:3], v[0:1], off
	s_mov_b32 s16, -1
	s_mov_b32 s15, 0
	s_mov_b32 s18, 0
	s_waitcnt vmcnt(0)
	v_ffbh_u32_e32 v5, v3
	v_min_u32_e32 v5, 32, v5
	v_lshlrev_b64 v[2:3], v5, v[2:3]
	v_min_u32_e32 v2, 1, v2
	v_or_b32_e32 v2, v3, v2
	v_sub_nc_u32_e32 v3, 32, v5
	v_cvt_f32_u32_e32 v2, v2
	v_ldexp_f32 v2, v2, v3
	s_branch .LBB14_409
.LBB14_407:
	s_mov_b32 s15, -1
                                        ; implicit-def: $vgpr2
.LBB14_408:
	s_mov_b32 s18, 0
.LBB14_409:
	s_and_b32 vcc_lo, exec_lo, s18
	s_cbranch_vccz .LBB14_427
; %bb.410:
	s_cmp_lt_i32 s0, 27
	s_cbranch_scc1 .LBB14_413
; %bb.411:
	s_cmp_gt_i32 s0, 27
	s_cbranch_scc0 .LBB14_414
; %bb.412:
	global_load_dword v2, v[0:1], off
	s_mov_b32 s16, 0
	s_waitcnt vmcnt(0)
	v_cvt_f32_u32_e32 v2, v2
	s_branch .LBB14_415
.LBB14_413:
	s_mov_b32 s16, -1
                                        ; implicit-def: $vgpr2
	s_branch .LBB14_418
.LBB14_414:
	s_mov_b32 s16, -1
                                        ; implicit-def: $vgpr2
.LBB14_415:
	s_andn2_b32 vcc_lo, exec_lo, s16
	s_cbranch_vccnz .LBB14_417
; %bb.416:
	global_load_ushort v2, v[0:1], off
	s_waitcnt vmcnt(0)
	v_cvt_f32_u32_e32 v2, v2
.LBB14_417:
	s_mov_b32 s16, 0
.LBB14_418:
	s_andn2_b32 vcc_lo, exec_lo, s16
	s_cbranch_vccnz .LBB14_426
; %bb.419:
	global_load_ubyte v3, v[0:1], off
	s_mov_b32 s16, 0
	s_mov_b32 s18, exec_lo
	s_waitcnt vmcnt(0)
	v_cmpx_lt_i16_e32 0x7f, v3
	s_xor_b32 s18, exec_lo, s18
	s_cbranch_execz .LBB14_440
; %bb.420:
	s_mov_b32 s16, -1
	s_mov_b32 s19, exec_lo
	v_cmpx_eq_u16_e32 0x80, v3
; %bb.421:
	s_xor_b32 s16, exec_lo, -1
; %bb.422:
	s_or_b32 exec_lo, exec_lo, s19
	s_and_b32 s16, s16, exec_lo
	s_or_saveexec_b32 s18, s18
	v_mov_b32_e32 v2, 0x7f800001
	s_xor_b32 exec_lo, exec_lo, s18
	s_cbranch_execnz .LBB14_441
.LBB14_423:
	s_or_b32 exec_lo, exec_lo, s18
	s_and_saveexec_b32 s18, s16
	s_cbranch_execz .LBB14_425
.LBB14_424:
	v_and_b32_e32 v2, 0xffff, v3
	v_lshlrev_b32_e32 v3, 24, v3
	v_and_b32_e32 v5, 7, v2
	v_bfe_u32 v8, v2, 3, 4
	v_and_b32_e32 v3, 0x80000000, v3
	v_ffbh_u32_e32 v6, v5
	v_cmp_eq_u32_e32 vcc_lo, 0, v8
	v_min_u32_e32 v6, 32, v6
	v_subrev_nc_u32_e32 v7, 28, v6
	v_sub_nc_u32_e32 v6, 29, v6
	v_lshlrev_b32_e32 v2, v7, v2
	v_cndmask_b32_e32 v6, v8, v6, vcc_lo
	v_and_b32_e32 v2, 7, v2
	v_cndmask_b32_e32 v2, v5, v2, vcc_lo
	v_lshl_add_u32 v5, v6, 23, 0x3b800000
	v_lshlrev_b32_e32 v2, 20, v2
	v_or3_b32 v2, v3, v5, v2
.LBB14_425:
	s_or_b32 exec_lo, exec_lo, s18
.LBB14_426:
	s_mov_b32 s16, -1
.LBB14_427:
	s_mov_b32 s18, 0
.LBB14_428:
	s_and_b32 vcc_lo, exec_lo, s18
	s_cbranch_vccz .LBB14_463
; %bb.429:
	s_cmp_gt_i32 s0, 22
	s_cbranch_scc0 .LBB14_439
; %bb.430:
	s_cmp_lt_i32 s0, 24
	s_cbranch_scc1 .LBB14_442
; %bb.431:
	s_cmp_gt_i32 s0, 24
	s_cbranch_scc0 .LBB14_443
; %bb.432:
	global_load_ubyte v3, v[0:1], off
	s_mov_b32 s16, 0
	s_mov_b32 s18, exec_lo
	s_waitcnt vmcnt(0)
	v_cmpx_lt_i16_e32 0x7f, v3
	s_xor_b32 s18, exec_lo, s18
	s_cbranch_execz .LBB14_455
; %bb.433:
	s_mov_b32 s16, -1
	s_mov_b32 s19, exec_lo
	v_cmpx_eq_u16_e32 0x80, v3
; %bb.434:
	s_xor_b32 s16, exec_lo, -1
; %bb.435:
	s_or_b32 exec_lo, exec_lo, s19
	s_and_b32 s16, s16, exec_lo
	s_or_saveexec_b32 s18, s18
	v_mov_b32_e32 v2, 0x7f800001
	s_xor_b32 exec_lo, exec_lo, s18
	s_cbranch_execnz .LBB14_456
.LBB14_436:
	s_or_b32 exec_lo, exec_lo, s18
	s_and_saveexec_b32 s18, s16
	s_cbranch_execz .LBB14_438
.LBB14_437:
	v_and_b32_e32 v2, 0xffff, v3
	v_lshlrev_b32_e32 v3, 24, v3
	v_and_b32_e32 v5, 3, v2
	v_bfe_u32 v8, v2, 2, 5
	v_and_b32_e32 v3, 0x80000000, v3
	v_ffbh_u32_e32 v6, v5
	v_cmp_eq_u32_e32 vcc_lo, 0, v8
	v_min_u32_e32 v6, 32, v6
	v_subrev_nc_u32_e32 v7, 29, v6
	v_sub_nc_u32_e32 v6, 30, v6
	v_lshlrev_b32_e32 v2, v7, v2
	v_cndmask_b32_e32 v6, v8, v6, vcc_lo
	v_and_b32_e32 v2, 3, v2
	v_cndmask_b32_e32 v2, v5, v2, vcc_lo
	v_lshl_add_u32 v5, v6, 23, 0x37800000
	v_lshlrev_b32_e32 v2, 21, v2
	v_or3_b32 v2, v3, v5, v2
.LBB14_438:
	s_or_b32 exec_lo, exec_lo, s18
	s_mov_b32 s16, 0
	s_branch .LBB14_444
.LBB14_439:
	s_mov_b32 s18, -1
                                        ; implicit-def: $vgpr2
	s_branch .LBB14_450
.LBB14_440:
	s_or_saveexec_b32 s18, s18
	v_mov_b32_e32 v2, 0x7f800001
	s_xor_b32 exec_lo, exec_lo, s18
	s_cbranch_execz .LBB14_423
.LBB14_441:
	v_cmp_ne_u16_e32 vcc_lo, 0, v3
	v_mov_b32_e32 v2, 0
	s_andn2_b32 s16, s16, exec_lo
	s_and_b32 s19, vcc_lo, exec_lo
	s_or_b32 s16, s16, s19
	s_or_b32 exec_lo, exec_lo, s18
	s_and_saveexec_b32 s18, s16
	s_cbranch_execnz .LBB14_424
	s_branch .LBB14_425
.LBB14_442:
	s_mov_b32 s16, -1
                                        ; implicit-def: $vgpr2
	s_branch .LBB14_447
.LBB14_443:
	s_mov_b32 s16, -1
                                        ; implicit-def: $vgpr2
.LBB14_444:
	s_and_b32 vcc_lo, exec_lo, s16
	s_cbranch_vccz .LBB14_446
; %bb.445:
	global_load_ubyte v2, v[0:1], off
	s_waitcnt vmcnt(0)
	v_lshlrev_b32_e32 v2, 24, v2
	v_and_b32_e32 v3, 0x7f000000, v2
	v_ffbh_u32_e32 v5, v3
	v_add_nc_u32_e32 v7, 0x1000000, v3
	v_cmp_ne_u32_e32 vcc_lo, 0, v3
	v_min_u32_e32 v5, 32, v5
	v_sub_nc_u32_e64 v5, v5, 4 clamp
	v_lshlrev_b32_e32 v6, v5, v3
	v_lshlrev_b32_e32 v5, 23, v5
	v_lshrrev_b32_e32 v6, 4, v6
	v_sub_nc_u32_e32 v5, v6, v5
	v_ashrrev_i32_e32 v6, 8, v7
	v_add_nc_u32_e32 v5, 0x3c000000, v5
	v_and_or_b32 v5, 0x7f800000, v6, v5
	v_cndmask_b32_e32 v3, 0, v5, vcc_lo
	v_and_or_b32 v2, 0x80000000, v2, v3
.LBB14_446:
	s_mov_b32 s16, 0
.LBB14_447:
	s_andn2_b32 vcc_lo, exec_lo, s16
	s_cbranch_vccnz .LBB14_449
; %bb.448:
	global_load_ubyte v2, v[0:1], off
	s_waitcnt vmcnt(0)
	v_lshlrev_b32_e32 v3, 25, v2
	v_lshlrev_b16 v2, 8, v2
	v_lshrrev_b32_e32 v5, 4, v3
	v_and_or_b32 v6, 0x7f00, v2, 0.5
	v_cmp_gt_u32_e32 vcc_lo, 0x8000000, v3
	v_bfe_i32 v2, v2, 0, 16
	v_or_b32_e32 v5, 0x70000000, v5
	v_add_f32_e32 v6, -0.5, v6
	v_mul_f32_e32 v5, 0x7800000, v5
	v_cndmask_b32_e32 v3, v5, v6, vcc_lo
	v_and_or_b32 v2, 0x80000000, v2, v3
.LBB14_449:
	s_mov_b32 s18, 0
	s_mov_b32 s16, -1
.LBB14_450:
	s_andn2_b32 vcc_lo, exec_lo, s18
	s_cbranch_vccnz .LBB14_463
; %bb.451:
	s_cmp_gt_i32 s0, 14
	s_cbranch_scc0 .LBB14_454
; %bb.452:
	s_cmp_eq_u32 s0, 15
	s_cbranch_scc0 .LBB14_457
; %bb.453:
	global_load_ushort v2, v[0:1], off
	s_mov_b32 s16, -1
	s_mov_b32 s15, 0
	s_waitcnt vmcnt(0)
	v_lshlrev_b32_e32 v2, 16, v2
	s_branch .LBB14_458
.LBB14_454:
	s_mov_b32 s18, -1
                                        ; implicit-def: $vgpr2
	s_branch .LBB14_459
.LBB14_455:
	s_or_saveexec_b32 s18, s18
	v_mov_b32_e32 v2, 0x7f800001
	s_xor_b32 exec_lo, exec_lo, s18
	s_cbranch_execz .LBB14_436
.LBB14_456:
	v_cmp_ne_u16_e32 vcc_lo, 0, v3
	v_mov_b32_e32 v2, 0
	s_andn2_b32 s16, s16, exec_lo
	s_and_b32 s19, vcc_lo, exec_lo
	s_or_b32 s16, s16, s19
	s_or_b32 exec_lo, exec_lo, s18
	s_and_saveexec_b32 s18, s16
	s_cbranch_execnz .LBB14_437
	s_branch .LBB14_438
.LBB14_457:
	s_mov_b32 s15, -1
                                        ; implicit-def: $vgpr2
.LBB14_458:
	s_mov_b32 s18, 0
.LBB14_459:
	s_and_b32 vcc_lo, exec_lo, s18
	s_cbranch_vccz .LBB14_463
; %bb.460:
	s_cmp_eq_u32 s0, 11
	s_cbranch_scc0 .LBB14_462
; %bb.461:
	global_load_ubyte v2, v[0:1], off
	s_mov_b32 s15, 0
	s_mov_b32 s16, -1
	s_waitcnt vmcnt(0)
	v_cmp_ne_u16_e32 vcc_lo, 0, v2
	v_cndmask_b32_e64 v2, 0, 1.0, vcc_lo
	s_branch .LBB14_463
.LBB14_462:
	s_mov_b32 s15, -1
                                        ; implicit-def: $vgpr2
.LBB14_463:
	s_branch .LBB14_265
.LBB14_464:
	s_cmp_lt_i32 s0, 5
	s_cbranch_scc1 .LBB14_469
; %bb.465:
	s_cmp_lt_i32 s0, 8
	s_cbranch_scc1 .LBB14_470
; %bb.466:
	;; [unrolled: 3-line block ×3, first 2 shown]
	s_cmp_gt_i32 s0, 9
	s_cbranch_scc0 .LBB14_472
; %bb.468:
	global_load_dwordx2 v[2:3], v[0:1], off
	s_mov_b32 s16, 0
	s_waitcnt vmcnt(0)
	v_cvt_f32_f64_e32 v2, v[2:3]
	s_branch .LBB14_473
.LBB14_469:
	s_mov_b32 s16, -1
                                        ; implicit-def: $vgpr2
	s_branch .LBB14_491
.LBB14_470:
	s_mov_b32 s16, -1
                                        ; implicit-def: $vgpr2
	s_branch .LBB14_479
.LBB14_471:
	s_mov_b32 s16, -1
                                        ; implicit-def: $vgpr2
	s_branch .LBB14_476
.LBB14_472:
	s_mov_b32 s16, -1
                                        ; implicit-def: $vgpr2
.LBB14_473:
	s_andn2_b32 vcc_lo, exec_lo, s16
	s_cbranch_vccnz .LBB14_475
; %bb.474:
	global_load_dword v2, v[0:1], off
.LBB14_475:
	s_mov_b32 s16, 0
.LBB14_476:
	s_andn2_b32 vcc_lo, exec_lo, s16
	s_cbranch_vccnz .LBB14_478
; %bb.477:
	global_load_dword v2, v[0:1], off
	s_waitcnt vmcnt(0)
	v_cvt_f32_f16_e32 v2, v2
.LBB14_478:
	s_mov_b32 s16, 0
.LBB14_479:
	s_andn2_b32 vcc_lo, exec_lo, s16
	s_cbranch_vccnz .LBB14_490
; %bb.480:
	s_cmp_lt_i32 s0, 6
	s_cbranch_scc1 .LBB14_483
; %bb.481:
	s_cmp_gt_i32 s0, 6
	s_cbranch_scc0 .LBB14_484
; %bb.482:
	global_load_dwordx2 v[2:3], v[0:1], off
	s_mov_b32 s16, 0
	s_waitcnt vmcnt(0)
	v_cvt_f32_f64_e32 v2, v[2:3]
	s_branch .LBB14_485
.LBB14_483:
	s_mov_b32 s16, -1
                                        ; implicit-def: $vgpr2
	s_branch .LBB14_488
.LBB14_484:
	s_mov_b32 s16, -1
                                        ; implicit-def: $vgpr2
.LBB14_485:
	s_andn2_b32 vcc_lo, exec_lo, s16
	s_cbranch_vccnz .LBB14_487
; %bb.486:
	global_load_dword v2, v[0:1], off
.LBB14_487:
	s_mov_b32 s16, 0
.LBB14_488:
	s_andn2_b32 vcc_lo, exec_lo, s16
	s_cbranch_vccnz .LBB14_490
; %bb.489:
	global_load_ushort v2, v[0:1], off
	s_waitcnt vmcnt(0)
	v_cvt_f32_f16_e32 v2, v2
.LBB14_490:
	s_mov_b32 s16, 0
.LBB14_491:
	s_andn2_b32 vcc_lo, exec_lo, s16
	s_cbranch_vccnz .LBB14_511
; %bb.492:
	s_cmp_lt_i32 s0, 2
	s_cbranch_scc1 .LBB14_496
; %bb.493:
	s_cmp_lt_i32 s0, 3
	s_cbranch_scc1 .LBB14_497
; %bb.494:
	s_cmp_gt_i32 s0, 3
	s_cbranch_scc0 .LBB14_498
; %bb.495:
	global_load_dwordx2 v[2:3], v[0:1], off
	s_mov_b32 s16, 0
	s_waitcnt vmcnt(0)
	v_xor_b32_e32 v5, v2, v3
	v_ffbh_i32_e32 v6, v3
	v_ashrrev_i32_e32 v5, 31, v5
	v_add_nc_u32_e32 v6, -1, v6
	v_add_nc_u32_e32 v5, 32, v5
	v_min_u32_e32 v5, v6, v5
	v_lshlrev_b64 v[2:3], v5, v[2:3]
	v_min_u32_e32 v2, 1, v2
	v_or_b32_e32 v2, v3, v2
	v_sub_nc_u32_e32 v3, 32, v5
	v_cvt_f32_i32_e32 v2, v2
	v_ldexp_f32 v2, v2, v3
	s_branch .LBB14_499
.LBB14_496:
	s_mov_b32 s16, -1
                                        ; implicit-def: $vgpr2
	s_branch .LBB14_505
.LBB14_497:
	s_mov_b32 s16, -1
                                        ; implicit-def: $vgpr2
	s_branch .LBB14_502
.LBB14_498:
	s_mov_b32 s16, -1
                                        ; implicit-def: $vgpr2
.LBB14_499:
	s_andn2_b32 vcc_lo, exec_lo, s16
	s_cbranch_vccnz .LBB14_501
; %bb.500:
	global_load_dword v2, v[0:1], off
	s_waitcnt vmcnt(0)
	v_cvt_f32_i32_e32 v2, v2
.LBB14_501:
	s_mov_b32 s16, 0
.LBB14_502:
	s_andn2_b32 vcc_lo, exec_lo, s16
	s_cbranch_vccnz .LBB14_504
; %bb.503:
	global_load_sshort v2, v[0:1], off
	s_waitcnt vmcnt(0)
	v_cvt_f32_i32_e32 v2, v2
.LBB14_504:
	s_mov_b32 s16, 0
.LBB14_505:
	s_andn2_b32 vcc_lo, exec_lo, s16
	s_cbranch_vccnz .LBB14_511
; %bb.506:
	s_cmp_gt_i32 s0, 0
	s_mov_b32 s0, 0
	s_cbranch_scc0 .LBB14_508
; %bb.507:
	global_load_sbyte v2, v[0:1], off
	s_waitcnt vmcnt(0)
	v_cvt_f32_i32_e32 v2, v2
	s_branch .LBB14_509
.LBB14_508:
	s_mov_b32 s0, -1
                                        ; implicit-def: $vgpr2
.LBB14_509:
	s_andn2_b32 vcc_lo, exec_lo, s0
	s_cbranch_vccnz .LBB14_511
; %bb.510:
	global_load_ubyte v0, v[0:1], off
	s_waitcnt vmcnt(0)
	v_cvt_f32_ubyte0_e32 v2, v0
.LBB14_511:
	s_branch .LBB14_266
.LBB14_512:
	s_mov_b32 s18, 0
	s_mov_b32 s0, s7
.LBB14_513:
                                        ; implicit-def: $vgpr4
.LBB14_514:
	s_andn2_b32 s16, s7, exec_lo
	s_and_b32 s0, s0, exec_lo
	s_andn2_b32 s19, s13, exec_lo
	s_and_b32 s15, s15, exec_lo
	s_or_b32 s16, s16, s0
	s_or_b32 s15, s19, s15
	s_orn2_b32 s0, s18, exec_lo
.LBB14_515:
	s_or_b32 exec_lo, exec_lo, s17
	s_mov_b32 s18, 0
	s_mov_b32 s19, 0
	;; [unrolled: 1-line block ×3, first 2 shown]
                                        ; implicit-def: $vgpr0_vgpr1
                                        ; implicit-def: $vgpr3
	s_and_saveexec_b32 s17, s0
	s_cbranch_execz .LBB14_862
; %bb.516:
	s_mov_b32 s20, -1
	s_mov_b32 s0, s15
	s_mov_b32 s19, s16
	s_mov_b32 s18, exec_lo
	v_cmpx_gt_i32_e64 s12, v4
	s_cbranch_execz .LBB14_776
; %bb.517:
	v_mul_lo_u32 v0, v4, s3
	s_and_b32 s0, 0xffff, s5
	s_cmp_lt_i32 s0, 11
	v_ashrrev_i32_e32 v1, 31, v0
	v_add_co_u32 v0, vcc_lo, s10, v0
	v_add_co_ci_u32_e64 v1, null, s11, v1, vcc_lo
	s_cbranch_scc1 .LBB14_524
; %bb.518:
	s_cmp_gt_i32 s0, 25
	s_cbranch_scc0 .LBB14_525
; %bb.519:
	s_cmp_gt_i32 s0, 28
	s_cbranch_scc0 .LBB14_526
	;; [unrolled: 3-line block ×4, first 2 shown]
; %bb.522:
	s_cmp_eq_u32 s0, 46
	s_mov_b32 s21, 0
	s_cbranch_scc0 .LBB14_533
; %bb.523:
	global_load_dword v2, v[0:1], off
	s_mov_b32 s19, 0
	s_waitcnt vmcnt(0)
	v_lshlrev_b32_e32 v2, 16, v2
	s_branch .LBB14_535
.LBB14_524:
	s_mov_b32 s21, -1
	s_mov_b32 s20, 0
	s_mov_b32 s19, s15
                                        ; implicit-def: $vgpr2
	s_branch .LBB14_600
.LBB14_525:
	s_mov_b32 s21, -1
	s_mov_b32 s20, 0
	s_mov_b32 s19, s15
                                        ; implicit-def: $vgpr2
	s_branch .LBB14_564
.LBB14_526:
	s_mov_b32 s21, -1
	s_mov_b32 s20, 0
	s_mov_b32 s19, s15
                                        ; implicit-def: $vgpr2
	s_branch .LBB14_545
.LBB14_527:
	s_mov_b32 s21, -1
	s_mov_b32 s20, 0
	s_mov_b32 s19, s15
                                        ; implicit-def: $vgpr2
	s_branch .LBB14_540
.LBB14_528:
	s_andn2_saveexec_b32 s21, s21
	s_cbranch_execz .LBB14_312
.LBB14_529:
	v_add_f32_e64 v5, 0x46000000, |v3|
	s_andn2_b32 s20, s20, exec_lo
	v_and_b32_e32 v5, 0xff, v5
	v_cmp_ne_u32_e32 vcc_lo, 0, v5
	s_and_b32 s22, vcc_lo, exec_lo
	s_or_b32 s20, s20, s22
	s_or_b32 exec_lo, exec_lo, s21
	v_mov_b32_e32 v6, 0
	s_and_saveexec_b32 s21, s20
	s_cbranch_execnz .LBB14_313
	s_branch .LBB14_314
.LBB14_530:
	s_mov_b32 s21, -1
	s_mov_b32 s20, 0
	s_mov_b32 s19, s15
	s_branch .LBB14_534
.LBB14_531:
	s_andn2_saveexec_b32 s21, s21
	s_cbranch_execz .LBB14_325
.LBB14_532:
	v_add_f32_e64 v5, 0x42800000, |v3|
	s_andn2_b32 s20, s20, exec_lo
	v_and_b32_e32 v5, 0xff, v5
	v_cmp_ne_u32_e32 vcc_lo, 0, v5
	s_and_b32 s22, vcc_lo, exec_lo
	s_or_b32 s20, s20, s22
	s_or_b32 exec_lo, exec_lo, s21
	v_mov_b32_e32 v6, 0
	s_and_saveexec_b32 s21, s20
	s_cbranch_execnz .LBB14_326
	s_branch .LBB14_327
.LBB14_533:
	s_mov_b32 s19, -1
	s_mov_b32 s20, 0
.LBB14_534:
                                        ; implicit-def: $vgpr2
.LBB14_535:
	s_and_b32 vcc_lo, exec_lo, s21
	s_cbranch_vccz .LBB14_539
; %bb.536:
	s_cmp_eq_u32 s0, 44
	s_cbranch_scc0 .LBB14_538
; %bb.537:
	global_load_ubyte v2, v[0:1], off
	s_mov_b32 s19, 0
	s_mov_b32 s20, -1
	s_waitcnt vmcnt(0)
	v_lshlrev_b32_e32 v3, 23, v2
	v_cmp_ne_u32_e32 vcc_lo, 0xff, v2
	v_cndmask_b32_e32 v3, 0x7f800001, v3, vcc_lo
	v_cmp_ne_u32_e32 vcc_lo, 0, v2
	v_cndmask_b32_e32 v2, 0x400000, v3, vcc_lo
	s_branch .LBB14_539
.LBB14_538:
	s_mov_b32 s19, -1
                                        ; implicit-def: $vgpr2
.LBB14_539:
	s_mov_b32 s21, 0
.LBB14_540:
	s_and_b32 vcc_lo, exec_lo, s21
	s_cbranch_vccz .LBB14_544
; %bb.541:
	s_cmp_eq_u32 s0, 29
	s_cbranch_scc0 .LBB14_543
; %bb.542:
	global_load_dwordx2 v[2:3], v[0:1], off
	s_mov_b32 s20, -1
	s_mov_b32 s19, 0
	s_mov_b32 s21, 0
	s_waitcnt vmcnt(0)
	v_ffbh_u32_e32 v5, v3
	v_min_u32_e32 v5, 32, v5
	v_lshlrev_b64 v[2:3], v5, v[2:3]
	v_min_u32_e32 v2, 1, v2
	v_or_b32_e32 v2, v3, v2
	v_sub_nc_u32_e32 v3, 32, v5
	v_cvt_f32_u32_e32 v2, v2
	v_ldexp_f32 v2, v2, v3
	s_branch .LBB14_545
.LBB14_543:
	s_mov_b32 s19, -1
                                        ; implicit-def: $vgpr2
.LBB14_544:
	s_mov_b32 s21, 0
.LBB14_545:
	s_and_b32 vcc_lo, exec_lo, s21
	s_cbranch_vccz .LBB14_563
; %bb.546:
	s_cmp_lt_i32 s0, 27
	s_cbranch_scc1 .LBB14_549
; %bb.547:
	s_cmp_gt_i32 s0, 27
	s_cbranch_scc0 .LBB14_550
; %bb.548:
	global_load_dword v2, v[0:1], off
	s_mov_b32 s20, 0
	s_waitcnt vmcnt(0)
	v_cvt_f32_u32_e32 v2, v2
	s_branch .LBB14_551
.LBB14_549:
	s_mov_b32 s20, -1
                                        ; implicit-def: $vgpr2
	s_branch .LBB14_554
.LBB14_550:
	s_mov_b32 s20, -1
                                        ; implicit-def: $vgpr2
.LBB14_551:
	s_andn2_b32 vcc_lo, exec_lo, s20
	s_cbranch_vccnz .LBB14_553
; %bb.552:
	global_load_ushort v2, v[0:1], off
	s_waitcnt vmcnt(0)
	v_cvt_f32_u32_e32 v2, v2
.LBB14_553:
	s_mov_b32 s20, 0
.LBB14_554:
	s_andn2_b32 vcc_lo, exec_lo, s20
	s_cbranch_vccnz .LBB14_562
; %bb.555:
	global_load_ubyte v3, v[0:1], off
	s_mov_b32 s20, 0
	s_mov_b32 s21, exec_lo
	s_waitcnt vmcnt(0)
	v_cmpx_lt_i16_e32 0x7f, v3
	s_xor_b32 s21, exec_lo, s21
	s_cbranch_execz .LBB14_576
; %bb.556:
	s_mov_b32 s20, -1
	s_mov_b32 s22, exec_lo
	v_cmpx_eq_u16_e32 0x80, v3
; %bb.557:
	s_xor_b32 s20, exec_lo, -1
; %bb.558:
	s_or_b32 exec_lo, exec_lo, s22
	s_and_b32 s20, s20, exec_lo
	s_or_saveexec_b32 s21, s21
	v_mov_b32_e32 v2, 0x7f800001
	s_xor_b32 exec_lo, exec_lo, s21
	s_cbranch_execnz .LBB14_577
.LBB14_559:
	s_or_b32 exec_lo, exec_lo, s21
	s_and_saveexec_b32 s21, s20
	s_cbranch_execz .LBB14_561
.LBB14_560:
	v_and_b32_e32 v2, 0xffff, v3
	v_lshlrev_b32_e32 v3, 24, v3
	v_and_b32_e32 v5, 7, v2
	v_bfe_u32 v8, v2, 3, 4
	v_and_b32_e32 v3, 0x80000000, v3
	v_ffbh_u32_e32 v6, v5
	v_cmp_eq_u32_e32 vcc_lo, 0, v8
	v_min_u32_e32 v6, 32, v6
	v_subrev_nc_u32_e32 v7, 28, v6
	v_sub_nc_u32_e32 v6, 29, v6
	v_lshlrev_b32_e32 v2, v7, v2
	v_cndmask_b32_e32 v6, v8, v6, vcc_lo
	v_and_b32_e32 v2, 7, v2
	v_cndmask_b32_e32 v2, v5, v2, vcc_lo
	v_lshl_add_u32 v5, v6, 23, 0x3b800000
	v_lshlrev_b32_e32 v2, 20, v2
	v_or3_b32 v2, v3, v5, v2
.LBB14_561:
	s_or_b32 exec_lo, exec_lo, s21
.LBB14_562:
	s_mov_b32 s20, -1
.LBB14_563:
	s_mov_b32 s21, 0
.LBB14_564:
	s_and_b32 vcc_lo, exec_lo, s21
	s_cbranch_vccz .LBB14_599
; %bb.565:
	s_cmp_gt_i32 s0, 22
	s_cbranch_scc0 .LBB14_575
; %bb.566:
	s_cmp_lt_i32 s0, 24
	s_cbranch_scc1 .LBB14_578
; %bb.567:
	s_cmp_gt_i32 s0, 24
	s_cbranch_scc0 .LBB14_579
; %bb.568:
	global_load_ubyte v3, v[0:1], off
	s_mov_b32 s20, 0
	s_mov_b32 s21, exec_lo
	s_waitcnt vmcnt(0)
	v_cmpx_lt_i16_e32 0x7f, v3
	s_xor_b32 s21, exec_lo, s21
	s_cbranch_execz .LBB14_591
; %bb.569:
	s_mov_b32 s20, -1
	s_mov_b32 s22, exec_lo
	v_cmpx_eq_u16_e32 0x80, v3
; %bb.570:
	s_xor_b32 s20, exec_lo, -1
; %bb.571:
	s_or_b32 exec_lo, exec_lo, s22
	s_and_b32 s20, s20, exec_lo
	s_or_saveexec_b32 s21, s21
	v_mov_b32_e32 v2, 0x7f800001
	s_xor_b32 exec_lo, exec_lo, s21
	s_cbranch_execnz .LBB14_592
.LBB14_572:
	s_or_b32 exec_lo, exec_lo, s21
	s_and_saveexec_b32 s21, s20
	s_cbranch_execz .LBB14_574
.LBB14_573:
	v_and_b32_e32 v2, 0xffff, v3
	v_lshlrev_b32_e32 v3, 24, v3
	v_and_b32_e32 v5, 3, v2
	v_bfe_u32 v8, v2, 2, 5
	v_and_b32_e32 v3, 0x80000000, v3
	v_ffbh_u32_e32 v6, v5
	v_cmp_eq_u32_e32 vcc_lo, 0, v8
	v_min_u32_e32 v6, 32, v6
	v_subrev_nc_u32_e32 v7, 29, v6
	v_sub_nc_u32_e32 v6, 30, v6
	v_lshlrev_b32_e32 v2, v7, v2
	v_cndmask_b32_e32 v6, v8, v6, vcc_lo
	v_and_b32_e32 v2, 3, v2
	v_cndmask_b32_e32 v2, v5, v2, vcc_lo
	v_lshl_add_u32 v5, v6, 23, 0x37800000
	v_lshlrev_b32_e32 v2, 21, v2
	v_or3_b32 v2, v3, v5, v2
.LBB14_574:
	s_or_b32 exec_lo, exec_lo, s21
	s_mov_b32 s20, 0
	s_branch .LBB14_580
.LBB14_575:
	s_mov_b32 s21, -1
                                        ; implicit-def: $vgpr2
	s_branch .LBB14_586
.LBB14_576:
	s_or_saveexec_b32 s21, s21
	v_mov_b32_e32 v2, 0x7f800001
	s_xor_b32 exec_lo, exec_lo, s21
	s_cbranch_execz .LBB14_559
.LBB14_577:
	v_cmp_ne_u16_e32 vcc_lo, 0, v3
	v_mov_b32_e32 v2, 0
	s_andn2_b32 s20, s20, exec_lo
	s_and_b32 s22, vcc_lo, exec_lo
	s_or_b32 s20, s20, s22
	s_or_b32 exec_lo, exec_lo, s21
	s_and_saveexec_b32 s21, s20
	s_cbranch_execnz .LBB14_560
	s_branch .LBB14_561
.LBB14_578:
	s_mov_b32 s20, -1
                                        ; implicit-def: $vgpr2
	s_branch .LBB14_583
.LBB14_579:
	s_mov_b32 s20, -1
                                        ; implicit-def: $vgpr2
.LBB14_580:
	s_and_b32 vcc_lo, exec_lo, s20
	s_cbranch_vccz .LBB14_582
; %bb.581:
	global_load_ubyte v2, v[0:1], off
	s_waitcnt vmcnt(0)
	v_lshlrev_b32_e32 v2, 24, v2
	v_and_b32_e32 v3, 0x7f000000, v2
	v_ffbh_u32_e32 v5, v3
	v_add_nc_u32_e32 v7, 0x1000000, v3
	v_cmp_ne_u32_e32 vcc_lo, 0, v3
	v_min_u32_e32 v5, 32, v5
	v_sub_nc_u32_e64 v5, v5, 4 clamp
	v_lshlrev_b32_e32 v6, v5, v3
	v_lshlrev_b32_e32 v5, 23, v5
	v_lshrrev_b32_e32 v6, 4, v6
	v_sub_nc_u32_e32 v5, v6, v5
	v_ashrrev_i32_e32 v6, 8, v7
	v_add_nc_u32_e32 v5, 0x3c000000, v5
	v_and_or_b32 v5, 0x7f800000, v6, v5
	v_cndmask_b32_e32 v3, 0, v5, vcc_lo
	v_and_or_b32 v2, 0x80000000, v2, v3
.LBB14_582:
	s_mov_b32 s20, 0
.LBB14_583:
	s_andn2_b32 vcc_lo, exec_lo, s20
	s_cbranch_vccnz .LBB14_585
; %bb.584:
	global_load_ubyte v2, v[0:1], off
	s_waitcnt vmcnt(0)
	v_lshlrev_b32_e32 v3, 25, v2
	v_lshlrev_b16 v2, 8, v2
	v_lshrrev_b32_e32 v5, 4, v3
	v_and_or_b32 v6, 0x7f00, v2, 0.5
	v_cmp_gt_u32_e32 vcc_lo, 0x8000000, v3
	v_bfe_i32 v2, v2, 0, 16
	v_or_b32_e32 v5, 0x70000000, v5
	v_add_f32_e32 v6, -0.5, v6
	v_mul_f32_e32 v5, 0x7800000, v5
	v_cndmask_b32_e32 v3, v5, v6, vcc_lo
	v_and_or_b32 v2, 0x80000000, v2, v3
.LBB14_585:
	s_mov_b32 s21, 0
	s_mov_b32 s20, -1
.LBB14_586:
	s_andn2_b32 vcc_lo, exec_lo, s21
	s_cbranch_vccnz .LBB14_599
; %bb.587:
	s_cmp_gt_i32 s0, 14
	s_cbranch_scc0 .LBB14_590
; %bb.588:
	s_cmp_eq_u32 s0, 15
	s_cbranch_scc0 .LBB14_593
; %bb.589:
	global_load_ushort v2, v[0:1], off
	s_mov_b32 s20, -1
	s_mov_b32 s19, 0
	s_waitcnt vmcnt(0)
	v_lshlrev_b32_e32 v2, 16, v2
	s_branch .LBB14_594
.LBB14_590:
	s_mov_b32 s21, -1
                                        ; implicit-def: $vgpr2
	s_branch .LBB14_595
.LBB14_591:
	s_or_saveexec_b32 s21, s21
	v_mov_b32_e32 v2, 0x7f800001
	s_xor_b32 exec_lo, exec_lo, s21
	s_cbranch_execz .LBB14_572
.LBB14_592:
	v_cmp_ne_u16_e32 vcc_lo, 0, v3
	v_mov_b32_e32 v2, 0
	s_andn2_b32 s20, s20, exec_lo
	s_and_b32 s22, vcc_lo, exec_lo
	s_or_b32 s20, s20, s22
	s_or_b32 exec_lo, exec_lo, s21
	s_and_saveexec_b32 s21, s20
	s_cbranch_execnz .LBB14_573
	s_branch .LBB14_574
.LBB14_593:
	s_mov_b32 s19, -1
                                        ; implicit-def: $vgpr2
.LBB14_594:
	s_mov_b32 s21, 0
.LBB14_595:
	s_and_b32 vcc_lo, exec_lo, s21
	s_cbranch_vccz .LBB14_599
; %bb.596:
	s_cmp_eq_u32 s0, 11
	s_cbranch_scc0 .LBB14_598
; %bb.597:
	global_load_ubyte v2, v[0:1], off
	s_mov_b32 s19, 0
	s_mov_b32 s20, -1
	s_waitcnt vmcnt(0)
	v_cmp_ne_u16_e32 vcc_lo, 0, v2
	v_cndmask_b32_e64 v2, 0, 1.0, vcc_lo
	s_branch .LBB14_599
.LBB14_598:
	s_mov_b32 s19, -1
                                        ; implicit-def: $vgpr2
.LBB14_599:
	s_mov_b32 s21, 0
.LBB14_600:
	s_and_b32 vcc_lo, exec_lo, s21
	s_cbranch_vccz .LBB14_649
; %bb.601:
	s_cmp_lt_i32 s0, 5
	s_cbranch_scc1 .LBB14_606
; %bb.602:
	s_cmp_lt_i32 s0, 8
	s_cbranch_scc1 .LBB14_607
	;; [unrolled: 3-line block ×3, first 2 shown]
; %bb.604:
	s_cmp_gt_i32 s0, 9
	s_cbranch_scc0 .LBB14_609
; %bb.605:
	global_load_dwordx2 v[2:3], v[0:1], off
	s_mov_b32 s20, 0
	s_waitcnt vmcnt(0)
	v_cvt_f32_f64_e32 v2, v[2:3]
	s_branch .LBB14_610
.LBB14_606:
	s_mov_b32 s20, -1
                                        ; implicit-def: $vgpr2
	s_branch .LBB14_628
.LBB14_607:
	s_mov_b32 s20, -1
                                        ; implicit-def: $vgpr2
	s_branch .LBB14_616
.LBB14_608:
	s_mov_b32 s20, -1
                                        ; implicit-def: $vgpr2
	s_branch .LBB14_613
.LBB14_609:
	s_mov_b32 s20, -1
                                        ; implicit-def: $vgpr2
.LBB14_610:
	s_andn2_b32 vcc_lo, exec_lo, s20
	s_cbranch_vccnz .LBB14_612
; %bb.611:
	global_load_dword v2, v[0:1], off
.LBB14_612:
	s_mov_b32 s20, 0
.LBB14_613:
	s_andn2_b32 vcc_lo, exec_lo, s20
	s_cbranch_vccnz .LBB14_615
; %bb.614:
	global_load_dword v2, v[0:1], off
	s_waitcnt vmcnt(0)
	v_cvt_f32_f16_e32 v2, v2
.LBB14_615:
	s_mov_b32 s20, 0
.LBB14_616:
	s_andn2_b32 vcc_lo, exec_lo, s20
	s_cbranch_vccnz .LBB14_627
; %bb.617:
	s_cmp_lt_i32 s0, 6
	s_cbranch_scc1 .LBB14_620
; %bb.618:
	s_cmp_gt_i32 s0, 6
	s_cbranch_scc0 .LBB14_621
; %bb.619:
	global_load_dwordx2 v[2:3], v[0:1], off
	s_mov_b32 s20, 0
	s_waitcnt vmcnt(0)
	v_cvt_f32_f64_e32 v2, v[2:3]
	s_branch .LBB14_622
.LBB14_620:
	s_mov_b32 s20, -1
                                        ; implicit-def: $vgpr2
	s_branch .LBB14_625
.LBB14_621:
	s_mov_b32 s20, -1
                                        ; implicit-def: $vgpr2
.LBB14_622:
	s_andn2_b32 vcc_lo, exec_lo, s20
	s_cbranch_vccnz .LBB14_624
; %bb.623:
	global_load_dword v2, v[0:1], off
.LBB14_624:
	s_mov_b32 s20, 0
.LBB14_625:
	s_andn2_b32 vcc_lo, exec_lo, s20
	s_cbranch_vccnz .LBB14_627
; %bb.626:
	global_load_ushort v2, v[0:1], off
	s_waitcnt vmcnt(0)
	v_cvt_f32_f16_e32 v2, v2
.LBB14_627:
	s_mov_b32 s20, 0
.LBB14_628:
	s_andn2_b32 vcc_lo, exec_lo, s20
	s_cbranch_vccnz .LBB14_648
; %bb.629:
	s_cmp_lt_i32 s0, 2
	s_cbranch_scc1 .LBB14_633
; %bb.630:
	s_cmp_lt_i32 s0, 3
	s_cbranch_scc1 .LBB14_634
; %bb.631:
	s_cmp_gt_i32 s0, 3
	s_cbranch_scc0 .LBB14_635
; %bb.632:
	global_load_dwordx2 v[2:3], v[0:1], off
	s_mov_b32 s20, 0
	s_waitcnt vmcnt(0)
	v_xor_b32_e32 v5, v2, v3
	v_ffbh_i32_e32 v6, v3
	v_ashrrev_i32_e32 v5, 31, v5
	v_add_nc_u32_e32 v6, -1, v6
	v_add_nc_u32_e32 v5, 32, v5
	v_min_u32_e32 v5, v6, v5
	v_lshlrev_b64 v[2:3], v5, v[2:3]
	v_min_u32_e32 v2, 1, v2
	v_or_b32_e32 v2, v3, v2
	v_sub_nc_u32_e32 v3, 32, v5
	v_cvt_f32_i32_e32 v2, v2
	v_ldexp_f32 v2, v2, v3
	s_branch .LBB14_636
.LBB14_633:
	s_mov_b32 s20, -1
                                        ; implicit-def: $vgpr2
	s_branch .LBB14_642
.LBB14_634:
	s_mov_b32 s20, -1
                                        ; implicit-def: $vgpr2
	s_branch .LBB14_639
.LBB14_635:
	s_mov_b32 s20, -1
                                        ; implicit-def: $vgpr2
.LBB14_636:
	s_andn2_b32 vcc_lo, exec_lo, s20
	s_cbranch_vccnz .LBB14_638
; %bb.637:
	global_load_dword v2, v[0:1], off
	s_waitcnt vmcnt(0)
	v_cvt_f32_i32_e32 v2, v2
.LBB14_638:
	s_mov_b32 s20, 0
.LBB14_639:
	s_andn2_b32 vcc_lo, exec_lo, s20
	s_cbranch_vccnz .LBB14_641
; %bb.640:
	global_load_sshort v2, v[0:1], off
	s_waitcnt vmcnt(0)
	v_cvt_f32_i32_e32 v2, v2
.LBB14_641:
	s_mov_b32 s20, 0
.LBB14_642:
	s_andn2_b32 vcc_lo, exec_lo, s20
	s_cbranch_vccnz .LBB14_648
; %bb.643:
	s_cmp_gt_i32 s0, 0
	s_mov_b32 s0, 0
	s_cbranch_scc0 .LBB14_645
; %bb.644:
	global_load_sbyte v2, v[0:1], off
	s_waitcnt vmcnt(0)
	v_cvt_f32_i32_e32 v2, v2
	s_branch .LBB14_646
.LBB14_645:
	s_mov_b32 s0, -1
                                        ; implicit-def: $vgpr2
.LBB14_646:
	s_andn2_b32 vcc_lo, exec_lo, s0
	s_cbranch_vccnz .LBB14_648
; %bb.647:
	global_load_ubyte v0, v[0:1], off
	s_waitcnt vmcnt(0)
	v_cvt_f32_ubyte0_e32 v2, v0
.LBB14_648:
	s_mov_b32 s20, -1
.LBB14_649:
	s_andn2_b32 vcc_lo, exec_lo, s20
	s_cbranch_vccnz .LBB14_657
; %bb.650:
	s_waitcnt vmcnt(0)
	v_rcp_f32_e64 v0, |v2|
	v_cmp_gt_f32_e64 vcc_lo, |v2|, 1.0
	s_mov_b32 s0, 0x3b2d2a58
	s_and_b32 s20, s1, 0xff
	s_cmp_lt_i32 s20, 11
	v_cndmask_b32_e64 v0, |v2|, v0, vcc_lo
	v_mul_f32_e32 v1, v0, v0
	v_fmaak_f32 v3, s0, v1, 0xbc7a590c
	v_fmaak_f32 v3, v1, v3, 0x3d29fb3f
	;; [unrolled: 1-line block ×7, first 2 shown]
	v_mul_f32_e32 v1, v1, v3
	v_fmac_f32_e32 v0, v0, v1
	v_mul_lo_u32 v1, v4, s2
	v_sub_f32_e32 v3, 0x3fc90fdb, v0
	v_ashrrev_i32_e32 v5, 31, v1
	v_cndmask_b32_e32 v3, v0, v3, vcc_lo
	v_add_co_u32 v0, vcc_lo, s8, v1
	v_add_co_ci_u32_e64 v1, null, s9, v5, vcc_lo
	v_bfi_b32 v2, 0x7fffffff, v3, v2
	s_cbranch_scc1 .LBB14_658
; %bb.651:
	s_and_b32 s21, 0xffff, s20
	s_cmp_gt_i32 s21, 25
	s_cbranch_scc0 .LBB14_659
; %bb.652:
	s_cmp_gt_i32 s21, 28
	s_cbranch_scc0 .LBB14_660
; %bb.653:
	;; [unrolled: 3-line block ×4, first 2 shown]
	s_mov_b32 s23, 0
	s_mov_b32 s0, -1
	s_cmp_eq_u32 s21, 46
	s_mov_b32 s22, 0
	s_cbranch_scc0 .LBB14_663
; %bb.656:
	v_bfe_u32 v5, v2, 16, 1
	v_cmp_o_f32_e32 vcc_lo, v2, v2
	v_mov_b32_e32 v6, 0x7fc0
	s_mov_b32 s22, -1
	s_mov_b32 s0, 0
	v_add3_u32 v5, v2, v5, 0x7fff
	v_cndmask_b32_sdwa v5, v6, v5, vcc_lo dst_sel:DWORD dst_unused:UNUSED_PAD src0_sel:DWORD src1_sel:WORD_1
	global_store_dword v[0:1], v5, off
	s_branch .LBB14_663
.LBB14_657:
	s_mov_b32 s20, 0
	s_mov_b32 s0, s16
	s_branch .LBB14_774
.LBB14_658:
	s_mov_b32 s21, -1
	s_mov_b32 s22, 0
	s_mov_b32 s0, s16
	s_branch .LBB14_732
.LBB14_659:
	s_mov_b32 s23, -1
	s_mov_b32 s22, 0
	s_mov_b32 s0, s16
	s_branch .LBB14_690
.LBB14_660:
	s_mov_b32 s23, -1
	s_mov_b32 s22, 0
	s_mov_b32 s0, s16
	s_branch .LBB14_673
.LBB14_661:
	s_mov_b32 s23, -1
	s_mov_b32 s22, 0
	s_mov_b32 s0, s16
	s_branch .LBB14_669
.LBB14_662:
	s_mov_b32 s23, -1
	s_mov_b32 s22, 0
	s_mov_b32 s0, s16
.LBB14_663:
	s_and_b32 vcc_lo, exec_lo, s23
	s_cbranch_vccz .LBB14_668
; %bb.664:
	s_cmp_eq_u32 s21, 44
	s_mov_b32 s0, -1
	s_cbranch_scc0 .LBB14_668
; %bb.665:
	v_bfe_u32 v6, v2, 23, 8
	v_mov_b32_e32 v5, 0xff
	s_mov_b32 s22, exec_lo
	v_cmpx_ne_u32_e32 0xff, v6
	s_cbranch_execz .LBB14_667
; %bb.666:
	v_and_b32_e32 v5, 0x400000, v2
	v_and_or_b32 v6, 0x3fffff, v2, v6
	v_cmp_ne_u32_e32 vcc_lo, 0, v5
	v_cmp_ne_u32_e64 s0, 0, v6
	v_lshrrev_b32_e32 v5, 23, v2
	s_and_b32 s0, vcc_lo, s0
	v_cndmask_b32_e64 v6, 0, 1, s0
	v_add_nc_u32_e32 v5, v5, v6
.LBB14_667:
	s_or_b32 exec_lo, exec_lo, s22
	s_mov_b32 s22, -1
	s_mov_b32 s0, 0
	global_store_byte v[0:1], v5, off
.LBB14_668:
	s_mov_b32 s23, 0
.LBB14_669:
	s_and_b32 vcc_lo, exec_lo, s23
	s_cbranch_vccz .LBB14_672
; %bb.670:
	s_cmp_eq_u32 s21, 29
	s_mov_b32 s0, -1
	s_cbranch_scc0 .LBB14_672
; %bb.671:
	v_trunc_f32_e32 v5, v2
	s_mov_b32 s22, -1
	s_mov_b32 s0, 0
	s_mov_b32 s23, 0
	v_mul_f32_e32 v6, 0x2f800000, v5
	v_floor_f32_e32 v6, v6
	v_fmamk_f32 v5, v6, 0xcf800000, v5
	v_cvt_u32_f32_e32 v6, v6
	v_cvt_u32_f32_e32 v5, v5
	global_store_dwordx2 v[0:1], v[5:6], off
	s_branch .LBB14_673
.LBB14_672:
	s_mov_b32 s23, 0
.LBB14_673:
	s_and_b32 vcc_lo, exec_lo, s23
	s_cbranch_vccz .LBB14_689
; %bb.674:
	s_cmp_lt_i32 s21, 27
	s_mov_b32 s22, -1
	s_cbranch_scc1 .LBB14_680
; %bb.675:
	v_cvt_u32_f32_e32 v5, v2
	s_cmp_gt_i32 s21, 27
	s_cbranch_scc0 .LBB14_677
; %bb.676:
	s_mov_b32 s22, 0
	global_store_dword v[0:1], v5, off
.LBB14_677:
	s_andn2_b32 vcc_lo, exec_lo, s22
	s_cbranch_vccnz .LBB14_679
; %bb.678:
	global_store_short v[0:1], v5, off
.LBB14_679:
	s_mov_b32 s22, 0
.LBB14_680:
	s_andn2_b32 vcc_lo, exec_lo, s22
	s_cbranch_vccnz .LBB14_688
; %bb.681:
	v_and_b32_e32 v5, 0x7fffffff, v3
	v_mov_b32_e32 v6, 0x80
	s_mov_b32 s22, exec_lo
	v_cmpx_gt_u32_e32 0x43800000, v5
	s_cbranch_execz .LBB14_687
; %bb.682:
	v_cmp_lt_u32_e32 vcc_lo, 0x3bffffff, v5
	s_mov_b32 s23, 0
                                        ; implicit-def: $vgpr5
	s_and_saveexec_b32 s24, vcc_lo
	s_xor_b32 s24, exec_lo, s24
	s_cbranch_execz .LBB14_789
; %bb.683:
	v_bfe_u32 v5, v2, 20, 1
	s_mov_b32 s23, exec_lo
	v_add3_u32 v5, v2, v5, 0x487ffff
	v_lshrrev_b32_e32 v5, 20, v5
	s_andn2_saveexec_b32 s24, s24
	s_cbranch_execnz .LBB14_790
.LBB14_684:
	s_or_b32 exec_lo, exec_lo, s24
	v_mov_b32_e32 v6, 0
	s_and_saveexec_b32 s24, s23
.LBB14_685:
	v_lshrrev_b32_e32 v6, 24, v2
	v_and_or_b32 v6, 0x80, v6, v5
.LBB14_686:
	s_or_b32 exec_lo, exec_lo, s24
.LBB14_687:
	s_or_b32 exec_lo, exec_lo, s22
	global_store_byte v[0:1], v6, off
.LBB14_688:
	s_mov_b32 s22, -1
.LBB14_689:
	s_mov_b32 s23, 0
.LBB14_690:
	s_and_b32 vcc_lo, exec_lo, s23
	s_cbranch_vccz .LBB14_731
; %bb.691:
	s_cmp_gt_i32 s21, 22
	s_mov_b32 s23, -1
	s_cbranch_scc0 .LBB14_723
; %bb.692:
	s_cmp_lt_i32 s21, 24
	s_mov_b32 s22, -1
	s_cbranch_scc1 .LBB14_712
; %bb.693:
	s_cmp_gt_i32 s21, 24
	s_cbranch_scc0 .LBB14_701
; %bb.694:
	v_and_b32_e32 v5, 0x7fffffff, v3
	v_mov_b32_e32 v6, 0x80
	s_mov_b32 s22, exec_lo
	v_cmpx_gt_u32_e32 0x47800000, v5
	s_cbranch_execz .LBB14_700
; %bb.695:
	v_cmp_lt_u32_e32 vcc_lo, 0x37ffffff, v5
	s_mov_b32 s23, 0
                                        ; implicit-def: $vgpr5
	s_and_saveexec_b32 s24, vcc_lo
	s_xor_b32 s24, exec_lo, s24
	s_cbranch_execz .LBB14_792
; %bb.696:
	v_bfe_u32 v5, v2, 21, 1
	s_mov_b32 s23, exec_lo
	v_add3_u32 v5, v2, v5, 0x88fffff
	v_lshrrev_b32_e32 v5, 21, v5
	s_andn2_saveexec_b32 s24, s24
	s_cbranch_execnz .LBB14_793
.LBB14_697:
	s_or_b32 exec_lo, exec_lo, s24
	v_mov_b32_e32 v6, 0
	s_and_saveexec_b32 s24, s23
.LBB14_698:
	v_lshrrev_b32_e32 v6, 24, v2
	v_and_or_b32 v6, 0x80, v6, v5
.LBB14_699:
	s_or_b32 exec_lo, exec_lo, s24
.LBB14_700:
	s_or_b32 exec_lo, exec_lo, s22
	s_mov_b32 s22, 0
	global_store_byte v[0:1], v6, off
.LBB14_701:
	s_and_b32 vcc_lo, exec_lo, s22
	s_cbranch_vccz .LBB14_711
; %bb.702:
	v_and_b32_e32 v6, 0x7fffffff, v3
	s_mov_b32 s22, exec_lo
                                        ; implicit-def: $vgpr5
	v_cmpx_gt_u32_e32 0x43f00000, v6
	s_xor_b32 s22, exec_lo, s22
	s_cbranch_execz .LBB14_708
; %bb.703:
	s_mov_b32 s23, exec_lo
                                        ; implicit-def: $vgpr5
	v_cmpx_lt_u32_e32 0x3c7fffff, v6
	s_xor_b32 s23, exec_lo, s23
; %bb.704:
	v_bfe_u32 v5, v2, 20, 1
	v_add3_u32 v5, v2, v5, 0x407ffff
	v_and_b32_e32 v6, 0xff00000, v5
	v_lshrrev_b32_e32 v5, 20, v5
	v_cmp_ne_u32_e32 vcc_lo, 0x7f00000, v6
	v_cndmask_b32_e32 v5, 0x7e, v5, vcc_lo
; %bb.705:
	s_andn2_saveexec_b32 s23, s23
; %bb.706:
	v_add_f32_e64 v5, 0x46800000, |v3|
; %bb.707:
	s_or_b32 exec_lo, exec_lo, s23
                                        ; implicit-def: $vgpr6
.LBB14_708:
	s_andn2_saveexec_b32 s22, s22
; %bb.709:
	v_mov_b32_e32 v5, 0x7f
	v_cmp_lt_u32_e32 vcc_lo, 0x7f800000, v6
	v_cndmask_b32_e32 v5, 0x7e, v5, vcc_lo
; %bb.710:
	s_or_b32 exec_lo, exec_lo, s22
	v_lshrrev_b32_e32 v6, 24, v2
	v_and_or_b32 v5, 0x80, v6, v5
	global_store_byte v[0:1], v5, off
.LBB14_711:
	s_mov_b32 s22, 0
.LBB14_712:
	s_andn2_b32 vcc_lo, exec_lo, s22
	s_cbranch_vccnz .LBB14_722
; %bb.713:
	v_and_b32_e32 v6, 0x7fffffff, v3
	s_mov_b32 s22, exec_lo
                                        ; implicit-def: $vgpr5
	v_cmpx_gt_u32_e32 0x47800000, v6
	s_xor_b32 s22, exec_lo, s22
	s_cbranch_execz .LBB14_719
; %bb.714:
	s_mov_b32 s23, exec_lo
                                        ; implicit-def: $vgpr5
	v_cmpx_lt_u32_e32 0x387fffff, v6
	s_xor_b32 s23, exec_lo, s23
; %bb.715:
	v_bfe_u32 v3, v2, 21, 1
	v_add3_u32 v3, v2, v3, 0x80fffff
	v_lshrrev_b32_e32 v5, 21, v3
                                        ; implicit-def: $vgpr3
; %bb.716:
	s_andn2_saveexec_b32 s23, s23
; %bb.717:
	v_add_f32_e64 v5, 0x43000000, |v3|
; %bb.718:
	s_or_b32 exec_lo, exec_lo, s23
                                        ; implicit-def: $vgpr6
.LBB14_719:
	s_andn2_saveexec_b32 s22, s22
; %bb.720:
	v_mov_b32_e32 v3, 0x7f
	v_cmp_lt_u32_e32 vcc_lo, 0x7f800000, v6
	v_cndmask_b32_e32 v5, 0x7c, v3, vcc_lo
; %bb.721:
	s_or_b32 exec_lo, exec_lo, s22
	v_lshrrev_b32_e32 v3, 24, v2
	v_and_or_b32 v3, 0x80, v3, v5
	global_store_byte v[0:1], v3, off
.LBB14_722:
	s_mov_b32 s23, 0
	s_mov_b32 s22, -1
.LBB14_723:
	s_andn2_b32 vcc_lo, exec_lo, s23
	s_cbranch_vccnz .LBB14_731
; %bb.724:
	s_cmp_gt_i32 s21, 14
	s_mov_b32 s23, -1
	s_cbranch_scc0 .LBB14_728
; %bb.725:
	s_cmp_eq_u32 s21, 15
	s_mov_b32 s0, -1
	s_cbranch_scc0 .LBB14_727
; %bb.726:
	v_bfe_u32 v3, v2, 16, 1
	v_cmp_o_f32_e32 vcc_lo, v2, v2
	v_mov_b32_e32 v5, 0x7fc0
	s_mov_b32 s22, -1
	s_mov_b32 s0, 0
	v_add3_u32 v3, v2, v3, 0x7fff
	v_cndmask_b32_sdwa v3, v5, v3, vcc_lo dst_sel:DWORD dst_unused:UNUSED_PAD src0_sel:DWORD src1_sel:WORD_1
	global_store_short v[0:1], v3, off
.LBB14_727:
	s_mov_b32 s23, 0
.LBB14_728:
	s_and_b32 vcc_lo, exec_lo, s23
	s_cbranch_vccz .LBB14_731
; %bb.729:
	s_cmp_eq_u32 s21, 11
	s_mov_b32 s0, -1
	s_cbranch_scc0 .LBB14_731
; %bb.730:
	v_cmp_neq_f32_e32 vcc_lo, 0, v2
	s_mov_b32 s0, 0
	s_mov_b32 s22, -1
	v_cndmask_b32_e64 v3, 0, 1, vcc_lo
	global_store_byte v[0:1], v3, off
.LBB14_731:
	s_mov_b32 s21, 0
.LBB14_732:
	s_and_b32 vcc_lo, exec_lo, s21
	s_cbranch_vccz .LBB14_771
; %bb.733:
	s_and_b32 s20, 0xffff, s20
	s_mov_b32 s21, -1
	s_cmp_lt_i32 s20, 5
	s_cbranch_scc1 .LBB14_754
; %bb.734:
	s_cmp_lt_i32 s20, 8
	s_cbranch_scc1 .LBB14_744
; %bb.735:
	;; [unrolled: 3-line block ×3, first 2 shown]
	s_cmp_gt_i32 s20, 9
	s_cbranch_scc0 .LBB14_738
; %bb.737:
	v_cvt_f64_f32_e32 v[5:6], v2
	v_mov_b32_e32 v7, 0
	s_mov_b32 s21, 0
	v_mov_b32_e32 v8, v7
	global_store_dwordx4 v[0:1], v[5:8], off
.LBB14_738:
	s_andn2_b32 vcc_lo, exec_lo, s21
	s_cbranch_vccnz .LBB14_740
; %bb.739:
	v_mov_b32_e32 v3, 0
	global_store_dwordx2 v[0:1], v[2:3], off
.LBB14_740:
	s_mov_b32 s21, 0
.LBB14_741:
	s_andn2_b32 vcc_lo, exec_lo, s21
	s_cbranch_vccnz .LBB14_743
; %bb.742:
	v_cvt_f16_f32_e32 v3, v2
	v_and_b32_e32 v3, 0xffff, v3
	global_store_dword v[0:1], v3, off
.LBB14_743:
	s_mov_b32 s21, 0
.LBB14_744:
	s_andn2_b32 vcc_lo, exec_lo, s21
	s_cbranch_vccnz .LBB14_753
; %bb.745:
	s_cmp_lt_i32 s20, 6
	s_mov_b32 s21, -1
	s_cbranch_scc1 .LBB14_751
; %bb.746:
	s_cmp_gt_i32 s20, 6
	s_cbranch_scc0 .LBB14_748
; %bb.747:
	v_cvt_f64_f32_e32 v[5:6], v2
	s_mov_b32 s21, 0
	global_store_dwordx2 v[0:1], v[5:6], off
.LBB14_748:
	s_andn2_b32 vcc_lo, exec_lo, s21
	s_cbranch_vccnz .LBB14_750
; %bb.749:
	global_store_dword v[0:1], v2, off
.LBB14_750:
	s_mov_b32 s21, 0
.LBB14_751:
	s_andn2_b32 vcc_lo, exec_lo, s21
	s_cbranch_vccnz .LBB14_753
; %bb.752:
	v_cvt_f16_f32_e32 v3, v2
	global_store_short v[0:1], v3, off
.LBB14_753:
	s_mov_b32 s21, 0
.LBB14_754:
	s_andn2_b32 vcc_lo, exec_lo, s21
	s_cbranch_vccnz .LBB14_770
; %bb.755:
	s_cmp_lt_i32 s20, 2
	s_mov_b32 s21, -1
	s_cbranch_scc1 .LBB14_765
; %bb.756:
	s_cmp_lt_i32 s20, 3
	s_cbranch_scc1 .LBB14_762
; %bb.757:
	s_cmp_gt_i32 s20, 3
	s_cbranch_scc0 .LBB14_759
; %bb.758:
	v_trunc_f32_e32 v3, v2
	s_mov_b32 s21, 0
	v_mul_f32_e64 v5, 0x2f800000, |v3|
	v_floor_f32_e32 v5, v5
	v_fma_f32 v6, 0xcf800000, v5, |v3|
	v_ashrrev_i32_e32 v3, 31, v3
	v_cvt_u32_f32_e32 v5, v5
	v_cvt_u32_f32_e32 v6, v6
	v_xor_b32_e32 v7, v5, v3
	v_xor_b32_e32 v6, v6, v3
	v_sub_co_u32 v5, vcc_lo, v6, v3
	v_sub_co_ci_u32_e64 v6, null, v7, v3, vcc_lo
	global_store_dwordx2 v[0:1], v[5:6], off
.LBB14_759:
	s_andn2_b32 vcc_lo, exec_lo, s21
	s_cbranch_vccnz .LBB14_761
; %bb.760:
	v_cvt_i32_f32_e32 v3, v2
	global_store_dword v[0:1], v3, off
.LBB14_761:
	s_mov_b32 s21, 0
.LBB14_762:
	s_andn2_b32 vcc_lo, exec_lo, s21
	s_cbranch_vccnz .LBB14_764
; %bb.763:
	v_cvt_i32_f32_e32 v3, v2
	global_store_short v[0:1], v3, off
.LBB14_764:
	s_mov_b32 s21, 0
.LBB14_765:
	s_andn2_b32 vcc_lo, exec_lo, s21
	s_cbranch_vccnz .LBB14_770
; %bb.766:
	s_cmp_gt_i32 s20, 0
	s_mov_b32 s20, -1
	s_cbranch_scc0 .LBB14_768
; %bb.767:
	v_cvt_i32_f32_e32 v3, v2
	s_mov_b32 s20, 0
	global_store_byte v[0:1], v3, off
.LBB14_768:
	s_andn2_b32 vcc_lo, exec_lo, s20
	s_cbranch_vccnz .LBB14_770
; %bb.769:
	v_trunc_f32_e32 v2, v2
	v_mul_f32_e64 v3, 0x2f800000, |v2|
	v_floor_f32_e32 v3, v3
	v_fma_f32 v3, 0xcf800000, v3, |v2|
	v_ashrrev_i32_e32 v2, 31, v2
	v_cvt_u32_f32_e32 v3, v3
	v_xor_b32_e32 v3, v3, v2
	v_sub_nc_u32_e32 v2, v3, v2
	global_store_byte v[0:1], v2, off
.LBB14_770:
	s_mov_b32 s22, -1
.LBB14_771:
	s_andn2_b32 vcc_lo, exec_lo, s22
	s_cbranch_vccnz .LBB14_773
; %bb.772:
	v_add_nc_u32_e32 v4, 0x80, v4
	s_mov_b32 s20, -1
	s_branch .LBB14_775
.LBB14_773:
	s_mov_b32 s20, 0
.LBB14_774:
                                        ; implicit-def: $vgpr4
.LBB14_775:
	s_andn2_b32 s21, s16, exec_lo
	s_and_b32 s0, s0, exec_lo
	s_andn2_b32 s22, s15, exec_lo
	s_and_b32 s23, s19, exec_lo
	s_or_b32 s19, s21, s0
	s_or_b32 s0, s22, s23
	s_orn2_b32 s20, s20, exec_lo
.LBB14_776:
	s_or_b32 exec_lo, exec_lo, s18
	s_mov_b32 s21, 0
	s_mov_b32 s22, 0
	;; [unrolled: 1-line block ×3, first 2 shown]
                                        ; implicit-def: $vgpr0_vgpr1
                                        ; implicit-def: $vgpr3
	s_and_saveexec_b32 s18, s20
	s_cbranch_execz .LBB14_861
; %bb.777:
	v_cmp_gt_i32_e32 vcc_lo, s12, v4
	s_mov_b32 s20, 0
	s_mov_b32 s21, s0
	;; [unrolled: 1-line block ×3, first 2 shown]
                                        ; implicit-def: $vgpr0_vgpr1
                                        ; implicit-def: $vgpr3
	s_and_saveexec_b32 s12, vcc_lo
	s_cbranch_execz .LBB14_860
; %bb.778:
	v_mul_lo_u32 v0, v4, s3
	s_and_b32 s20, 0xffff, s5
	s_cmp_lt_i32 s20, 11
	v_ashrrev_i32_e32 v1, 31, v0
	v_add_co_u32 v0, vcc_lo, s10, v0
	v_add_co_ci_u32_e64 v1, null, s11, v1, vcc_lo
	s_cbranch_scc1 .LBB14_785
; %bb.779:
	s_cmp_gt_i32 s20, 25
	s_cbranch_scc0 .LBB14_786
; %bb.780:
	s_cmp_gt_i32 s20, 28
	s_cbranch_scc0 .LBB14_787
	;; [unrolled: 3-line block ×4, first 2 shown]
; %bb.783:
	s_cmp_eq_u32 s20, 46
	s_cbranch_scc0 .LBB14_794
; %bb.784:
	global_load_dword v2, v[0:1], off
	s_mov_b32 s21, 0
	s_mov_b32 s23, -1
	s_waitcnt vmcnt(0)
	v_lshlrev_b32_e32 v3, 16, v2
	s_branch .LBB14_796
.LBB14_785:
	s_mov_b32 s20, -1
	s_mov_b32 s21, s0
                                        ; implicit-def: $vgpr3
	s_branch .LBB14_859
.LBB14_786:
	s_mov_b32 s24, -1
	s_mov_b32 s21, s0
                                        ; implicit-def: $vgpr3
	s_branch .LBB14_825
.LBB14_787:
	s_mov_b32 s24, -1
	s_mov_b32 s21, s0
                                        ; implicit-def: $vgpr3
	s_branch .LBB14_806
.LBB14_788:
	s_mov_b32 s24, -1
	s_mov_b32 s21, s0
                                        ; implicit-def: $vgpr3
	s_branch .LBB14_801
.LBB14_789:
	s_andn2_saveexec_b32 s24, s24
	s_cbranch_execz .LBB14_684
.LBB14_790:
	v_add_f32_e64 v5, 0x46000000, |v3|
	s_andn2_b32 s23, s23, exec_lo
	v_and_b32_e32 v5, 0xff, v5
	v_cmp_ne_u32_e32 vcc_lo, 0, v5
	s_and_b32 s25, vcc_lo, exec_lo
	s_or_b32 s23, s23, s25
	s_or_b32 exec_lo, exec_lo, s24
	v_mov_b32_e32 v6, 0
	s_and_saveexec_b32 s24, s23
	s_cbranch_execnz .LBB14_685
	s_branch .LBB14_686
.LBB14_791:
	s_mov_b32 s24, -1
	s_mov_b32 s21, s0
	s_branch .LBB14_795
.LBB14_792:
	s_andn2_saveexec_b32 s24, s24
	s_cbranch_execz .LBB14_697
.LBB14_793:
	v_add_f32_e64 v5, 0x42800000, |v3|
	s_andn2_b32 s23, s23, exec_lo
	v_and_b32_e32 v5, 0xff, v5
	v_cmp_ne_u32_e32 vcc_lo, 0, v5
	s_and_b32 s25, vcc_lo, exec_lo
	s_or_b32 s23, s23, s25
	s_or_b32 exec_lo, exec_lo, s24
	v_mov_b32_e32 v6, 0
	s_and_saveexec_b32 s24, s23
	s_cbranch_execnz .LBB14_698
	s_branch .LBB14_699
.LBB14_794:
	s_mov_b32 s21, -1
.LBB14_795:
                                        ; implicit-def: $vgpr3
.LBB14_796:
	s_and_b32 vcc_lo, exec_lo, s24
	s_cbranch_vccz .LBB14_800
; %bb.797:
	s_cmp_eq_u32 s20, 44
	s_cbranch_scc0 .LBB14_799
; %bb.798:
	global_load_ubyte v2, v[0:1], off
	s_mov_b32 s21, 0
	s_mov_b32 s23, -1
	s_waitcnt vmcnt(0)
	v_lshlrev_b32_e32 v3, 23, v2
	v_cmp_ne_u32_e32 vcc_lo, 0xff, v2
	v_cndmask_b32_e32 v3, 0x7f800001, v3, vcc_lo
	v_cmp_ne_u32_e32 vcc_lo, 0, v2
	v_cndmask_b32_e32 v3, 0x400000, v3, vcc_lo
	s_branch .LBB14_800
.LBB14_799:
	s_mov_b32 s21, -1
                                        ; implicit-def: $vgpr3
.LBB14_800:
	s_mov_b32 s24, 0
.LBB14_801:
	s_and_b32 vcc_lo, exec_lo, s24
	s_cbranch_vccz .LBB14_805
; %bb.802:
	s_cmp_eq_u32 s20, 29
	s_cbranch_scc0 .LBB14_804
; %bb.803:
	global_load_dwordx2 v[2:3], v[0:1], off
	s_mov_b32 s21, 0
	s_mov_b32 s23, -1
	s_mov_b32 s24, 0
	s_waitcnt vmcnt(0)
	v_ffbh_u32_e32 v5, v3
	v_min_u32_e32 v5, 32, v5
	v_lshlrev_b64 v[2:3], v5, v[2:3]
	v_min_u32_e32 v2, 1, v2
	v_or_b32_e32 v2, v3, v2
	v_sub_nc_u32_e32 v3, 32, v5
	v_cvt_f32_u32_e32 v2, v2
	v_ldexp_f32 v3, v2, v3
	s_branch .LBB14_806
.LBB14_804:
	s_mov_b32 s21, -1
                                        ; implicit-def: $vgpr3
.LBB14_805:
	s_mov_b32 s24, 0
.LBB14_806:
	s_and_b32 vcc_lo, exec_lo, s24
	s_cbranch_vccz .LBB14_824
; %bb.807:
	s_cmp_lt_i32 s20, 27
	s_cbranch_scc1 .LBB14_810
; %bb.808:
	s_cmp_gt_i32 s20, 27
	s_cbranch_scc0 .LBB14_811
; %bb.809:
	global_load_dword v2, v[0:1], off
	s_mov_b32 s23, 0
	s_waitcnt vmcnt(0)
	v_cvt_f32_u32_e32 v3, v2
	s_branch .LBB14_812
.LBB14_810:
	s_mov_b32 s23, -1
                                        ; implicit-def: $vgpr3
	s_branch .LBB14_815
.LBB14_811:
	s_mov_b32 s23, -1
                                        ; implicit-def: $vgpr3
.LBB14_812:
	s_andn2_b32 vcc_lo, exec_lo, s23
	s_cbranch_vccnz .LBB14_814
; %bb.813:
	global_load_ushort v2, v[0:1], off
	s_waitcnt vmcnt(0)
	v_cvt_f32_u32_e32 v3, v2
.LBB14_814:
	s_mov_b32 s23, 0
.LBB14_815:
	s_andn2_b32 vcc_lo, exec_lo, s23
	s_cbranch_vccnz .LBB14_823
; %bb.816:
	global_load_ubyte v2, v[0:1], off
	s_mov_b32 s23, 0
	s_mov_b32 s24, exec_lo
	s_waitcnt vmcnt(0)
	v_cmpx_lt_i16_e32 0x7f, v2
	s_xor_b32 s24, exec_lo, s24
	s_cbranch_execz .LBB14_837
; %bb.817:
	s_mov_b32 s23, -1
	s_mov_b32 s25, exec_lo
	v_cmpx_eq_u16_e32 0x80, v2
; %bb.818:
	s_xor_b32 s23, exec_lo, -1
; %bb.819:
	s_or_b32 exec_lo, exec_lo, s25
	s_and_b32 s23, s23, exec_lo
	s_or_saveexec_b32 s24, s24
	v_mov_b32_e32 v3, 0x7f800001
	s_xor_b32 exec_lo, exec_lo, s24
	s_cbranch_execnz .LBB14_838
.LBB14_820:
	s_or_b32 exec_lo, exec_lo, s24
	s_and_saveexec_b32 s24, s23
	s_cbranch_execz .LBB14_822
.LBB14_821:
	v_and_b32_e32 v3, 0xffff, v2
	v_lshlrev_b32_e32 v2, 24, v2
	v_and_b32_e32 v5, 7, v3
	v_bfe_u32 v8, v3, 3, 4
	v_and_b32_e32 v2, 0x80000000, v2
	v_ffbh_u32_e32 v6, v5
	v_cmp_eq_u32_e32 vcc_lo, 0, v8
	v_min_u32_e32 v6, 32, v6
	v_subrev_nc_u32_e32 v7, 28, v6
	v_sub_nc_u32_e32 v6, 29, v6
	v_lshlrev_b32_e32 v3, v7, v3
	v_cndmask_b32_e32 v6, v8, v6, vcc_lo
	v_and_b32_e32 v3, 7, v3
	v_cndmask_b32_e32 v3, v5, v3, vcc_lo
	v_lshl_add_u32 v5, v6, 23, 0x3b800000
	v_lshlrev_b32_e32 v3, 20, v3
	v_or3_b32 v3, v2, v5, v3
.LBB14_822:
	s_or_b32 exec_lo, exec_lo, s24
.LBB14_823:
	s_mov_b32 s23, -1
.LBB14_824:
	s_mov_b32 s24, 0
.LBB14_825:
	s_and_b32 vcc_lo, exec_lo, s24
	s_cbranch_vccz .LBB14_858
; %bb.826:
	s_cmp_gt_i32 s20, 22
	s_cbranch_scc0 .LBB14_836
; %bb.827:
	s_cmp_lt_i32 s20, 24
	s_cbranch_scc1 .LBB14_839
; %bb.828:
	s_cmp_gt_i32 s20, 24
	s_cbranch_scc0 .LBB14_840
; %bb.829:
	global_load_ubyte v2, v[0:1], off
	s_mov_b32 s23, exec_lo
	s_waitcnt vmcnt(0)
	v_cmpx_lt_i16_e32 0x7f, v2
	s_xor_b32 s23, exec_lo, s23
	s_cbranch_execz .LBB14_852
; %bb.830:
	s_mov_b32 s22, -1
	s_mov_b32 s24, exec_lo
	v_cmpx_eq_u16_e32 0x80, v2
; %bb.831:
	s_xor_b32 s22, exec_lo, -1
; %bb.832:
	s_or_b32 exec_lo, exec_lo, s24
	s_and_b32 s22, s22, exec_lo
	s_or_saveexec_b32 s23, s23
	v_mov_b32_e32 v3, 0x7f800001
	s_xor_b32 exec_lo, exec_lo, s23
	s_cbranch_execnz .LBB14_853
.LBB14_833:
	s_or_b32 exec_lo, exec_lo, s23
	s_and_saveexec_b32 s23, s22
	s_cbranch_execz .LBB14_835
.LBB14_834:
	v_and_b32_e32 v3, 0xffff, v2
	v_lshlrev_b32_e32 v2, 24, v2
	v_and_b32_e32 v5, 3, v3
	v_bfe_u32 v8, v3, 2, 5
	v_and_b32_e32 v2, 0x80000000, v2
	v_ffbh_u32_e32 v6, v5
	v_cmp_eq_u32_e32 vcc_lo, 0, v8
	v_min_u32_e32 v6, 32, v6
	v_subrev_nc_u32_e32 v7, 29, v6
	v_sub_nc_u32_e32 v6, 30, v6
	v_lshlrev_b32_e32 v3, v7, v3
	v_cndmask_b32_e32 v6, v8, v6, vcc_lo
	v_and_b32_e32 v3, 3, v3
	v_cndmask_b32_e32 v3, v5, v3, vcc_lo
	v_lshl_add_u32 v5, v6, 23, 0x37800000
	v_lshlrev_b32_e32 v3, 21, v3
	v_or3_b32 v3, v2, v5, v3
.LBB14_835:
	s_or_b32 exec_lo, exec_lo, s23
	s_mov_b32 s22, 0
	s_branch .LBB14_841
.LBB14_836:
	s_mov_b32 s22, -1
                                        ; implicit-def: $vgpr3
	s_branch .LBB14_847
.LBB14_837:
	s_or_saveexec_b32 s24, s24
	v_mov_b32_e32 v3, 0x7f800001
	s_xor_b32 exec_lo, exec_lo, s24
	s_cbranch_execz .LBB14_820
.LBB14_838:
	v_cmp_ne_u16_e32 vcc_lo, 0, v2
	v_mov_b32_e32 v3, 0
	s_andn2_b32 s23, s23, exec_lo
	s_and_b32 s25, vcc_lo, exec_lo
	s_or_b32 s23, s23, s25
	s_or_b32 exec_lo, exec_lo, s24
	s_and_saveexec_b32 s24, s23
	s_cbranch_execnz .LBB14_821
	s_branch .LBB14_822
.LBB14_839:
	s_mov_b32 s22, -1
                                        ; implicit-def: $vgpr3
	s_branch .LBB14_844
.LBB14_840:
	s_mov_b32 s22, -1
                                        ; implicit-def: $vgpr3
.LBB14_841:
	s_and_b32 vcc_lo, exec_lo, s22
	s_cbranch_vccz .LBB14_843
; %bb.842:
	global_load_ubyte v2, v[0:1], off
	s_waitcnt vmcnt(0)
	v_lshlrev_b32_e32 v2, 24, v2
	v_and_b32_e32 v3, 0x7f000000, v2
	v_ffbh_u32_e32 v5, v3
	v_add_nc_u32_e32 v7, 0x1000000, v3
	v_cmp_ne_u32_e32 vcc_lo, 0, v3
	v_min_u32_e32 v5, 32, v5
	v_sub_nc_u32_e64 v5, v5, 4 clamp
	v_lshlrev_b32_e32 v6, v5, v3
	v_lshlrev_b32_e32 v5, 23, v5
	v_lshrrev_b32_e32 v6, 4, v6
	v_sub_nc_u32_e32 v5, v6, v5
	v_ashrrev_i32_e32 v6, 8, v7
	v_add_nc_u32_e32 v5, 0x3c000000, v5
	v_and_or_b32 v5, 0x7f800000, v6, v5
	v_cndmask_b32_e32 v3, 0, v5, vcc_lo
	v_and_or_b32 v3, 0x80000000, v2, v3
.LBB14_843:
	s_mov_b32 s22, 0
.LBB14_844:
	s_andn2_b32 vcc_lo, exec_lo, s22
	s_cbranch_vccnz .LBB14_846
; %bb.845:
	global_load_ubyte v2, v[0:1], off
	s_waitcnt vmcnt(0)
	v_lshlrev_b32_e32 v3, 25, v2
	v_lshlrev_b16 v2, 8, v2
	v_lshrrev_b32_e32 v5, 4, v3
	v_and_or_b32 v6, 0x7f00, v2, 0.5
	v_cmp_gt_u32_e32 vcc_lo, 0x8000000, v3
	v_bfe_i32 v2, v2, 0, 16
	v_or_b32_e32 v5, 0x70000000, v5
	v_add_f32_e32 v6, -0.5, v6
	v_mul_f32_e32 v5, 0x7800000, v5
	v_cndmask_b32_e32 v3, v5, v6, vcc_lo
	v_and_or_b32 v3, 0x80000000, v2, v3
.LBB14_846:
	s_mov_b32 s22, 0
	s_mov_b32 s23, -1
.LBB14_847:
	s_andn2_b32 vcc_lo, exec_lo, s22
	s_mov_b32 s22, 0
	s_cbranch_vccnz .LBB14_858
; %bb.848:
	s_cmp_gt_i32 s20, 14
	s_cbranch_scc0 .LBB14_851
; %bb.849:
	s_cmp_eq_u32 s20, 15
	s_cbranch_scc0 .LBB14_854
; %bb.850:
	global_load_ushort v2, v[0:1], off
	s_mov_b32 s21, 0
	s_mov_b32 s23, -1
	s_waitcnt vmcnt(0)
	v_lshlrev_b32_e32 v3, 16, v2
	s_branch .LBB14_856
.LBB14_851:
	s_mov_b32 s22, -1
	s_branch .LBB14_855
.LBB14_852:
	s_or_saveexec_b32 s23, s23
	v_mov_b32_e32 v3, 0x7f800001
	s_xor_b32 exec_lo, exec_lo, s23
	s_cbranch_execz .LBB14_833
.LBB14_853:
	v_cmp_ne_u16_e32 vcc_lo, 0, v2
	v_mov_b32_e32 v3, 0
	s_andn2_b32 s22, s22, exec_lo
	s_and_b32 s24, vcc_lo, exec_lo
	s_or_b32 s22, s22, s24
	s_or_b32 exec_lo, exec_lo, s23
	s_and_saveexec_b32 s23, s22
	s_cbranch_execnz .LBB14_834
	s_branch .LBB14_835
.LBB14_854:
	s_mov_b32 s21, -1
.LBB14_855:
                                        ; implicit-def: $vgpr3
.LBB14_856:
	s_and_b32 vcc_lo, exec_lo, s22
	s_mov_b32 s22, 0
	s_cbranch_vccz .LBB14_858
; %bb.857:
	s_cmp_lg_u32 s20, 11
	s_mov_b32 s22, -1
	s_cselect_b32 s20, -1, 0
	s_andn2_b32 s21, s21, exec_lo
	s_and_b32 s20, s20, exec_lo
	s_or_b32 s21, s21, s20
.LBB14_858:
	s_mov_b32 s20, 0
.LBB14_859:
	s_andn2_b32 s25, s0, exec_lo
	s_and_b32 s21, s21, exec_lo
	s_and_b32 s23, s23, exec_lo
	;; [unrolled: 1-line block ×4, first 2 shown]
	s_or_b32 s21, s25, s21
.LBB14_860:
	s_or_b32 exec_lo, exec_lo, s12
	s_andn2_b32 s0, s0, exec_lo
	s_and_b32 s12, s21, exec_lo
	s_and_b32 s23, s23, exec_lo
	;; [unrolled: 1-line block ×4, first 2 shown]
	s_or_b32 s0, s0, s12
.LBB14_861:
	s_or_b32 exec_lo, exec_lo, s18
	s_andn2_b32 s12, s16, exec_lo
	s_and_b32 s16, s19, exec_lo
	s_and_b32 s0, s0, exec_lo
	s_or_b32 s16, s12, s16
	s_andn2_b32 s12, s15, exec_lo
	s_and_b32 s20, s23, exec_lo
	s_and_b32 s19, s22, exec_lo
	;; [unrolled: 1-line block ×3, first 2 shown]
	s_or_b32 s15, s12, s0
.LBB14_862:
	s_or_b32 exec_lo, exec_lo, s17
	s_andn2_b32 s0, s7, exec_lo
	s_and_b32 s7, s16, exec_lo
	s_andn2_b32 s12, s13, exec_lo
	s_and_b32 s13, s15, exec_lo
	s_or_b32 s7, s0, s7
	s_and_b32 s0, s20, exec_lo
	s_and_b32 s16, s19, exec_lo
	;; [unrolled: 1-line block ×3, first 2 shown]
	s_or_b32 s13, s12, s13
	s_or_b32 exec_lo, exec_lo, s14
	s_mov_b32 s12, 0
	s_and_saveexec_b32 s14, s13
	s_cbranch_execz .LBB14_262
.LBB14_863:
	s_mov_b32 s12, exec_lo
	s_andn2_b32 s15, s15, exec_lo
	s_trap 2
	s_or_b32 exec_lo, exec_lo, s14
	s_and_saveexec_b32 s13, s15
	s_xor_b32 s13, exec_lo, s13
	s_cbranch_execnz .LBB14_263
.LBB14_864:
	s_or_b32 exec_lo, exec_lo, s13
	s_and_saveexec_b32 s13, s16
	s_cbranch_execz .LBB14_910
.LBB14_865:
	s_sext_i32_i16 s14, s5
	s_cmp_lt_i32 s14, 5
	s_cbranch_scc1 .LBB14_870
; %bb.866:
	s_cmp_lt_i32 s14, 8
	s_cbranch_scc1 .LBB14_871
; %bb.867:
	;; [unrolled: 3-line block ×3, first 2 shown]
	s_cmp_gt_i32 s14, 9
	s_cbranch_scc0 .LBB14_873
; %bb.869:
	global_load_dwordx2 v[2:3], v[0:1], off
	s_mov_b32 s14, 0
	s_waitcnt vmcnt(0)
	v_cvt_f32_f64_e32 v3, v[2:3]
	s_branch .LBB14_874
.LBB14_870:
                                        ; implicit-def: $vgpr3
	s_branch .LBB14_891
.LBB14_871:
                                        ; implicit-def: $vgpr3
	s_branch .LBB14_880
.LBB14_872:
	s_mov_b32 s14, -1
                                        ; implicit-def: $vgpr3
	s_branch .LBB14_877
.LBB14_873:
	s_mov_b32 s14, -1
                                        ; implicit-def: $vgpr3
.LBB14_874:
	s_andn2_b32 vcc_lo, exec_lo, s14
	s_cbranch_vccnz .LBB14_876
; %bb.875:
	global_load_dword v3, v[0:1], off
.LBB14_876:
	s_mov_b32 s14, 0
.LBB14_877:
	s_andn2_b32 vcc_lo, exec_lo, s14
	s_cbranch_vccnz .LBB14_879
; %bb.878:
	global_load_dword v2, v[0:1], off
	s_waitcnt vmcnt(0)
	v_cvt_f32_f16_e32 v3, v2
.LBB14_879:
	s_cbranch_execnz .LBB14_890
.LBB14_880:
	s_sext_i32_i16 s14, s5
	s_cmp_lt_i32 s14, 6
	s_cbranch_scc1 .LBB14_883
; %bb.881:
	s_cmp_gt_i32 s14, 6
	s_cbranch_scc0 .LBB14_884
; %bb.882:
	global_load_dwordx2 v[2:3], v[0:1], off
	s_mov_b32 s14, 0
	s_waitcnt vmcnt(0)
	v_cvt_f32_f64_e32 v3, v[2:3]
	s_branch .LBB14_885
.LBB14_883:
	s_mov_b32 s14, -1
                                        ; implicit-def: $vgpr3
	s_branch .LBB14_888
.LBB14_884:
	s_mov_b32 s14, -1
                                        ; implicit-def: $vgpr3
.LBB14_885:
	s_andn2_b32 vcc_lo, exec_lo, s14
	s_cbranch_vccnz .LBB14_887
; %bb.886:
	global_load_dword v3, v[0:1], off
.LBB14_887:
	s_mov_b32 s14, 0
.LBB14_888:
	s_andn2_b32 vcc_lo, exec_lo, s14
	s_cbranch_vccnz .LBB14_890
; %bb.889:
	global_load_ushort v2, v[0:1], off
	s_waitcnt vmcnt(0)
	v_cvt_f32_f16_e32 v3, v2
.LBB14_890:
	s_cbranch_execnz .LBB14_909
.LBB14_891:
	s_sext_i32_i16 s14, s5
	s_cmp_lt_i32 s14, 2
	s_cbranch_scc1 .LBB14_895
; %bb.892:
	s_cmp_lt_i32 s14, 3
	s_cbranch_scc1 .LBB14_896
; %bb.893:
	s_cmp_gt_i32 s14, 3
	s_cbranch_scc0 .LBB14_897
; %bb.894:
	global_load_dwordx2 v[2:3], v[0:1], off
	s_mov_b32 s14, 0
	s_waitcnt vmcnt(0)
	v_xor_b32_e32 v5, v2, v3
	v_ffbh_i32_e32 v6, v3
	v_ashrrev_i32_e32 v5, 31, v5
	v_add_nc_u32_e32 v6, -1, v6
	v_add_nc_u32_e32 v5, 32, v5
	v_min_u32_e32 v5, v6, v5
	v_lshlrev_b64 v[2:3], v5, v[2:3]
	v_min_u32_e32 v2, 1, v2
	v_or_b32_e32 v2, v3, v2
	v_sub_nc_u32_e32 v3, 32, v5
	v_cvt_f32_i32_e32 v2, v2
	v_ldexp_f32 v3, v2, v3
	s_branch .LBB14_898
.LBB14_895:
                                        ; implicit-def: $vgpr3
	s_branch .LBB14_904
.LBB14_896:
	s_mov_b32 s14, -1
                                        ; implicit-def: $vgpr3
	s_branch .LBB14_901
.LBB14_897:
	s_mov_b32 s14, -1
                                        ; implicit-def: $vgpr3
.LBB14_898:
	s_andn2_b32 vcc_lo, exec_lo, s14
	s_cbranch_vccnz .LBB14_900
; %bb.899:
	global_load_dword v2, v[0:1], off
	s_waitcnt vmcnt(0)
	v_cvt_f32_i32_e32 v3, v2
.LBB14_900:
	s_mov_b32 s14, 0
.LBB14_901:
	s_andn2_b32 vcc_lo, exec_lo, s14
	s_cbranch_vccnz .LBB14_903
; %bb.902:
	global_load_sshort v2, v[0:1], off
	s_waitcnt vmcnt(0)
	v_cvt_f32_i32_e32 v3, v2
.LBB14_903:
	s_cbranch_execnz .LBB14_909
.LBB14_904:
	s_sext_i32_i16 s14, s5
	s_cmp_gt_i32 s14, 0
	s_mov_b32 s14, 0
	s_cbranch_scc0 .LBB14_906
; %bb.905:
	global_load_sbyte v2, v[0:1], off
	s_waitcnt vmcnt(0)
	v_cvt_f32_i32_e32 v3, v2
	s_branch .LBB14_907
.LBB14_906:
	s_mov_b32 s14, -1
                                        ; implicit-def: $vgpr3
.LBB14_907:
	s_andn2_b32 vcc_lo, exec_lo, s14
	s_cbranch_vccnz .LBB14_909
; %bb.908:
	global_load_ubyte v0, v[0:1], off
	s_waitcnt vmcnt(0)
	v_cvt_f32_ubyte0_e32 v3, v0
.LBB14_909:
	s_or_b32 s0, s0, exec_lo
.LBB14_910:
	s_or_b32 exec_lo, exec_lo, s13
	s_mov_b32 s16, 0
	s_mov_b32 s15, 0
                                        ; implicit-def: $sgpr13
                                        ; implicit-def: $vgpr0_vgpr1
                                        ; implicit-def: $vgpr2
	s_and_saveexec_b32 s14, s0
	s_cbranch_execz .LBB14_918
; %bb.911:
	s_waitcnt vmcnt(0)
	v_rcp_f32_e64 v0, |v3|
	v_cmp_gt_f32_e64 vcc_lo, |v3|, 1.0
	s_mov_b32 s0, 0x3b2d2a58
	s_and_b32 s13, s1, 0xff
	s_cmp_lt_i32 s13, 11
	v_cndmask_b32_e64 v0, |v3|, v0, vcc_lo
	v_mul_f32_e32 v1, v0, v0
	v_fmaak_f32 v2, s0, v1, 0xbc7a590c
	v_fmaak_f32 v2, v1, v2, 0x3d29fb3f
	;; [unrolled: 1-line block ×7, first 2 shown]
	v_mul_f32_e32 v1, v1, v2
	v_fmac_f32_e32 v0, v0, v1
	v_mul_lo_u32 v1, v4, s2
	v_sub_f32_e32 v2, 0x3fc90fdb, v0
	v_ashrrev_i32_e32 v5, 31, v1
	v_cndmask_b32_e32 v4, v0, v2, vcc_lo
	v_add_co_u32 v0, vcc_lo, s8, v1
	v_add_co_ci_u32_e64 v1, null, s9, v5, vcc_lo
	v_bfi_b32 v2, 0x7fffffff, v4, v3
	s_cbranch_scc1 .LBB14_921
; %bb.912:
	s_and_b32 s15, 0xffff, s13
	s_mov_b32 s16, -1
	s_cmp_gt_i32 s15, 25
	s_mov_b32 s0, s7
	s_cbranch_scc0 .LBB14_949
; %bb.913:
	s_cmp_gt_i32 s15, 28
	s_mov_b32 s0, s7
	s_cbranch_scc0 .LBB14_933
; %bb.914:
	;; [unrolled: 4-line block ×4, first 2 shown]
	s_cmp_eq_u32 s15, 46
	s_mov_b32 s0, -1
	s_cbranch_scc0 .LBB14_922
; %bb.917:
	v_bfe_u32 v3, v2, 16, 1
	v_cmp_o_f32_e32 vcc_lo, v2, v2
	v_mov_b32_e32 v5, 0x7fc0
	s_mov_b32 s0, 0
	s_mov_b32 s16, 0
	v_add3_u32 v3, v2, v3, 0x7fff
	v_cndmask_b32_sdwa v3, v5, v3, vcc_lo dst_sel:DWORD dst_unused:UNUSED_PAD src0_sel:DWORD src1_sel:WORD_1
	global_store_dword v[0:1], v3, off
	s_branch .LBB14_923
.LBB14_918:
	s_or_b32 exec_lo, exec_lo, s14
	s_and_saveexec_b32 s0, s7
	s_cbranch_execnz .LBB14_991
.LBB14_919:
	s_or_b32 exec_lo, exec_lo, s0
	s_and_saveexec_b32 s0, s16
	s_xor_b32 s0, exec_lo, s0
	s_cbranch_execz .LBB14_992
.LBB14_920:
	s_waitcnt vmcnt(0)
	v_cmp_neq_f32_e32 vcc_lo, 0, v2
	v_cndmask_b32_e64 v3, 0, 1, vcc_lo
	global_store_byte v[0:1], v3, off
	s_or_b32 exec_lo, exec_lo, s0
	s_and_saveexec_b32 s0, s15
	s_xor_b32 s0, exec_lo, s0
	s_cbranch_execz .LBB14_1030
	s_branch .LBB14_993
.LBB14_921:
	s_mov_b32 s17, 0
	s_mov_b32 s16, -1
	s_mov_b32 s0, s7
	s_branch .LBB14_990
.LBB14_922:
	s_mov_b32 s16, 0
.LBB14_923:
	s_and_b32 vcc_lo, exec_lo, s16
	s_cbranch_vccz .LBB14_928
; %bb.924:
	s_cmp_eq_u32 s15, 44
	s_mov_b32 s0, -1
	s_cbranch_scc0 .LBB14_928
; %bb.925:
	v_bfe_u32 v5, v2, 23, 8
	v_mov_b32_e32 v3, 0xff
	s_mov_b32 s16, exec_lo
	v_cmpx_ne_u32_e32 0xff, v5
	s_cbranch_execz .LBB14_927
; %bb.926:
	v_and_b32_e32 v3, 0x400000, v2
	v_and_or_b32 v5, 0x3fffff, v2, v5
	v_cmp_ne_u32_e32 vcc_lo, 0, v3
	v_cmp_ne_u32_e64 s0, 0, v5
	v_lshrrev_b32_e32 v3, 23, v2
	s_and_b32 s0, vcc_lo, s0
	v_cndmask_b32_e64 v5, 0, 1, s0
	v_add_nc_u32_e32 v3, v3, v5
.LBB14_927:
	s_or_b32 exec_lo, exec_lo, s16
	s_mov_b32 s0, 0
	global_store_byte v[0:1], v3, off
.LBB14_928:
	s_mov_b32 s16, 0
.LBB14_929:
	s_and_b32 vcc_lo, exec_lo, s16
	s_cbranch_vccz .LBB14_932
; %bb.930:
	s_cmp_eq_u32 s15, 29
	s_mov_b32 s0, -1
	s_cbranch_scc0 .LBB14_932
; %bb.931:
	v_trunc_f32_e32 v3, v2
	s_mov_b32 s0, 0
	s_mov_b32 s16, 0
	v_mul_f32_e32 v5, 0x2f800000, v3
	v_floor_f32_e32 v5, v5
	v_fmamk_f32 v3, v5, 0xcf800000, v3
	v_cvt_u32_f32_e32 v6, v5
	v_cvt_u32_f32_e32 v5, v3
	global_store_dwordx2 v[0:1], v[5:6], off
	s_branch .LBB14_933
.LBB14_932:
	s_mov_b32 s16, 0
.LBB14_933:
	s_and_b32 vcc_lo, exec_lo, s16
	s_cbranch_vccz .LBB14_948
; %bb.934:
	s_cmp_lt_i32 s15, 27
	s_mov_b32 s16, -1
	s_cbranch_scc1 .LBB14_940
; %bb.935:
	v_cvt_u32_f32_e32 v3, v2
	s_cmp_gt_i32 s15, 27
	s_cbranch_scc0 .LBB14_937
; %bb.936:
	s_mov_b32 s16, 0
	global_store_dword v[0:1], v3, off
.LBB14_937:
	s_andn2_b32 vcc_lo, exec_lo, s16
	s_cbranch_vccnz .LBB14_939
; %bb.938:
	global_store_short v[0:1], v3, off
.LBB14_939:
	s_mov_b32 s16, 0
.LBB14_940:
	s_andn2_b32 vcc_lo, exec_lo, s16
	s_cbranch_vccnz .LBB14_948
; %bb.941:
	v_and_b32_e32 v3, 0x7fffffff, v4
	v_mov_b32_e32 v5, 0x80
	s_mov_b32 s16, exec_lo
	v_cmpx_gt_u32_e32 0x43800000, v3
	s_cbranch_execz .LBB14_947
; %bb.942:
	v_cmp_lt_u32_e32 vcc_lo, 0x3bffffff, v3
	s_mov_b32 s17, 0
                                        ; implicit-def: $vgpr3
	s_and_saveexec_b32 s18, vcc_lo
	s_xor_b32 s18, exec_lo, s18
	s_cbranch_execz .LBB14_1045
; %bb.943:
	v_bfe_u32 v3, v2, 20, 1
	s_mov_b32 s17, exec_lo
	v_add3_u32 v3, v2, v3, 0x487ffff
	v_lshrrev_b32_e32 v3, 20, v3
	s_andn2_saveexec_b32 s18, s18
	s_cbranch_execnz .LBB14_1046
.LBB14_944:
	s_or_b32 exec_lo, exec_lo, s18
	v_mov_b32_e32 v5, 0
	s_and_saveexec_b32 s18, s17
.LBB14_945:
	v_lshrrev_b32_e32 v5, 24, v2
	v_and_or_b32 v5, 0x80, v5, v3
.LBB14_946:
	s_or_b32 exec_lo, exec_lo, s18
.LBB14_947:
	s_or_b32 exec_lo, exec_lo, s16
	global_store_byte v[0:1], v5, off
.LBB14_948:
	s_mov_b32 s16, 0
.LBB14_949:
	s_and_b32 vcc_lo, exec_lo, s16
	s_mov_b32 s16, 0
	s_cbranch_vccz .LBB14_989
; %bb.950:
	s_cmp_gt_i32 s15, 22
	s_mov_b32 s17, -1
	s_cbranch_scc0 .LBB14_982
; %bb.951:
	s_cmp_lt_i32 s15, 24
	s_cbranch_scc1 .LBB14_971
; %bb.952:
	s_cmp_gt_i32 s15, 24
	s_cbranch_scc0 .LBB14_960
; %bb.953:
	v_and_b32_e32 v3, 0x7fffffff, v4
	v_mov_b32_e32 v5, 0x80
	s_mov_b32 s17, exec_lo
	v_cmpx_gt_u32_e32 0x47800000, v3
	s_cbranch_execz .LBB14_959
; %bb.954:
	v_cmp_lt_u32_e32 vcc_lo, 0x37ffffff, v3
	s_mov_b32 s18, 0
                                        ; implicit-def: $vgpr3
	s_and_saveexec_b32 s19, vcc_lo
	s_xor_b32 s19, exec_lo, s19
	s_cbranch_execz .LBB14_1171
; %bb.955:
	v_bfe_u32 v3, v2, 21, 1
	s_mov_b32 s18, exec_lo
	v_add3_u32 v3, v2, v3, 0x88fffff
	v_lshrrev_b32_e32 v3, 21, v3
	s_andn2_saveexec_b32 s19, s19
	s_cbranch_execnz .LBB14_1172
.LBB14_956:
	s_or_b32 exec_lo, exec_lo, s19
	v_mov_b32_e32 v5, 0
	s_and_saveexec_b32 s19, s18
.LBB14_957:
	v_lshrrev_b32_e32 v5, 24, v2
	v_and_or_b32 v5, 0x80, v5, v3
.LBB14_958:
	s_or_b32 exec_lo, exec_lo, s19
.LBB14_959:
	s_or_b32 exec_lo, exec_lo, s17
	s_mov_b32 s17, 0
	global_store_byte v[0:1], v5, off
.LBB14_960:
	s_and_b32 vcc_lo, exec_lo, s17
	s_cbranch_vccz .LBB14_970
; %bb.961:
	v_and_b32_e32 v5, 0x7fffffff, v4
	s_mov_b32 s17, exec_lo
                                        ; implicit-def: $vgpr3
	v_cmpx_gt_u32_e32 0x43f00000, v5
	s_xor_b32 s17, exec_lo, s17
	s_cbranch_execz .LBB14_967
; %bb.962:
	s_mov_b32 s18, exec_lo
                                        ; implicit-def: $vgpr3
	v_cmpx_lt_u32_e32 0x3c7fffff, v5
	s_xor_b32 s18, exec_lo, s18
; %bb.963:
	v_bfe_u32 v3, v2, 20, 1
	v_add3_u32 v3, v2, v3, 0x407ffff
	v_and_b32_e32 v5, 0xff00000, v3
	v_lshrrev_b32_e32 v3, 20, v3
	v_cmp_ne_u32_e32 vcc_lo, 0x7f00000, v5
	v_cndmask_b32_e32 v3, 0x7e, v3, vcc_lo
; %bb.964:
	s_andn2_saveexec_b32 s18, s18
; %bb.965:
	v_add_f32_e64 v3, 0x46800000, |v4|
; %bb.966:
	s_or_b32 exec_lo, exec_lo, s18
                                        ; implicit-def: $vgpr5
.LBB14_967:
	s_andn2_saveexec_b32 s17, s17
; %bb.968:
	v_mov_b32_e32 v3, 0x7f
	v_cmp_lt_u32_e32 vcc_lo, 0x7f800000, v5
	v_cndmask_b32_e32 v3, 0x7e, v3, vcc_lo
; %bb.969:
	s_or_b32 exec_lo, exec_lo, s17
	v_lshrrev_b32_e32 v5, 24, v2
	v_and_or_b32 v3, 0x80, v5, v3
	global_store_byte v[0:1], v3, off
.LBB14_970:
	s_mov_b32 s17, 0
.LBB14_971:
	s_andn2_b32 vcc_lo, exec_lo, s17
	s_cbranch_vccnz .LBB14_981
; %bb.972:
	v_and_b32_e32 v5, 0x7fffffff, v4
	s_mov_b32 s17, exec_lo
                                        ; implicit-def: $vgpr3
	v_cmpx_gt_u32_e32 0x47800000, v5
	s_xor_b32 s17, exec_lo, s17
	s_cbranch_execz .LBB14_978
; %bb.973:
	s_mov_b32 s18, exec_lo
                                        ; implicit-def: $vgpr3
	v_cmpx_lt_u32_e32 0x387fffff, v5
	s_xor_b32 s18, exec_lo, s18
; %bb.974:
	v_bfe_u32 v3, v2, 21, 1
                                        ; implicit-def: $vgpr4
	v_add3_u32 v3, v2, v3, 0x80fffff
	v_lshrrev_b32_e32 v3, 21, v3
; %bb.975:
	s_andn2_saveexec_b32 s18, s18
; %bb.976:
	v_add_f32_e64 v3, 0x43000000, |v4|
; %bb.977:
	s_or_b32 exec_lo, exec_lo, s18
                                        ; implicit-def: $vgpr5
.LBB14_978:
	s_andn2_saveexec_b32 s17, s17
; %bb.979:
	v_mov_b32_e32 v3, 0x7f
	v_cmp_lt_u32_e32 vcc_lo, 0x7f800000, v5
	v_cndmask_b32_e32 v3, 0x7c, v3, vcc_lo
; %bb.980:
	s_or_b32 exec_lo, exec_lo, s17
	v_lshrrev_b32_e32 v4, 24, v2
	v_and_or_b32 v3, 0x80, v4, v3
	global_store_byte v[0:1], v3, off
.LBB14_981:
	s_mov_b32 s17, 0
.LBB14_982:
	s_andn2_b32 vcc_lo, exec_lo, s17
	s_mov_b32 s17, 0
	s_cbranch_vccnz .LBB14_990
; %bb.983:
	s_cmp_gt_i32 s15, 14
	s_mov_b32 s17, -1
	s_cbranch_scc0 .LBB14_987
; %bb.984:
	s_cmp_eq_u32 s15, 15
	s_mov_b32 s0, -1
	s_cbranch_scc0 .LBB14_986
; %bb.985:
	v_bfe_u32 v3, v2, 16, 1
	v_cmp_o_f32_e32 vcc_lo, v2, v2
	v_mov_b32_e32 v4, 0x7fc0
	s_mov_b32 s0, 0
	v_add3_u32 v3, v2, v3, 0x7fff
	v_cndmask_b32_sdwa v3, v4, v3, vcc_lo dst_sel:DWORD dst_unused:UNUSED_PAD src0_sel:DWORD src1_sel:WORD_1
	global_store_short v[0:1], v3, off
.LBB14_986:
	s_mov_b32 s17, 0
.LBB14_987:
	s_and_b32 vcc_lo, exec_lo, s17
	s_mov_b32 s17, 0
	s_cbranch_vccz .LBB14_990
; %bb.988:
	s_cmp_lg_u32 s15, 11
	s_mov_b32 s17, -1
	s_cselect_b32 s15, -1, 0
	s_andn2_b32 s0, s0, exec_lo
	s_and_b32 s15, s15, exec_lo
	s_or_b32 s0, s0, s15
	s_branch .LBB14_990
.LBB14_989:
	s_mov_b32 s17, 0
.LBB14_990:
	s_andn2_b32 s7, s7, exec_lo
	s_and_b32 s0, s0, exec_lo
	s_and_b32 s15, s16, exec_lo
	;; [unrolled: 1-line block ×3, first 2 shown]
	s_or_b32 s7, s7, s0
	s_or_b32 exec_lo, exec_lo, s14
	s_and_saveexec_b32 s0, s7
	s_cbranch_execz .LBB14_919
.LBB14_991:
	s_or_b32 s12, s12, exec_lo
	s_andn2_b32 s16, s16, exec_lo
	s_trap 2
	s_or_b32 exec_lo, exec_lo, s0
	s_and_saveexec_b32 s0, s16
	s_xor_b32 s0, exec_lo, s0
	s_cbranch_execnz .LBB14_920
.LBB14_992:
	s_or_b32 exec_lo, exec_lo, s0
	s_and_saveexec_b32 s0, s15
	s_xor_b32 s0, exec_lo, s0
	s_cbranch_execz .LBB14_1030
.LBB14_993:
	s_sext_i32_i16 s14, s13
	s_mov_b32 s7, -1
	s_cmp_lt_i32 s14, 5
	s_cbranch_scc1 .LBB14_1014
; %bb.994:
	s_cmp_lt_i32 s14, 8
	s_cbranch_scc1 .LBB14_1004
; %bb.995:
	;; [unrolled: 3-line block ×3, first 2 shown]
	s_cmp_gt_i32 s14, 9
	s_cbranch_scc0 .LBB14_998
; %bb.997:
	s_waitcnt vmcnt(0)
	v_cvt_f64_f32_e32 v[3:4], v2
	v_mov_b32_e32 v5, 0
	s_mov_b32 s7, 0
	v_mov_b32_e32 v6, v5
	global_store_dwordx4 v[0:1], v[3:6], off
.LBB14_998:
	s_andn2_b32 vcc_lo, exec_lo, s7
	s_cbranch_vccnz .LBB14_1000
; %bb.999:
	s_waitcnt vmcnt(0)
	v_mov_b32_e32 v3, 0
	global_store_dwordx2 v[0:1], v[2:3], off
.LBB14_1000:
	s_mov_b32 s7, 0
.LBB14_1001:
	s_andn2_b32 vcc_lo, exec_lo, s7
	s_cbranch_vccnz .LBB14_1003
; %bb.1002:
	s_waitcnt vmcnt(0)
	v_cvt_f16_f32_e32 v3, v2
	v_and_b32_e32 v3, 0xffff, v3
	global_store_dword v[0:1], v3, off
.LBB14_1003:
	s_mov_b32 s7, 0
.LBB14_1004:
	s_andn2_b32 vcc_lo, exec_lo, s7
	s_cbranch_vccnz .LBB14_1013
; %bb.1005:
	s_sext_i32_i16 s14, s13
	s_mov_b32 s7, -1
	s_cmp_lt_i32 s14, 6
	s_cbranch_scc1 .LBB14_1011
; %bb.1006:
	s_cmp_gt_i32 s14, 6
	s_cbranch_scc0 .LBB14_1008
; %bb.1007:
	s_waitcnt vmcnt(0)
	v_cvt_f64_f32_e32 v[3:4], v2
	s_mov_b32 s7, 0
	global_store_dwordx2 v[0:1], v[3:4], off
.LBB14_1008:
	s_andn2_b32 vcc_lo, exec_lo, s7
	s_cbranch_vccnz .LBB14_1010
; %bb.1009:
	s_waitcnt vmcnt(0)
	global_store_dword v[0:1], v2, off
.LBB14_1010:
	s_mov_b32 s7, 0
.LBB14_1011:
	s_andn2_b32 vcc_lo, exec_lo, s7
	s_cbranch_vccnz .LBB14_1013
; %bb.1012:
	s_waitcnt vmcnt(0)
	v_cvt_f16_f32_e32 v3, v2
	global_store_short v[0:1], v3, off
.LBB14_1013:
	s_mov_b32 s7, 0
.LBB14_1014:
	s_andn2_b32 vcc_lo, exec_lo, s7
	s_cbranch_vccnz .LBB14_1030
; %bb.1015:
	s_sext_i32_i16 s14, s13
	s_mov_b32 s7, -1
	s_cmp_lt_i32 s14, 2
	s_cbranch_scc1 .LBB14_1025
; %bb.1016:
	s_cmp_lt_i32 s14, 3
	s_cbranch_scc1 .LBB14_1022
; %bb.1017:
	s_cmp_gt_i32 s14, 3
	s_cbranch_scc0 .LBB14_1019
; %bb.1018:
	s_waitcnt vmcnt(0)
	v_trunc_f32_e32 v3, v2
	s_mov_b32 s7, 0
	v_mul_f32_e64 v4, 0x2f800000, |v3|
	v_ashrrev_i32_e32 v6, 31, v3
	v_floor_f32_e32 v4, v4
	v_fma_f32 v5, 0xcf800000, v4, |v3|
	v_cvt_u32_f32_e32 v4, v4
	v_cvt_u32_f32_e32 v3, v5
	v_xor_b32_e32 v4, v4, v6
	v_xor_b32_e32 v3, v3, v6
	v_sub_co_u32 v3, vcc_lo, v3, v6
	v_sub_co_ci_u32_e64 v4, null, v4, v6, vcc_lo
	global_store_dwordx2 v[0:1], v[3:4], off
.LBB14_1019:
	s_andn2_b32 vcc_lo, exec_lo, s7
	s_cbranch_vccnz .LBB14_1021
; %bb.1020:
	s_waitcnt vmcnt(0)
	v_cvt_i32_f32_e32 v3, v2
	global_store_dword v[0:1], v3, off
.LBB14_1021:
	s_mov_b32 s7, 0
.LBB14_1022:
	s_andn2_b32 vcc_lo, exec_lo, s7
	s_cbranch_vccnz .LBB14_1024
; %bb.1023:
	s_waitcnt vmcnt(0)
	v_cvt_i32_f32_e32 v3, v2
	global_store_short v[0:1], v3, off
.LBB14_1024:
	s_mov_b32 s7, 0
.LBB14_1025:
	s_andn2_b32 vcc_lo, exec_lo, s7
	s_cbranch_vccnz .LBB14_1030
; %bb.1026:
	s_sext_i32_i16 s7, s13
	s_cmp_gt_i32 s7, 0
	s_mov_b32 s7, -1
	s_cbranch_scc0 .LBB14_1028
; %bb.1027:
	s_waitcnt vmcnt(0)
	v_cvt_i32_f32_e32 v3, v2
	s_mov_b32 s7, 0
	global_store_byte v[0:1], v3, off
.LBB14_1028:
	s_andn2_b32 vcc_lo, exec_lo, s7
	s_cbranch_vccnz .LBB14_1030
; %bb.1029:
	s_waitcnt vmcnt(0)
	v_trunc_f32_e32 v2, v2
	v_mul_f32_e64 v3, 0x2f800000, |v2|
	v_floor_f32_e32 v3, v3
	v_fma_f32 v3, 0xcf800000, v3, |v2|
	v_ashrrev_i32_e32 v2, 31, v2
	v_cvt_u32_f32_e32 v3, v3
	v_xor_b32_e32 v3, v3, v2
	v_sub_nc_u32_e32 v2, v3, v2
	global_store_byte v[0:1], v2, off
.LBB14_1030:
	s_or_b32 exec_lo, exec_lo, s0
	s_and_b32 s7, s12, exec_lo
                                        ; implicit-def: $vgpr4
.LBB14_1031:
	s_or_saveexec_b32 s6, s6
	s_mov_b32 s0, 0
                                        ; implicit-def: $sgpr12
                                        ; implicit-def: $vgpr0_vgpr1
                                        ; implicit-def: $vgpr2
	s_xor_b32 exec_lo, exec_lo, s6
	s_cbranch_execz .LBB14_1983
; %bb.1032:
	s_waitcnt vmcnt(0)
	v_mul_lo_u32 v3, s3, v4
	s_and_b32 s0, 0xffff, s5
	s_cmp_lt_i32 s0, 11
	v_ashrrev_i32_e32 v1, 31, v3
	v_add_co_u32 v0, vcc_lo, s10, v3
	v_add_co_ci_u32_e64 v1, null, s11, v1, vcc_lo
	s_cbranch_scc1 .LBB14_1039
; %bb.1033:
	s_cmp_gt_i32 s0, 25
	s_mov_b32 s5, 0
	s_cbranch_scc0 .LBB14_1041
; %bb.1034:
	s_cmp_gt_i32 s0, 28
	s_cbranch_scc0 .LBB14_1042
; %bb.1035:
	s_cmp_gt_i32 s0, 43
	;; [unrolled: 3-line block ×3, first 2 shown]
	s_cbranch_scc0 .LBB14_1044
; %bb.1037:
	s_cmp_eq_u32 s0, 46
	s_mov_b32 s13, 0
	s_cbranch_scc0 .LBB14_1047
; %bb.1038:
	global_load_dword v2, v[0:1], off
	s_mov_b32 s12, -1
	s_waitcnt vmcnt(0)
	v_lshlrev_b32_e32 v2, 16, v2
	s_branch .LBB14_1049
.LBB14_1039:
	s_mov_b32 s12, 0
	s_mov_b32 s4, s7
                                        ; implicit-def: $vgpr2
	s_cbranch_execnz .LBB14_1112
.LBB14_1040:
	s_andn2_b32 vcc_lo, exec_lo, s12
	s_cbranch_vccz .LBB14_1157
	s_branch .LBB14_1981
.LBB14_1041:
	s_mov_b32 s12, 0
                                        ; implicit-def: $vgpr2
	s_cbranch_execnz .LBB14_1077
	s_branch .LBB14_1108
.LBB14_1042:
	s_mov_b32 s13, -1
	s_mov_b32 s12, 0
                                        ; implicit-def: $vgpr2
	s_branch .LBB14_1058
.LBB14_1043:
	s_mov_b32 s12, 0
                                        ; implicit-def: $vgpr2
	s_cbranch_execnz .LBB14_1054
	s_branch .LBB14_1057
.LBB14_1044:
	s_mov_b32 s13, -1
	s_branch .LBB14_1048
.LBB14_1045:
	s_andn2_saveexec_b32 s18, s18
	s_cbranch_execz .LBB14_944
.LBB14_1046:
	v_add_f32_e64 v3, 0x46000000, |v4|
	s_andn2_b32 s17, s17, exec_lo
	v_and_b32_e32 v3, 0xff, v3
	v_cmp_ne_u32_e32 vcc_lo, 0, v3
	s_and_b32 s19, vcc_lo, exec_lo
	s_or_b32 s17, s17, s19
	s_or_b32 exec_lo, exec_lo, s18
	v_mov_b32_e32 v5, 0
	s_and_saveexec_b32 s18, s17
	s_cbranch_execnz .LBB14_945
	s_branch .LBB14_946
.LBB14_1047:
	s_mov_b32 s4, -1
.LBB14_1048:
	s_mov_b32 s12, 0
                                        ; implicit-def: $vgpr2
.LBB14_1049:
	s_and_b32 vcc_lo, exec_lo, s13
	s_cbranch_vccz .LBB14_1052
; %bb.1050:
	s_cmp_eq_u32 s0, 44
	s_cbranch_scc0 .LBB14_1053
; %bb.1051:
	global_load_ubyte v2, v[0:1], off
	s_mov_b32 s4, 0
	s_mov_b32 s12, -1
	s_waitcnt vmcnt(0)
	v_lshlrev_b32_e32 v5, 23, v2
	v_cmp_ne_u32_e32 vcc_lo, 0xff, v2
	v_cndmask_b32_e32 v5, 0x7f800001, v5, vcc_lo
	v_cmp_ne_u32_e32 vcc_lo, 0, v2
	v_cndmask_b32_e32 v2, 0x400000, v5, vcc_lo
.LBB14_1052:
	s_branch .LBB14_1057
.LBB14_1053:
	s_mov_b32 s4, -1
                                        ; implicit-def: $vgpr2
	s_branch .LBB14_1057
.LBB14_1054:
	s_cmp_eq_u32 s0, 29
	s_cbranch_scc0 .LBB14_1056
; %bb.1055:
	global_load_dwordx2 v[5:6], v[0:1], off
	s_mov_b32 s4, 0
	s_mov_b32 s12, -1
	s_mov_b32 s13, 0
	s_waitcnt vmcnt(0)
	v_ffbh_u32_e32 v2, v6
	v_min_u32_e32 v2, 32, v2
	v_lshlrev_b64 v[5:6], v2, v[5:6]
	v_sub_nc_u32_e32 v2, 32, v2
	v_min_u32_e32 v5, 1, v5
	v_or_b32_e32 v5, v6, v5
	v_cvt_f32_u32_e32 v5, v5
	v_ldexp_f32 v2, v5, v2
	s_branch .LBB14_1058
.LBB14_1056:
	s_mov_b32 s4, -1
                                        ; implicit-def: $vgpr2
.LBB14_1057:
	s_mov_b32 s13, 0
.LBB14_1058:
	s_and_b32 vcc_lo, exec_lo, s13
	s_cbranch_vccz .LBB14_1076
; %bb.1059:
	s_cmp_lt_i32 s0, 27
	s_cbranch_scc1 .LBB14_1062
; %bb.1060:
	s_cmp_gt_i32 s0, 27
	s_cbranch_scc0 .LBB14_1063
; %bb.1061:
	global_load_dword v2, v[0:1], off
	s_mov_b32 s12, 0
	s_waitcnt vmcnt(0)
	v_cvt_f32_u32_e32 v2, v2
	s_branch .LBB14_1064
.LBB14_1062:
	s_mov_b32 s12, -1
                                        ; implicit-def: $vgpr2
	s_branch .LBB14_1067
.LBB14_1063:
	s_mov_b32 s12, -1
                                        ; implicit-def: $vgpr2
.LBB14_1064:
	s_andn2_b32 vcc_lo, exec_lo, s12
	s_cbranch_vccnz .LBB14_1066
; %bb.1065:
	global_load_ushort v2, v[0:1], off
	s_waitcnt vmcnt(0)
	v_cvt_f32_u32_e32 v2, v2
.LBB14_1066:
	s_mov_b32 s12, 0
.LBB14_1067:
	s_andn2_b32 vcc_lo, exec_lo, s12
	s_cbranch_vccnz .LBB14_1075
; %bb.1068:
	global_load_ubyte v5, v[0:1], off
	s_mov_b32 s12, 0
	s_mov_b32 s13, exec_lo
	s_waitcnt vmcnt(0)
	v_cmpx_lt_i16_e32 0x7f, v5
	s_xor_b32 s13, exec_lo, s13
	s_cbranch_execz .LBB14_1088
; %bb.1069:
	s_mov_b32 s12, -1
	s_mov_b32 s14, exec_lo
	v_cmpx_eq_u16_e32 0x80, v5
; %bb.1070:
	s_xor_b32 s12, exec_lo, -1
; %bb.1071:
	s_or_b32 exec_lo, exec_lo, s14
	s_and_b32 s12, s12, exec_lo
	s_or_saveexec_b32 s13, s13
	v_mov_b32_e32 v2, 0x7f800001
	s_xor_b32 exec_lo, exec_lo, s13
	s_cbranch_execnz .LBB14_1089
.LBB14_1072:
	s_or_b32 exec_lo, exec_lo, s13
	s_and_saveexec_b32 s13, s12
	s_cbranch_execz .LBB14_1074
.LBB14_1073:
	v_and_b32_e32 v2, 0xffff, v5
	v_lshlrev_b32_e32 v5, 24, v5
	v_and_b32_e32 v6, 7, v2
	v_bfe_u32 v9, v2, 3, 4
	v_and_b32_e32 v5, 0x80000000, v5
	v_ffbh_u32_e32 v7, v6
	v_cmp_eq_u32_e32 vcc_lo, 0, v9
	v_min_u32_e32 v7, 32, v7
	v_subrev_nc_u32_e32 v8, 28, v7
	v_sub_nc_u32_e32 v7, 29, v7
	v_lshlrev_b32_e32 v2, v8, v2
	v_cndmask_b32_e32 v7, v9, v7, vcc_lo
	v_and_b32_e32 v2, 7, v2
	v_cndmask_b32_e32 v2, v6, v2, vcc_lo
	v_lshl_add_u32 v6, v7, 23, 0x3b800000
	v_lshlrev_b32_e32 v2, 20, v2
	v_or3_b32 v2, v5, v6, v2
.LBB14_1074:
	s_or_b32 exec_lo, exec_lo, s13
.LBB14_1075:
	s_mov_b32 s12, -1
.LBB14_1076:
	s_branch .LBB14_1108
.LBB14_1077:
	s_cmp_gt_i32 s0, 22
	s_cbranch_scc0 .LBB14_1087
; %bb.1078:
	s_cmp_lt_i32 s0, 24
	s_cbranch_scc1 .LBB14_1090
; %bb.1079:
	s_cmp_gt_i32 s0, 24
	s_cbranch_scc0 .LBB14_1091
; %bb.1080:
	global_load_ubyte v5, v[0:1], off
	s_mov_b32 s12, exec_lo
	s_waitcnt vmcnt(0)
	v_cmpx_lt_i16_e32 0x7f, v5
	s_xor_b32 s12, exec_lo, s12
	s_cbranch_execz .LBB14_1102
; %bb.1081:
	s_mov_b32 s5, -1
	s_mov_b32 s13, exec_lo
	v_cmpx_eq_u16_e32 0x80, v5
; %bb.1082:
	s_xor_b32 s5, exec_lo, -1
; %bb.1083:
	s_or_b32 exec_lo, exec_lo, s13
	s_and_b32 s5, s5, exec_lo
	s_or_saveexec_b32 s12, s12
	v_mov_b32_e32 v2, 0x7f800001
	s_xor_b32 exec_lo, exec_lo, s12
	s_cbranch_execnz .LBB14_1103
.LBB14_1084:
	s_or_b32 exec_lo, exec_lo, s12
	s_and_saveexec_b32 s12, s5
	s_cbranch_execz .LBB14_1086
.LBB14_1085:
	v_and_b32_e32 v2, 0xffff, v5
	v_lshlrev_b32_e32 v5, 24, v5
	v_and_b32_e32 v6, 3, v2
	v_bfe_u32 v9, v2, 2, 5
	v_and_b32_e32 v5, 0x80000000, v5
	v_ffbh_u32_e32 v7, v6
	v_cmp_eq_u32_e32 vcc_lo, 0, v9
	v_min_u32_e32 v7, 32, v7
	v_subrev_nc_u32_e32 v8, 29, v7
	v_sub_nc_u32_e32 v7, 30, v7
	v_lshlrev_b32_e32 v2, v8, v2
	v_cndmask_b32_e32 v7, v9, v7, vcc_lo
	v_and_b32_e32 v2, 3, v2
	v_cndmask_b32_e32 v2, v6, v2, vcc_lo
	v_lshl_add_u32 v6, v7, 23, 0x37800000
	v_lshlrev_b32_e32 v2, 21, v2
	v_or3_b32 v2, v5, v6, v2
.LBB14_1086:
	s_or_b32 exec_lo, exec_lo, s12
	s_mov_b32 s5, 0
	s_branch .LBB14_1092
.LBB14_1087:
                                        ; implicit-def: $vgpr2
	s_mov_b32 s5, 0
	s_branch .LBB14_1098
.LBB14_1088:
	s_or_saveexec_b32 s13, s13
	v_mov_b32_e32 v2, 0x7f800001
	s_xor_b32 exec_lo, exec_lo, s13
	s_cbranch_execz .LBB14_1072
.LBB14_1089:
	v_cmp_ne_u16_e32 vcc_lo, 0, v5
	v_mov_b32_e32 v2, 0
	s_andn2_b32 s12, s12, exec_lo
	s_and_b32 s14, vcc_lo, exec_lo
	s_or_b32 s12, s12, s14
	s_or_b32 exec_lo, exec_lo, s13
	s_and_saveexec_b32 s13, s12
	s_cbranch_execnz .LBB14_1073
	s_branch .LBB14_1074
.LBB14_1090:
	s_mov_b32 s5, -1
                                        ; implicit-def: $vgpr2
	s_branch .LBB14_1095
.LBB14_1091:
	s_mov_b32 s5, -1
                                        ; implicit-def: $vgpr2
.LBB14_1092:
	s_and_b32 vcc_lo, exec_lo, s5
	s_cbranch_vccz .LBB14_1094
; %bb.1093:
	global_load_ubyte v2, v[0:1], off
	s_waitcnt vmcnt(0)
	v_lshlrev_b32_e32 v2, 24, v2
	v_and_b32_e32 v5, 0x7f000000, v2
	v_ffbh_u32_e32 v6, v5
	v_add_nc_u32_e32 v8, 0x1000000, v5
	v_cmp_ne_u32_e32 vcc_lo, 0, v5
	v_min_u32_e32 v6, 32, v6
	v_sub_nc_u32_e64 v6, v6, 4 clamp
	v_lshlrev_b32_e32 v7, v6, v5
	v_lshlrev_b32_e32 v6, 23, v6
	v_lshrrev_b32_e32 v7, 4, v7
	v_sub_nc_u32_e32 v6, v7, v6
	v_ashrrev_i32_e32 v7, 8, v8
	v_add_nc_u32_e32 v6, 0x3c000000, v6
	v_and_or_b32 v6, 0x7f800000, v7, v6
	v_cndmask_b32_e32 v5, 0, v6, vcc_lo
	v_and_or_b32 v2, 0x80000000, v2, v5
.LBB14_1094:
	s_mov_b32 s5, 0
.LBB14_1095:
	s_andn2_b32 vcc_lo, exec_lo, s5
	s_cbranch_vccnz .LBB14_1097
; %bb.1096:
	global_load_ubyte v2, v[0:1], off
	s_waitcnt vmcnt(0)
	v_lshlrev_b32_e32 v5, 25, v2
	v_lshlrev_b16 v2, 8, v2
	v_lshrrev_b32_e32 v6, 4, v5
	v_and_or_b32 v7, 0x7f00, v2, 0.5
	v_cmp_gt_u32_e32 vcc_lo, 0x8000000, v5
	v_bfe_i32 v2, v2, 0, 16
	v_or_b32_e32 v6, 0x70000000, v6
	v_add_f32_e32 v7, -0.5, v7
	v_mul_f32_e32 v6, 0x7800000, v6
	v_cndmask_b32_e32 v5, v6, v7, vcc_lo
	v_and_or_b32 v2, 0x80000000, v2, v5
.LBB14_1097:
	s_mov_b32 s12, -1
	s_mov_b32 s5, 0
	s_cbranch_execnz .LBB14_1108
.LBB14_1098:
	s_cmp_gt_i32 s0, 14
	s_cbranch_scc0 .LBB14_1101
; %bb.1099:
	s_cmp_eq_u32 s0, 15
	s_cbranch_scc0 .LBB14_1104
; %bb.1100:
	global_load_ushort v2, v[0:1], off
	s_mov_b32 s4, 0
	s_mov_b32 s12, -1
	s_waitcnt vmcnt(0)
	v_lshlrev_b32_e32 v2, 16, v2
	s_branch .LBB14_1106
.LBB14_1101:
	s_mov_b32 s5, -1
	s_branch .LBB14_1105
.LBB14_1102:
	s_or_saveexec_b32 s12, s12
	v_mov_b32_e32 v2, 0x7f800001
	s_xor_b32 exec_lo, exec_lo, s12
	s_cbranch_execz .LBB14_1084
.LBB14_1103:
	v_cmp_ne_u16_e32 vcc_lo, 0, v5
	v_mov_b32_e32 v2, 0
	s_andn2_b32 s5, s5, exec_lo
	s_and_b32 s13, vcc_lo, exec_lo
	s_or_b32 s5, s5, s13
	s_or_b32 exec_lo, exec_lo, s12
	s_and_saveexec_b32 s12, s5
	s_cbranch_execnz .LBB14_1085
	s_branch .LBB14_1086
.LBB14_1104:
	s_mov_b32 s4, -1
.LBB14_1105:
                                        ; implicit-def: $vgpr2
.LBB14_1106:
	s_and_b32 vcc_lo, exec_lo, s5
	s_mov_b32 s5, 0
	s_cbranch_vccz .LBB14_1108
; %bb.1107:
	s_cmp_lg_u32 s0, 11
	s_mov_b32 s5, -1
	s_cselect_b32 s4, -1, 0
.LBB14_1108:
	s_and_b32 vcc_lo, exec_lo, s4
	s_mov_b32 s4, s7
	s_cbranch_vccnz .LBB14_1169
; %bb.1109:
	s_andn2_b32 vcc_lo, exec_lo, s5
	s_cbranch_vccnz .LBB14_1111
.LBB14_1110:
	global_load_ubyte v2, v[0:1], off
	s_mov_b32 s12, -1
	s_waitcnt vmcnt(0)
	v_cmp_ne_u16_e32 vcc_lo, 0, v2
	v_cndmask_b32_e64 v2, 0, 1.0, vcc_lo
.LBB14_1111:
	s_branch .LBB14_1040
.LBB14_1112:
	s_cmp_lt_i32 s0, 5
	s_cbranch_scc1 .LBB14_1117
; %bb.1113:
	s_cmp_lt_i32 s0, 8
	s_cbranch_scc1 .LBB14_1118
; %bb.1114:
	;; [unrolled: 3-line block ×3, first 2 shown]
	s_cmp_gt_i32 s0, 9
	s_cbranch_scc0 .LBB14_1120
; %bb.1116:
	global_load_dwordx2 v[5:6], v[0:1], off
	s_mov_b32 s5, 0
	s_waitcnt vmcnt(0)
	v_cvt_f32_f64_e32 v2, v[5:6]
	s_branch .LBB14_1121
.LBB14_1117:
                                        ; implicit-def: $vgpr2
	s_branch .LBB14_1138
.LBB14_1118:
                                        ; implicit-def: $vgpr2
	s_branch .LBB14_1127
.LBB14_1119:
	s_mov_b32 s5, -1
                                        ; implicit-def: $vgpr2
	s_branch .LBB14_1124
.LBB14_1120:
	s_mov_b32 s5, -1
                                        ; implicit-def: $vgpr2
.LBB14_1121:
	s_andn2_b32 vcc_lo, exec_lo, s5
	s_cbranch_vccnz .LBB14_1123
; %bb.1122:
	global_load_dword v2, v[0:1], off
.LBB14_1123:
	s_mov_b32 s5, 0
.LBB14_1124:
	s_andn2_b32 vcc_lo, exec_lo, s5
	s_cbranch_vccnz .LBB14_1126
; %bb.1125:
	global_load_dword v2, v[0:1], off
	s_waitcnt vmcnt(0)
	v_cvt_f32_f16_e32 v2, v2
.LBB14_1126:
	s_cbranch_execnz .LBB14_1137
.LBB14_1127:
	s_cmp_lt_i32 s0, 6
	s_cbranch_scc1 .LBB14_1130
; %bb.1128:
	s_cmp_gt_i32 s0, 6
	s_cbranch_scc0 .LBB14_1131
; %bb.1129:
	global_load_dwordx2 v[5:6], v[0:1], off
	s_mov_b32 s5, 0
	s_waitcnt vmcnt(0)
	v_cvt_f32_f64_e32 v2, v[5:6]
	s_branch .LBB14_1132
.LBB14_1130:
	s_mov_b32 s5, -1
                                        ; implicit-def: $vgpr2
	s_branch .LBB14_1135
.LBB14_1131:
	s_mov_b32 s5, -1
                                        ; implicit-def: $vgpr2
.LBB14_1132:
	s_andn2_b32 vcc_lo, exec_lo, s5
	s_cbranch_vccnz .LBB14_1134
; %bb.1133:
	global_load_dword v2, v[0:1], off
.LBB14_1134:
	s_mov_b32 s5, 0
.LBB14_1135:
	s_andn2_b32 vcc_lo, exec_lo, s5
	s_cbranch_vccnz .LBB14_1137
; %bb.1136:
	global_load_ushort v2, v[0:1], off
	s_waitcnt vmcnt(0)
	v_cvt_f32_f16_e32 v2, v2
.LBB14_1137:
	s_cbranch_execnz .LBB14_1156
.LBB14_1138:
	s_cmp_lt_i32 s0, 2
	s_cbranch_scc1 .LBB14_1142
; %bb.1139:
	s_cmp_lt_i32 s0, 3
	s_cbranch_scc1 .LBB14_1143
; %bb.1140:
	s_cmp_gt_i32 s0, 3
	s_cbranch_scc0 .LBB14_1144
; %bb.1141:
	global_load_dwordx2 v[5:6], v[0:1], off
	s_mov_b32 s5, 0
	s_waitcnt vmcnt(0)
	v_xor_b32_e32 v2, v5, v6
	v_ffbh_i32_e32 v7, v6
	v_ashrrev_i32_e32 v2, 31, v2
	v_add_nc_u32_e32 v7, -1, v7
	v_add_nc_u32_e32 v2, 32, v2
	v_min_u32_e32 v2, v7, v2
	v_lshlrev_b64 v[5:6], v2, v[5:6]
	v_sub_nc_u32_e32 v2, 32, v2
	v_min_u32_e32 v5, 1, v5
	v_or_b32_e32 v5, v6, v5
	v_cvt_f32_i32_e32 v5, v5
	v_ldexp_f32 v2, v5, v2
	s_branch .LBB14_1145
.LBB14_1142:
                                        ; implicit-def: $vgpr2
	s_branch .LBB14_1151
.LBB14_1143:
	s_mov_b32 s5, -1
                                        ; implicit-def: $vgpr2
	s_branch .LBB14_1148
.LBB14_1144:
	s_mov_b32 s5, -1
                                        ; implicit-def: $vgpr2
.LBB14_1145:
	s_andn2_b32 vcc_lo, exec_lo, s5
	s_cbranch_vccnz .LBB14_1147
; %bb.1146:
	global_load_dword v2, v[0:1], off
	s_waitcnt vmcnt(0)
	v_cvt_f32_i32_e32 v2, v2
.LBB14_1147:
	s_mov_b32 s5, 0
.LBB14_1148:
	s_andn2_b32 vcc_lo, exec_lo, s5
	s_cbranch_vccnz .LBB14_1150
; %bb.1149:
	global_load_sshort v2, v[0:1], off
	s_waitcnt vmcnt(0)
	v_cvt_f32_i32_e32 v2, v2
.LBB14_1150:
	s_cbranch_execnz .LBB14_1156
.LBB14_1151:
	s_cmp_gt_i32 s0, 0
	s_mov_b32 s5, 0
	s_cbranch_scc0 .LBB14_1153
; %bb.1152:
	global_load_sbyte v2, v[0:1], off
	s_waitcnt vmcnt(0)
	v_cvt_f32_i32_e32 v2, v2
	s_branch .LBB14_1154
.LBB14_1153:
	s_mov_b32 s5, -1
                                        ; implicit-def: $vgpr2
.LBB14_1154:
	s_andn2_b32 vcc_lo, exec_lo, s5
	s_cbranch_vccnz .LBB14_1156
; %bb.1155:
	global_load_ubyte v0, v[0:1], off
	s_waitcnt vmcnt(0)
	v_cvt_f32_ubyte0_e32 v2, v0
.LBB14_1156:
.LBB14_1157:
	s_lshl_b32 s3, s3, 7
	s_cmp_lt_i32 s0, 11
	v_add_nc_u32_e32 v3, s3, v3
	v_ashrrev_i32_e32 v1, 31, v3
	v_add_co_u32 v0, vcc_lo, s10, v3
	v_add_co_ci_u32_e64 v1, null, s11, v1, vcc_lo
	s_cbranch_scc1 .LBB14_1164
; %bb.1158:
	s_cmp_gt_i32 s0, 25
	s_mov_b32 s12, 0
	s_cbranch_scc0 .LBB14_1166
; %bb.1159:
	s_cmp_gt_i32 s0, 28
	s_cbranch_scc0 .LBB14_1167
; %bb.1160:
	s_cmp_gt_i32 s0, 43
	;; [unrolled: 3-line block ×3, first 2 shown]
	s_cbranch_scc0 .LBB14_1170
; %bb.1162:
	s_cmp_eq_u32 s0, 46
	s_mov_b32 s14, 0
	s_cbranch_scc0 .LBB14_1173
; %bb.1163:
	global_load_dword v5, v[0:1], off
	s_mov_b32 s5, 0
	s_mov_b32 s13, -1
	s_waitcnt vmcnt(0)
	v_lshlrev_b32_e32 v7, 16, v5
	s_branch .LBB14_1175
.LBB14_1164:
	s_mov_b32 s13, 0
                                        ; implicit-def: $vgpr7
	s_cbranch_execnz .LBB14_1240
.LBB14_1165:
	s_andn2_b32 vcc_lo, exec_lo, s13
	s_cbranch_vccnz .LBB14_1981
	s_branch .LBB14_1287
.LBB14_1166:
	s_mov_b32 s13, 0
	s_mov_b32 s5, 0
                                        ; implicit-def: $vgpr7
	s_cbranch_execnz .LBB14_1204
	s_branch .LBB14_1236
.LBB14_1167:
	s_mov_b32 s14, -1
	s_mov_b32 s13, 0
	s_mov_b32 s5, 0
                                        ; implicit-def: $vgpr7
	s_branch .LBB14_1185
.LBB14_1168:
	s_mov_b32 s14, -1
	s_mov_b32 s13, 0
	s_mov_b32 s5, 0
                                        ; implicit-def: $vgpr7
	s_branch .LBB14_1180
.LBB14_1169:
	s_or_b32 s4, s7, exec_lo
	s_trap 2
	s_cbranch_execz .LBB14_1110
	s_branch .LBB14_1111
.LBB14_1170:
	s_mov_b32 s14, -1
	s_mov_b32 s13, 0
	s_mov_b32 s5, 0
	s_branch .LBB14_1174
.LBB14_1171:
	s_andn2_saveexec_b32 s19, s19
	s_cbranch_execz .LBB14_956
.LBB14_1172:
	v_add_f32_e64 v3, 0x42800000, |v4|
	s_andn2_b32 s18, s18, exec_lo
	v_and_b32_e32 v3, 0xff, v3
	v_cmp_ne_u32_e32 vcc_lo, 0, v3
	s_and_b32 s20, vcc_lo, exec_lo
	s_or_b32 s18, s18, s20
	s_or_b32 exec_lo, exec_lo, s19
	v_mov_b32_e32 v5, 0
	s_and_saveexec_b32 s19, s18
	s_cbranch_execnz .LBB14_957
	s_branch .LBB14_958
.LBB14_1173:
	s_mov_b32 s5, -1
	s_mov_b32 s13, 0
.LBB14_1174:
                                        ; implicit-def: $vgpr7
.LBB14_1175:
	s_and_b32 vcc_lo, exec_lo, s14
	s_cbranch_vccz .LBB14_1179
; %bb.1176:
	s_cmp_eq_u32 s0, 44
	s_cbranch_scc0 .LBB14_1178
; %bb.1177:
	global_load_ubyte v5, v[0:1], off
	s_mov_b32 s5, 0
	s_mov_b32 s13, -1
	s_waitcnt vmcnt(0)
	v_lshlrev_b32_e32 v6, 23, v5
	v_cmp_ne_u32_e32 vcc_lo, 0xff, v5
	v_cndmask_b32_e32 v6, 0x7f800001, v6, vcc_lo
	v_cmp_ne_u32_e32 vcc_lo, 0, v5
	v_cndmask_b32_e32 v7, 0x400000, v6, vcc_lo
	s_branch .LBB14_1179
.LBB14_1178:
	s_mov_b32 s5, -1
                                        ; implicit-def: $vgpr7
.LBB14_1179:
	s_mov_b32 s14, 0
.LBB14_1180:
	s_and_b32 vcc_lo, exec_lo, s14
	s_cbranch_vccz .LBB14_1184
; %bb.1181:
	s_cmp_eq_u32 s0, 29
	s_cbranch_scc0 .LBB14_1183
; %bb.1182:
	global_load_dwordx2 v[5:6], v[0:1], off
	s_mov_b32 s5, 0
	s_mov_b32 s13, -1
	s_mov_b32 s14, 0
	s_waitcnt vmcnt(0)
	v_ffbh_u32_e32 v7, v6
	v_min_u32_e32 v7, 32, v7
	v_lshlrev_b64 v[5:6], v7, v[5:6]
	v_min_u32_e32 v5, 1, v5
	v_or_b32_e32 v5, v6, v5
	v_sub_nc_u32_e32 v6, 32, v7
	v_cvt_f32_u32_e32 v5, v5
	v_ldexp_f32 v7, v5, v6
	s_branch .LBB14_1185
.LBB14_1183:
	s_mov_b32 s5, -1
                                        ; implicit-def: $vgpr7
.LBB14_1184:
	s_mov_b32 s14, 0
.LBB14_1185:
	s_and_b32 vcc_lo, exec_lo, s14
	s_cbranch_vccz .LBB14_1203
; %bb.1186:
	s_cmp_lt_i32 s0, 27
	s_cbranch_scc1 .LBB14_1189
; %bb.1187:
	s_cmp_gt_i32 s0, 27
	s_cbranch_scc0 .LBB14_1190
; %bb.1188:
	global_load_dword v5, v[0:1], off
	s_mov_b32 s13, 0
	s_waitcnt vmcnt(0)
	v_cvt_f32_u32_e32 v7, v5
	s_branch .LBB14_1191
.LBB14_1189:
	s_mov_b32 s13, -1
                                        ; implicit-def: $vgpr7
	s_branch .LBB14_1194
.LBB14_1190:
	s_mov_b32 s13, -1
                                        ; implicit-def: $vgpr7
.LBB14_1191:
	s_andn2_b32 vcc_lo, exec_lo, s13
	s_cbranch_vccnz .LBB14_1193
; %bb.1192:
	global_load_ushort v5, v[0:1], off
	s_waitcnt vmcnt(0)
	v_cvt_f32_u32_e32 v7, v5
.LBB14_1193:
	s_mov_b32 s13, 0
.LBB14_1194:
	s_andn2_b32 vcc_lo, exec_lo, s13
	s_cbranch_vccnz .LBB14_1202
; %bb.1195:
	global_load_ubyte v5, v[0:1], off
	s_mov_b32 s13, 0
	s_mov_b32 s14, exec_lo
	s_waitcnt vmcnt(0)
	v_cmpx_lt_i16_e32 0x7f, v5
	s_xor_b32 s14, exec_lo, s14
	s_cbranch_execz .LBB14_1215
; %bb.1196:
	s_mov_b32 s13, -1
	s_mov_b32 s15, exec_lo
	v_cmpx_eq_u16_e32 0x80, v5
; %bb.1197:
	s_xor_b32 s13, exec_lo, -1
; %bb.1198:
	s_or_b32 exec_lo, exec_lo, s15
	s_and_b32 s13, s13, exec_lo
	s_or_saveexec_b32 s14, s14
	v_mov_b32_e32 v7, 0x7f800001
	s_xor_b32 exec_lo, exec_lo, s14
	s_cbranch_execnz .LBB14_1216
.LBB14_1199:
	s_or_b32 exec_lo, exec_lo, s14
	s_and_saveexec_b32 s14, s13
	s_cbranch_execz .LBB14_1201
.LBB14_1200:
	v_and_b32_e32 v6, 0xffff, v5
	v_lshlrev_b32_e32 v5, 24, v5
	v_and_b32_e32 v7, 7, v6
	v_bfe_u32 v10, v6, 3, 4
	v_and_b32_e32 v5, 0x80000000, v5
	v_ffbh_u32_e32 v8, v7
	v_cmp_eq_u32_e32 vcc_lo, 0, v10
	v_min_u32_e32 v8, 32, v8
	v_subrev_nc_u32_e32 v9, 28, v8
	v_sub_nc_u32_e32 v8, 29, v8
	v_lshlrev_b32_e32 v6, v9, v6
	v_cndmask_b32_e32 v8, v10, v8, vcc_lo
	v_and_b32_e32 v6, 7, v6
	v_cndmask_b32_e32 v6, v7, v6, vcc_lo
	v_lshl_add_u32 v7, v8, 23, 0x3b800000
	v_lshlrev_b32_e32 v6, 20, v6
	v_or3_b32 v7, v5, v7, v6
.LBB14_1201:
	s_or_b32 exec_lo, exec_lo, s14
.LBB14_1202:
	s_mov_b32 s13, -1
.LBB14_1203:
	s_branch .LBB14_1236
.LBB14_1204:
	s_cmp_gt_i32 s0, 22
	s_cbranch_scc0 .LBB14_1214
; %bb.1205:
	s_cmp_lt_i32 s0, 24
	s_cbranch_scc1 .LBB14_1217
; %bb.1206:
	s_cmp_gt_i32 s0, 24
	s_cbranch_scc0 .LBB14_1218
; %bb.1207:
	global_load_ubyte v5, v[0:1], off
	s_mov_b32 s13, exec_lo
	s_waitcnt vmcnt(0)
	v_cmpx_lt_i16_e32 0x7f, v5
	s_xor_b32 s13, exec_lo, s13
	s_cbranch_execz .LBB14_1230
; %bb.1208:
	s_mov_b32 s12, -1
	s_mov_b32 s14, exec_lo
	v_cmpx_eq_u16_e32 0x80, v5
; %bb.1209:
	s_xor_b32 s12, exec_lo, -1
; %bb.1210:
	s_or_b32 exec_lo, exec_lo, s14
	s_and_b32 s12, s12, exec_lo
	s_or_saveexec_b32 s13, s13
	v_mov_b32_e32 v7, 0x7f800001
	s_xor_b32 exec_lo, exec_lo, s13
	s_cbranch_execnz .LBB14_1231
.LBB14_1211:
	s_or_b32 exec_lo, exec_lo, s13
	s_and_saveexec_b32 s13, s12
	s_cbranch_execz .LBB14_1213
.LBB14_1212:
	v_and_b32_e32 v6, 0xffff, v5
	v_lshlrev_b32_e32 v5, 24, v5
	v_and_b32_e32 v7, 3, v6
	v_bfe_u32 v10, v6, 2, 5
	v_and_b32_e32 v5, 0x80000000, v5
	v_ffbh_u32_e32 v8, v7
	v_cmp_eq_u32_e32 vcc_lo, 0, v10
	v_min_u32_e32 v8, 32, v8
	v_subrev_nc_u32_e32 v9, 29, v8
	v_sub_nc_u32_e32 v8, 30, v8
	v_lshlrev_b32_e32 v6, v9, v6
	v_cndmask_b32_e32 v8, v10, v8, vcc_lo
	v_and_b32_e32 v6, 3, v6
	v_cndmask_b32_e32 v6, v7, v6, vcc_lo
	v_lshl_add_u32 v7, v8, 23, 0x37800000
	v_lshlrev_b32_e32 v6, 21, v6
	v_or3_b32 v7, v5, v7, v6
.LBB14_1213:
	s_or_b32 exec_lo, exec_lo, s13
	s_mov_b32 s12, 0
	s_branch .LBB14_1219
.LBB14_1214:
	s_mov_b32 s12, -1
                                        ; implicit-def: $vgpr7
	s_branch .LBB14_1225
.LBB14_1215:
	s_or_saveexec_b32 s14, s14
	v_mov_b32_e32 v7, 0x7f800001
	s_xor_b32 exec_lo, exec_lo, s14
	s_cbranch_execz .LBB14_1199
.LBB14_1216:
	v_cmp_ne_u16_e32 vcc_lo, 0, v5
	v_mov_b32_e32 v7, 0
	s_andn2_b32 s13, s13, exec_lo
	s_and_b32 s15, vcc_lo, exec_lo
	s_or_b32 s13, s13, s15
	s_or_b32 exec_lo, exec_lo, s14
	s_and_saveexec_b32 s14, s13
	s_cbranch_execnz .LBB14_1200
	s_branch .LBB14_1201
.LBB14_1217:
	s_mov_b32 s12, -1
                                        ; implicit-def: $vgpr7
	s_branch .LBB14_1222
.LBB14_1218:
	s_mov_b32 s12, -1
                                        ; implicit-def: $vgpr7
.LBB14_1219:
	s_and_b32 vcc_lo, exec_lo, s12
	s_cbranch_vccz .LBB14_1221
; %bb.1220:
	global_load_ubyte v5, v[0:1], off
	s_waitcnt vmcnt(0)
	v_lshlrev_b32_e32 v5, 24, v5
	v_and_b32_e32 v6, 0x7f000000, v5
	v_ffbh_u32_e32 v7, v6
	v_add_nc_u32_e32 v9, 0x1000000, v6
	v_cmp_ne_u32_e32 vcc_lo, 0, v6
	v_min_u32_e32 v7, 32, v7
	v_sub_nc_u32_e64 v7, v7, 4 clamp
	v_lshlrev_b32_e32 v8, v7, v6
	v_lshlrev_b32_e32 v7, 23, v7
	v_lshrrev_b32_e32 v8, 4, v8
	v_sub_nc_u32_e32 v7, v8, v7
	v_ashrrev_i32_e32 v8, 8, v9
	v_add_nc_u32_e32 v7, 0x3c000000, v7
	v_and_or_b32 v7, 0x7f800000, v8, v7
	v_cndmask_b32_e32 v6, 0, v7, vcc_lo
	v_and_or_b32 v7, 0x80000000, v5, v6
.LBB14_1221:
	s_mov_b32 s12, 0
.LBB14_1222:
	s_andn2_b32 vcc_lo, exec_lo, s12
	s_cbranch_vccnz .LBB14_1224
; %bb.1223:
	global_load_ubyte v5, v[0:1], off
	s_waitcnt vmcnt(0)
	v_lshlrev_b32_e32 v6, 25, v5
	v_lshlrev_b16 v5, 8, v5
	v_lshrrev_b32_e32 v7, 4, v6
	v_and_or_b32 v8, 0x7f00, v5, 0.5
	v_cmp_gt_u32_e32 vcc_lo, 0x8000000, v6
	v_bfe_i32 v5, v5, 0, 16
	v_or_b32_e32 v7, 0x70000000, v7
	v_add_f32_e32 v8, -0.5, v8
	v_mul_f32_e32 v7, 0x7800000, v7
	v_cndmask_b32_e32 v6, v7, v8, vcc_lo
	v_and_or_b32 v7, 0x80000000, v5, v6
.LBB14_1224:
	s_mov_b32 s12, 0
	s_mov_b32 s13, -1
.LBB14_1225:
	s_andn2_b32 vcc_lo, exec_lo, s12
	s_mov_b32 s12, 0
	s_cbranch_vccnz .LBB14_1236
; %bb.1226:
	s_cmp_gt_i32 s0, 14
	s_cbranch_scc0 .LBB14_1229
; %bb.1227:
	s_cmp_eq_u32 s0, 15
	s_cbranch_scc0 .LBB14_1232
; %bb.1228:
	global_load_ushort v5, v[0:1], off
	s_mov_b32 s5, 0
	s_mov_b32 s13, -1
	s_waitcnt vmcnt(0)
	v_lshlrev_b32_e32 v7, 16, v5
	s_branch .LBB14_1234
.LBB14_1229:
	s_mov_b32 s12, -1
	s_branch .LBB14_1233
.LBB14_1230:
	s_or_saveexec_b32 s13, s13
	v_mov_b32_e32 v7, 0x7f800001
	s_xor_b32 exec_lo, exec_lo, s13
	s_cbranch_execz .LBB14_1211
.LBB14_1231:
	v_cmp_ne_u16_e32 vcc_lo, 0, v5
	v_mov_b32_e32 v7, 0
	s_andn2_b32 s12, s12, exec_lo
	s_and_b32 s14, vcc_lo, exec_lo
	s_or_b32 s12, s12, s14
	s_or_b32 exec_lo, exec_lo, s13
	s_and_saveexec_b32 s13, s12
	s_cbranch_execnz .LBB14_1212
	s_branch .LBB14_1213
.LBB14_1232:
	s_mov_b32 s5, -1
.LBB14_1233:
                                        ; implicit-def: $vgpr7
.LBB14_1234:
	s_and_b32 vcc_lo, exec_lo, s12
	s_mov_b32 s12, 0
	s_cbranch_vccz .LBB14_1236
; %bb.1235:
	s_cmp_lg_u32 s0, 11
	s_mov_b32 s12, -1
	s_cselect_b32 s5, -1, 0
.LBB14_1236:
	s_and_b32 vcc_lo, exec_lo, s5
	s_cbranch_vccnz .LBB14_1299
; %bb.1237:
	s_andn2_b32 vcc_lo, exec_lo, s12
	s_cbranch_vccnz .LBB14_1239
.LBB14_1238:
	global_load_ubyte v5, v[0:1], off
	s_mov_b32 s13, -1
	s_waitcnt vmcnt(0)
	v_cmp_ne_u16_e32 vcc_lo, 0, v5
	v_cndmask_b32_e64 v7, 0, 1.0, vcc_lo
.LBB14_1239:
	s_branch .LBB14_1165
.LBB14_1240:
	s_cmp_lt_i32 s0, 5
	s_cbranch_scc1 .LBB14_1245
; %bb.1241:
	s_cmp_lt_i32 s0, 8
	s_cbranch_scc1 .LBB14_1246
; %bb.1242:
	;; [unrolled: 3-line block ×3, first 2 shown]
	s_cmp_gt_i32 s0, 9
	s_cbranch_scc0 .LBB14_1248
; %bb.1244:
	global_load_dwordx2 v[5:6], v[0:1], off
	s_mov_b32 s5, 0
	s_waitcnt vmcnt(0)
	v_cvt_f32_f64_e32 v7, v[5:6]
	s_branch .LBB14_1249
.LBB14_1245:
                                        ; implicit-def: $vgpr7
	s_branch .LBB14_1267
.LBB14_1246:
	s_mov_b32 s5, -1
                                        ; implicit-def: $vgpr7
	s_branch .LBB14_1255
.LBB14_1247:
	s_mov_b32 s5, -1
                                        ; implicit-def: $vgpr7
	s_branch .LBB14_1252
.LBB14_1248:
	s_mov_b32 s5, -1
                                        ; implicit-def: $vgpr7
.LBB14_1249:
	s_andn2_b32 vcc_lo, exec_lo, s5
	s_cbranch_vccnz .LBB14_1251
; %bb.1250:
	global_load_dword v7, v[0:1], off
.LBB14_1251:
	s_mov_b32 s5, 0
.LBB14_1252:
	s_andn2_b32 vcc_lo, exec_lo, s5
	s_cbranch_vccnz .LBB14_1254
; %bb.1253:
	global_load_dword v5, v[0:1], off
	s_waitcnt vmcnt(0)
	v_cvt_f32_f16_e32 v7, v5
.LBB14_1254:
	s_mov_b32 s5, 0
.LBB14_1255:
	s_andn2_b32 vcc_lo, exec_lo, s5
	s_cbranch_vccnz .LBB14_1266
; %bb.1256:
	s_cmp_lt_i32 s0, 6
	s_cbranch_scc1 .LBB14_1259
; %bb.1257:
	s_cmp_gt_i32 s0, 6
	s_cbranch_scc0 .LBB14_1260
; %bb.1258:
	global_load_dwordx2 v[5:6], v[0:1], off
	s_mov_b32 s5, 0
	s_waitcnt vmcnt(0)
	v_cvt_f32_f64_e32 v7, v[5:6]
	s_branch .LBB14_1261
.LBB14_1259:
	s_mov_b32 s5, -1
                                        ; implicit-def: $vgpr7
	s_branch .LBB14_1264
.LBB14_1260:
	s_mov_b32 s5, -1
                                        ; implicit-def: $vgpr7
.LBB14_1261:
	s_andn2_b32 vcc_lo, exec_lo, s5
	s_cbranch_vccnz .LBB14_1263
; %bb.1262:
	global_load_dword v7, v[0:1], off
.LBB14_1263:
	s_mov_b32 s5, 0
.LBB14_1264:
	s_andn2_b32 vcc_lo, exec_lo, s5
	s_cbranch_vccnz .LBB14_1266
; %bb.1265:
	global_load_ushort v5, v[0:1], off
	s_waitcnt vmcnt(0)
	v_cvt_f32_f16_e32 v7, v5
.LBB14_1266:
	s_cbranch_execnz .LBB14_1286
.LBB14_1267:
	s_cmp_lt_i32 s0, 2
	s_cbranch_scc1 .LBB14_1271
; %bb.1268:
	s_cmp_lt_i32 s0, 3
	s_cbranch_scc1 .LBB14_1272
; %bb.1269:
	s_cmp_gt_i32 s0, 3
	s_cbranch_scc0 .LBB14_1273
; %bb.1270:
	global_load_dwordx2 v[5:6], v[0:1], off
	s_mov_b32 s5, 0
	s_waitcnt vmcnt(0)
	v_xor_b32_e32 v7, v5, v6
	v_ffbh_i32_e32 v8, v6
	v_ashrrev_i32_e32 v7, 31, v7
	v_add_nc_u32_e32 v8, -1, v8
	v_add_nc_u32_e32 v7, 32, v7
	v_min_u32_e32 v7, v8, v7
	v_lshlrev_b64 v[5:6], v7, v[5:6]
	v_min_u32_e32 v5, 1, v5
	v_or_b32_e32 v5, v6, v5
	v_sub_nc_u32_e32 v6, 32, v7
	v_cvt_f32_i32_e32 v5, v5
	v_ldexp_f32 v7, v5, v6
	s_branch .LBB14_1274
.LBB14_1271:
	s_mov_b32 s5, -1
                                        ; implicit-def: $vgpr7
	s_branch .LBB14_1280
.LBB14_1272:
	s_mov_b32 s5, -1
                                        ; implicit-def: $vgpr7
	s_branch .LBB14_1277
.LBB14_1273:
	s_mov_b32 s5, -1
                                        ; implicit-def: $vgpr7
.LBB14_1274:
	s_andn2_b32 vcc_lo, exec_lo, s5
	s_cbranch_vccnz .LBB14_1276
; %bb.1275:
	global_load_dword v5, v[0:1], off
	s_waitcnt vmcnt(0)
	v_cvt_f32_i32_e32 v7, v5
.LBB14_1276:
	s_mov_b32 s5, 0
.LBB14_1277:
	s_andn2_b32 vcc_lo, exec_lo, s5
	s_cbranch_vccnz .LBB14_1279
; %bb.1278:
	global_load_sshort v5, v[0:1], off
	s_waitcnt vmcnt(0)
	v_cvt_f32_i32_e32 v7, v5
.LBB14_1279:
	s_mov_b32 s5, 0
.LBB14_1280:
	s_andn2_b32 vcc_lo, exec_lo, s5
	s_cbranch_vccnz .LBB14_1286
; %bb.1281:
	s_cmp_gt_i32 s0, 0
	s_mov_b32 s5, 0
	s_cbranch_scc0 .LBB14_1283
; %bb.1282:
	global_load_sbyte v5, v[0:1], off
	s_waitcnt vmcnt(0)
	v_cvt_f32_i32_e32 v7, v5
	s_branch .LBB14_1284
.LBB14_1283:
	s_mov_b32 s5, -1
                                        ; implicit-def: $vgpr7
.LBB14_1284:
	s_andn2_b32 vcc_lo, exec_lo, s5
	s_cbranch_vccnz .LBB14_1286
; %bb.1285:
	global_load_ubyte v0, v[0:1], off
	s_waitcnt vmcnt(0)
	v_cvt_f32_ubyte0_e32 v7, v0
.LBB14_1286:
.LBB14_1287:
	v_add_nc_u32_e32 v3, s3, v3
	s_cmp_lt_i32 s0, 11
	v_ashrrev_i32_e32 v1, 31, v3
	v_add_co_u32 v0, vcc_lo, s10, v3
	v_add_co_ci_u32_e64 v1, null, s11, v1, vcc_lo
	s_cbranch_scc1 .LBB14_1294
; %bb.1288:
	s_cmp_gt_i32 s0, 25
	s_mov_b32 s12, 0
	s_cbranch_scc0 .LBB14_1296
; %bb.1289:
	s_cmp_gt_i32 s0, 28
	s_cbranch_scc0 .LBB14_1297
; %bb.1290:
	s_cmp_gt_i32 s0, 43
	;; [unrolled: 3-line block ×3, first 2 shown]
	s_cbranch_scc0 .LBB14_1300
; %bb.1292:
	s_cmp_eq_u32 s0, 46
	s_mov_b32 s14, 0
	s_cbranch_scc0 .LBB14_1301
; %bb.1293:
	global_load_dword v5, v[0:1], off
	s_mov_b32 s5, 0
	s_mov_b32 s13, -1
	s_waitcnt vmcnt(0)
	v_lshlrev_b32_e32 v6, 16, v5
	s_branch .LBB14_1303
.LBB14_1294:
	s_mov_b32 s13, 0
                                        ; implicit-def: $vgpr6
	s_cbranch_execnz .LBB14_1369
.LBB14_1295:
	s_andn2_b32 vcc_lo, exec_lo, s13
	s_cbranch_vccnz .LBB14_1981
	s_branch .LBB14_1417
.LBB14_1296:
	s_mov_b32 s14, -1
	s_mov_b32 s13, 0
	s_mov_b32 s5, 0
                                        ; implicit-def: $vgpr6
	s_branch .LBB14_1332
.LBB14_1297:
	s_mov_b32 s14, -1
	s_mov_b32 s13, 0
	s_mov_b32 s5, 0
                                        ; implicit-def: $vgpr6
	s_branch .LBB14_1313
.LBB14_1298:
	s_mov_b32 s14, -1
	s_mov_b32 s13, 0
	s_mov_b32 s5, 0
                                        ; implicit-def: $vgpr6
	s_branch .LBB14_1308
.LBB14_1299:
	s_or_b32 s4, s4, exec_lo
	s_trap 2
	s_cbranch_execz .LBB14_1238
	s_branch .LBB14_1239
.LBB14_1300:
	s_mov_b32 s14, -1
	s_mov_b32 s13, 0
	s_mov_b32 s5, 0
	s_branch .LBB14_1302
.LBB14_1301:
	s_mov_b32 s5, -1
	s_mov_b32 s13, 0
.LBB14_1302:
                                        ; implicit-def: $vgpr6
.LBB14_1303:
	s_and_b32 vcc_lo, exec_lo, s14
	s_cbranch_vccz .LBB14_1307
; %bb.1304:
	s_cmp_eq_u32 s0, 44
	s_cbranch_scc0 .LBB14_1306
; %bb.1305:
	global_load_ubyte v5, v[0:1], off
	s_mov_b32 s5, 0
	s_mov_b32 s13, -1
	s_waitcnt vmcnt(0)
	v_lshlrev_b32_e32 v6, 23, v5
	v_cmp_ne_u32_e32 vcc_lo, 0xff, v5
	v_cndmask_b32_e32 v6, 0x7f800001, v6, vcc_lo
	v_cmp_ne_u32_e32 vcc_lo, 0, v5
	v_cndmask_b32_e32 v6, 0x400000, v6, vcc_lo
	s_branch .LBB14_1307
.LBB14_1306:
	s_mov_b32 s5, -1
                                        ; implicit-def: $vgpr6
.LBB14_1307:
	s_mov_b32 s14, 0
.LBB14_1308:
	s_and_b32 vcc_lo, exec_lo, s14
	s_cbranch_vccz .LBB14_1312
; %bb.1309:
	s_cmp_eq_u32 s0, 29
	s_cbranch_scc0 .LBB14_1311
; %bb.1310:
	global_load_dwordx2 v[5:6], v[0:1], off
	s_mov_b32 s5, 0
	s_mov_b32 s13, -1
	s_mov_b32 s14, 0
	s_waitcnt vmcnt(0)
	v_ffbh_u32_e32 v8, v6
	v_min_u32_e32 v8, 32, v8
	v_lshlrev_b64 v[5:6], v8, v[5:6]
	v_min_u32_e32 v5, 1, v5
	v_or_b32_e32 v5, v6, v5
	v_sub_nc_u32_e32 v6, 32, v8
	v_cvt_f32_u32_e32 v5, v5
	v_ldexp_f32 v6, v5, v6
	s_branch .LBB14_1313
.LBB14_1311:
	s_mov_b32 s5, -1
                                        ; implicit-def: $vgpr6
.LBB14_1312:
	s_mov_b32 s14, 0
.LBB14_1313:
	s_and_b32 vcc_lo, exec_lo, s14
	s_cbranch_vccz .LBB14_1331
; %bb.1314:
	s_cmp_lt_i32 s0, 27
	s_cbranch_scc1 .LBB14_1317
; %bb.1315:
	s_cmp_gt_i32 s0, 27
	s_cbranch_scc0 .LBB14_1318
; %bb.1316:
	global_load_dword v5, v[0:1], off
	s_mov_b32 s13, 0
	s_waitcnt vmcnt(0)
	v_cvt_f32_u32_e32 v6, v5
	s_branch .LBB14_1319
.LBB14_1317:
	s_mov_b32 s13, -1
                                        ; implicit-def: $vgpr6
	s_branch .LBB14_1322
.LBB14_1318:
	s_mov_b32 s13, -1
                                        ; implicit-def: $vgpr6
.LBB14_1319:
	s_andn2_b32 vcc_lo, exec_lo, s13
	s_cbranch_vccnz .LBB14_1321
; %bb.1320:
	global_load_ushort v5, v[0:1], off
	s_waitcnt vmcnt(0)
	v_cvt_f32_u32_e32 v6, v5
.LBB14_1321:
	s_mov_b32 s13, 0
.LBB14_1322:
	s_andn2_b32 vcc_lo, exec_lo, s13
	s_cbranch_vccnz .LBB14_1330
; %bb.1323:
	global_load_ubyte v5, v[0:1], off
	s_mov_b32 s13, 0
	s_mov_b32 s14, exec_lo
	s_waitcnt vmcnt(0)
	v_cmpx_lt_i16_e32 0x7f, v5
	s_xor_b32 s14, exec_lo, s14
	s_cbranch_execz .LBB14_1344
; %bb.1324:
	s_mov_b32 s13, -1
	s_mov_b32 s15, exec_lo
	v_cmpx_eq_u16_e32 0x80, v5
; %bb.1325:
	s_xor_b32 s13, exec_lo, -1
; %bb.1326:
	s_or_b32 exec_lo, exec_lo, s15
	s_and_b32 s13, s13, exec_lo
	s_or_saveexec_b32 s14, s14
	v_mov_b32_e32 v6, 0x7f800001
	s_xor_b32 exec_lo, exec_lo, s14
	s_cbranch_execnz .LBB14_1345
.LBB14_1327:
	s_or_b32 exec_lo, exec_lo, s14
	s_and_saveexec_b32 s14, s13
	s_cbranch_execz .LBB14_1329
.LBB14_1328:
	v_and_b32_e32 v6, 0xffff, v5
	v_lshlrev_b32_e32 v5, 24, v5
	v_and_b32_e32 v8, 7, v6
	v_bfe_u32 v11, v6, 3, 4
	v_and_b32_e32 v5, 0x80000000, v5
	v_ffbh_u32_e32 v9, v8
	v_cmp_eq_u32_e32 vcc_lo, 0, v11
	v_min_u32_e32 v9, 32, v9
	v_subrev_nc_u32_e32 v10, 28, v9
	v_sub_nc_u32_e32 v9, 29, v9
	v_lshlrev_b32_e32 v6, v10, v6
	v_cndmask_b32_e32 v9, v11, v9, vcc_lo
	v_and_b32_e32 v6, 7, v6
	v_cndmask_b32_e32 v6, v8, v6, vcc_lo
	v_lshl_add_u32 v8, v9, 23, 0x3b800000
	v_lshlrev_b32_e32 v6, 20, v6
	v_or3_b32 v6, v5, v8, v6
.LBB14_1329:
	s_or_b32 exec_lo, exec_lo, s14
.LBB14_1330:
	s_mov_b32 s13, -1
.LBB14_1331:
	s_mov_b32 s14, 0
.LBB14_1332:
	s_and_b32 vcc_lo, exec_lo, s14
	s_cbranch_vccz .LBB14_1365
; %bb.1333:
	s_cmp_gt_i32 s0, 22
	s_cbranch_scc0 .LBB14_1343
; %bb.1334:
	s_cmp_lt_i32 s0, 24
	s_cbranch_scc1 .LBB14_1346
; %bb.1335:
	s_cmp_gt_i32 s0, 24
	s_cbranch_scc0 .LBB14_1347
; %bb.1336:
	global_load_ubyte v5, v[0:1], off
	s_mov_b32 s13, exec_lo
	s_waitcnt vmcnt(0)
	v_cmpx_lt_i16_e32 0x7f, v5
	s_xor_b32 s13, exec_lo, s13
	s_cbranch_execz .LBB14_1359
; %bb.1337:
	s_mov_b32 s12, -1
	s_mov_b32 s14, exec_lo
	v_cmpx_eq_u16_e32 0x80, v5
; %bb.1338:
	s_xor_b32 s12, exec_lo, -1
; %bb.1339:
	s_or_b32 exec_lo, exec_lo, s14
	s_and_b32 s12, s12, exec_lo
	s_or_saveexec_b32 s13, s13
	v_mov_b32_e32 v6, 0x7f800001
	s_xor_b32 exec_lo, exec_lo, s13
	s_cbranch_execnz .LBB14_1360
.LBB14_1340:
	s_or_b32 exec_lo, exec_lo, s13
	s_and_saveexec_b32 s13, s12
	s_cbranch_execz .LBB14_1342
.LBB14_1341:
	v_and_b32_e32 v6, 0xffff, v5
	v_lshlrev_b32_e32 v5, 24, v5
	v_and_b32_e32 v8, 3, v6
	v_bfe_u32 v11, v6, 2, 5
	v_and_b32_e32 v5, 0x80000000, v5
	v_ffbh_u32_e32 v9, v8
	v_cmp_eq_u32_e32 vcc_lo, 0, v11
	v_min_u32_e32 v9, 32, v9
	v_subrev_nc_u32_e32 v10, 29, v9
	v_sub_nc_u32_e32 v9, 30, v9
	v_lshlrev_b32_e32 v6, v10, v6
	v_cndmask_b32_e32 v9, v11, v9, vcc_lo
	v_and_b32_e32 v6, 3, v6
	v_cndmask_b32_e32 v6, v8, v6, vcc_lo
	v_lshl_add_u32 v8, v9, 23, 0x37800000
	v_lshlrev_b32_e32 v6, 21, v6
	v_or3_b32 v6, v5, v8, v6
.LBB14_1342:
	s_or_b32 exec_lo, exec_lo, s13
	s_mov_b32 s12, 0
	s_branch .LBB14_1348
.LBB14_1343:
	s_mov_b32 s12, -1
                                        ; implicit-def: $vgpr6
	s_branch .LBB14_1354
.LBB14_1344:
	s_or_saveexec_b32 s14, s14
	v_mov_b32_e32 v6, 0x7f800001
	s_xor_b32 exec_lo, exec_lo, s14
	s_cbranch_execz .LBB14_1327
.LBB14_1345:
	v_cmp_ne_u16_e32 vcc_lo, 0, v5
	v_mov_b32_e32 v6, 0
	s_andn2_b32 s13, s13, exec_lo
	s_and_b32 s15, vcc_lo, exec_lo
	s_or_b32 s13, s13, s15
	s_or_b32 exec_lo, exec_lo, s14
	s_and_saveexec_b32 s14, s13
	s_cbranch_execnz .LBB14_1328
	s_branch .LBB14_1329
.LBB14_1346:
	s_mov_b32 s12, -1
                                        ; implicit-def: $vgpr6
	s_branch .LBB14_1351
.LBB14_1347:
	s_mov_b32 s12, -1
                                        ; implicit-def: $vgpr6
.LBB14_1348:
	s_and_b32 vcc_lo, exec_lo, s12
	s_cbranch_vccz .LBB14_1350
; %bb.1349:
	global_load_ubyte v5, v[0:1], off
	s_waitcnt vmcnt(0)
	v_lshlrev_b32_e32 v5, 24, v5
	v_and_b32_e32 v6, 0x7f000000, v5
	v_ffbh_u32_e32 v8, v6
	v_add_nc_u32_e32 v10, 0x1000000, v6
	v_cmp_ne_u32_e32 vcc_lo, 0, v6
	v_min_u32_e32 v8, 32, v8
	v_sub_nc_u32_e64 v8, v8, 4 clamp
	v_lshlrev_b32_e32 v9, v8, v6
	v_lshlrev_b32_e32 v8, 23, v8
	v_lshrrev_b32_e32 v9, 4, v9
	v_sub_nc_u32_e32 v8, v9, v8
	v_ashrrev_i32_e32 v9, 8, v10
	v_add_nc_u32_e32 v8, 0x3c000000, v8
	v_and_or_b32 v8, 0x7f800000, v9, v8
	v_cndmask_b32_e32 v6, 0, v8, vcc_lo
	v_and_or_b32 v6, 0x80000000, v5, v6
.LBB14_1350:
	s_mov_b32 s12, 0
.LBB14_1351:
	s_andn2_b32 vcc_lo, exec_lo, s12
	s_cbranch_vccnz .LBB14_1353
; %bb.1352:
	global_load_ubyte v5, v[0:1], off
	s_waitcnt vmcnt(0)
	v_lshlrev_b32_e32 v6, 25, v5
	v_lshlrev_b16 v5, 8, v5
	v_lshrrev_b32_e32 v8, 4, v6
	v_and_or_b32 v9, 0x7f00, v5, 0.5
	v_cmp_gt_u32_e32 vcc_lo, 0x8000000, v6
	v_bfe_i32 v5, v5, 0, 16
	v_or_b32_e32 v8, 0x70000000, v8
	v_add_f32_e32 v9, -0.5, v9
	v_mul_f32_e32 v8, 0x7800000, v8
	v_cndmask_b32_e32 v6, v8, v9, vcc_lo
	v_and_or_b32 v6, 0x80000000, v5, v6
.LBB14_1353:
	s_mov_b32 s12, 0
	s_mov_b32 s13, -1
.LBB14_1354:
	s_andn2_b32 vcc_lo, exec_lo, s12
	s_mov_b32 s12, 0
	s_cbranch_vccnz .LBB14_1365
; %bb.1355:
	s_cmp_gt_i32 s0, 14
	s_cbranch_scc0 .LBB14_1358
; %bb.1356:
	s_cmp_eq_u32 s0, 15
	s_cbranch_scc0 .LBB14_1361
; %bb.1357:
	global_load_ushort v5, v[0:1], off
	s_mov_b32 s5, 0
	s_mov_b32 s13, -1
	s_waitcnt vmcnt(0)
	v_lshlrev_b32_e32 v6, 16, v5
	s_branch .LBB14_1363
.LBB14_1358:
	s_mov_b32 s12, -1
	s_branch .LBB14_1362
.LBB14_1359:
	s_or_saveexec_b32 s13, s13
	v_mov_b32_e32 v6, 0x7f800001
	s_xor_b32 exec_lo, exec_lo, s13
	s_cbranch_execz .LBB14_1340
.LBB14_1360:
	v_cmp_ne_u16_e32 vcc_lo, 0, v5
	v_mov_b32_e32 v6, 0
	s_andn2_b32 s12, s12, exec_lo
	s_and_b32 s14, vcc_lo, exec_lo
	s_or_b32 s12, s12, s14
	s_or_b32 exec_lo, exec_lo, s13
	s_and_saveexec_b32 s13, s12
	s_cbranch_execnz .LBB14_1341
	s_branch .LBB14_1342
.LBB14_1361:
	s_mov_b32 s5, -1
.LBB14_1362:
                                        ; implicit-def: $vgpr6
.LBB14_1363:
	s_and_b32 vcc_lo, exec_lo, s12
	s_mov_b32 s12, 0
	s_cbranch_vccz .LBB14_1365
; %bb.1364:
	s_cmp_lg_u32 s0, 11
	s_mov_b32 s12, -1
	s_cselect_b32 s5, -1, 0
.LBB14_1365:
	s_and_b32 vcc_lo, exec_lo, s5
	s_cbranch_vccnz .LBB14_1428
; %bb.1366:
	s_andn2_b32 vcc_lo, exec_lo, s12
	s_cbranch_vccnz .LBB14_1368
.LBB14_1367:
	global_load_ubyte v5, v[0:1], off
	s_mov_b32 s13, -1
	s_waitcnt vmcnt(0)
	v_cmp_ne_u16_e32 vcc_lo, 0, v5
	v_cndmask_b32_e64 v6, 0, 1.0, vcc_lo
.LBB14_1368:
	s_branch .LBB14_1295
.LBB14_1369:
	s_cmp_lt_i32 s0, 5
	s_cbranch_scc1 .LBB14_1374
; %bb.1370:
	s_cmp_lt_i32 s0, 8
	s_cbranch_scc1 .LBB14_1375
; %bb.1371:
	;; [unrolled: 3-line block ×3, first 2 shown]
	s_cmp_gt_i32 s0, 9
	s_cbranch_scc0 .LBB14_1377
; %bb.1373:
	global_load_dwordx2 v[5:6], v[0:1], off
	s_mov_b32 s5, 0
	s_waitcnt vmcnt(0)
	v_cvt_f32_f64_e32 v6, v[5:6]
	s_branch .LBB14_1378
.LBB14_1374:
	s_mov_b32 s5, -1
                                        ; implicit-def: $vgpr6
	s_branch .LBB14_1396
.LBB14_1375:
	s_mov_b32 s5, -1
                                        ; implicit-def: $vgpr6
	s_branch .LBB14_1384
.LBB14_1376:
	s_mov_b32 s5, -1
                                        ; implicit-def: $vgpr6
	s_branch .LBB14_1381
.LBB14_1377:
	s_mov_b32 s5, -1
                                        ; implicit-def: $vgpr6
.LBB14_1378:
	s_andn2_b32 vcc_lo, exec_lo, s5
	s_cbranch_vccnz .LBB14_1380
; %bb.1379:
	global_load_dword v6, v[0:1], off
.LBB14_1380:
	s_mov_b32 s5, 0
.LBB14_1381:
	s_andn2_b32 vcc_lo, exec_lo, s5
	s_cbranch_vccnz .LBB14_1383
; %bb.1382:
	global_load_dword v5, v[0:1], off
	s_waitcnt vmcnt(0)
	v_cvt_f32_f16_e32 v6, v5
.LBB14_1383:
	s_mov_b32 s5, 0
.LBB14_1384:
	s_andn2_b32 vcc_lo, exec_lo, s5
	s_cbranch_vccnz .LBB14_1395
; %bb.1385:
	s_cmp_lt_i32 s0, 6
	s_cbranch_scc1 .LBB14_1388
; %bb.1386:
	s_cmp_gt_i32 s0, 6
	s_cbranch_scc0 .LBB14_1389
; %bb.1387:
	global_load_dwordx2 v[5:6], v[0:1], off
	s_mov_b32 s5, 0
	s_waitcnt vmcnt(0)
	v_cvt_f32_f64_e32 v6, v[5:6]
	s_branch .LBB14_1390
.LBB14_1388:
	s_mov_b32 s5, -1
                                        ; implicit-def: $vgpr6
	s_branch .LBB14_1393
.LBB14_1389:
	s_mov_b32 s5, -1
                                        ; implicit-def: $vgpr6
.LBB14_1390:
	s_andn2_b32 vcc_lo, exec_lo, s5
	s_cbranch_vccnz .LBB14_1392
; %bb.1391:
	global_load_dword v6, v[0:1], off
.LBB14_1392:
	s_mov_b32 s5, 0
.LBB14_1393:
	s_andn2_b32 vcc_lo, exec_lo, s5
	s_cbranch_vccnz .LBB14_1395
; %bb.1394:
	global_load_ushort v5, v[0:1], off
	s_waitcnt vmcnt(0)
	v_cvt_f32_f16_e32 v6, v5
.LBB14_1395:
	s_mov_b32 s5, 0
.LBB14_1396:
	s_andn2_b32 vcc_lo, exec_lo, s5
	s_cbranch_vccnz .LBB14_1416
; %bb.1397:
	s_cmp_lt_i32 s0, 2
	s_cbranch_scc1 .LBB14_1401
; %bb.1398:
	s_cmp_lt_i32 s0, 3
	s_cbranch_scc1 .LBB14_1402
; %bb.1399:
	s_cmp_gt_i32 s0, 3
	s_cbranch_scc0 .LBB14_1403
; %bb.1400:
	global_load_dwordx2 v[5:6], v[0:1], off
	s_mov_b32 s5, 0
	s_waitcnt vmcnt(0)
	v_xor_b32_e32 v8, v5, v6
	v_ffbh_i32_e32 v9, v6
	v_ashrrev_i32_e32 v8, 31, v8
	v_add_nc_u32_e32 v9, -1, v9
	v_add_nc_u32_e32 v8, 32, v8
	v_min_u32_e32 v8, v9, v8
	v_lshlrev_b64 v[5:6], v8, v[5:6]
	v_min_u32_e32 v5, 1, v5
	v_or_b32_e32 v5, v6, v5
	v_sub_nc_u32_e32 v6, 32, v8
	v_cvt_f32_i32_e32 v5, v5
	v_ldexp_f32 v6, v5, v6
	s_branch .LBB14_1404
.LBB14_1401:
	s_mov_b32 s5, -1
                                        ; implicit-def: $vgpr6
	s_branch .LBB14_1410
.LBB14_1402:
	s_mov_b32 s5, -1
                                        ; implicit-def: $vgpr6
	s_branch .LBB14_1407
.LBB14_1403:
	s_mov_b32 s5, -1
                                        ; implicit-def: $vgpr6
.LBB14_1404:
	s_andn2_b32 vcc_lo, exec_lo, s5
	s_cbranch_vccnz .LBB14_1406
; %bb.1405:
	global_load_dword v5, v[0:1], off
	s_waitcnt vmcnt(0)
	v_cvt_f32_i32_e32 v6, v5
.LBB14_1406:
	s_mov_b32 s5, 0
.LBB14_1407:
	s_andn2_b32 vcc_lo, exec_lo, s5
	s_cbranch_vccnz .LBB14_1409
; %bb.1408:
	global_load_sshort v5, v[0:1], off
	s_waitcnt vmcnt(0)
	v_cvt_f32_i32_e32 v6, v5
.LBB14_1409:
	s_mov_b32 s5, 0
.LBB14_1410:
	s_andn2_b32 vcc_lo, exec_lo, s5
	s_cbranch_vccnz .LBB14_1416
; %bb.1411:
	s_cmp_gt_i32 s0, 0
	s_mov_b32 s5, 0
	s_cbranch_scc0 .LBB14_1413
; %bb.1412:
	global_load_sbyte v5, v[0:1], off
	s_waitcnt vmcnt(0)
	v_cvt_f32_i32_e32 v6, v5
	s_branch .LBB14_1414
.LBB14_1413:
	s_mov_b32 s5, -1
                                        ; implicit-def: $vgpr6
.LBB14_1414:
	s_andn2_b32 vcc_lo, exec_lo, s5
	s_cbranch_vccnz .LBB14_1416
; %bb.1415:
	global_load_ubyte v0, v[0:1], off
	s_waitcnt vmcnt(0)
	v_cvt_f32_ubyte0_e32 v6, v0
.LBB14_1416:
.LBB14_1417:
	v_add_nc_u32_e32 v0, s3, v3
	s_cmp_lt_i32 s0, 11
	v_ashrrev_i32_e32 v1, 31, v0
	v_add_co_u32 v0, vcc_lo, s10, v0
	v_add_co_ci_u32_e64 v1, null, s11, v1, vcc_lo
	s_cbranch_scc1 .LBB14_1424
; %bb.1418:
	s_cmp_gt_i32 s0, 25
	s_mov_b32 s5, 0
	s_cbranch_scc0 .LBB14_1425
; %bb.1419:
	s_cmp_gt_i32 s0, 28
	s_cbranch_scc0 .LBB14_1426
; %bb.1420:
	s_cmp_gt_i32 s0, 43
	;; [unrolled: 3-line block ×3, first 2 shown]
	s_cbranch_scc0 .LBB14_1429
; %bb.1422:
	s_cmp_eq_u32 s0, 46
	s_mov_b32 s11, 0
	s_cbranch_scc0 .LBB14_1430
; %bb.1423:
	global_load_dword v3, v[0:1], off
	s_mov_b32 s3, 0
	s_mov_b32 s10, -1
	s_waitcnt vmcnt(0)
	v_lshlrev_b32_e32 v5, 16, v3
	s_branch .LBB14_1432
.LBB14_1424:
	s_mov_b32 s3, -1
	s_mov_b32 s10, 0
                                        ; implicit-def: $vgpr5
	s_branch .LBB14_1498
.LBB14_1425:
	s_mov_b32 s11, -1
	s_mov_b32 s10, 0
	s_mov_b32 s3, 0
                                        ; implicit-def: $vgpr5
	s_branch .LBB14_1461
.LBB14_1426:
	s_mov_b32 s11, -1
	s_mov_b32 s10, 0
	s_mov_b32 s3, 0
                                        ; implicit-def: $vgpr5
	s_branch .LBB14_1442
.LBB14_1427:
	s_mov_b32 s11, -1
	s_mov_b32 s10, 0
	s_mov_b32 s3, 0
                                        ; implicit-def: $vgpr5
	s_branch .LBB14_1437
.LBB14_1428:
	s_or_b32 s4, s4, exec_lo
	s_trap 2
	s_cbranch_execz .LBB14_1367
	s_branch .LBB14_1368
.LBB14_1429:
	s_mov_b32 s11, -1
	s_mov_b32 s10, 0
	s_mov_b32 s3, 0
	s_branch .LBB14_1431
.LBB14_1430:
	s_mov_b32 s3, -1
	s_mov_b32 s10, 0
.LBB14_1431:
                                        ; implicit-def: $vgpr5
.LBB14_1432:
	s_and_b32 vcc_lo, exec_lo, s11
	s_cbranch_vccz .LBB14_1436
; %bb.1433:
	s_cmp_eq_u32 s0, 44
	s_cbranch_scc0 .LBB14_1435
; %bb.1434:
	global_load_ubyte v3, v[0:1], off
	s_mov_b32 s3, 0
	s_mov_b32 s10, -1
	s_waitcnt vmcnt(0)
	v_lshlrev_b32_e32 v5, 23, v3
	v_cmp_ne_u32_e32 vcc_lo, 0xff, v3
	v_cndmask_b32_e32 v5, 0x7f800001, v5, vcc_lo
	v_cmp_ne_u32_e32 vcc_lo, 0, v3
	v_cndmask_b32_e32 v5, 0x400000, v5, vcc_lo
	s_branch .LBB14_1436
.LBB14_1435:
	s_mov_b32 s3, -1
                                        ; implicit-def: $vgpr5
.LBB14_1436:
	s_mov_b32 s11, 0
.LBB14_1437:
	s_and_b32 vcc_lo, exec_lo, s11
	s_cbranch_vccz .LBB14_1441
; %bb.1438:
	s_cmp_eq_u32 s0, 29
	s_cbranch_scc0 .LBB14_1440
; %bb.1439:
	global_load_dwordx2 v[8:9], v[0:1], off
	s_mov_b32 s3, 0
	s_mov_b32 s10, -1
	s_mov_b32 s11, 0
	s_waitcnt vmcnt(0)
	v_ffbh_u32_e32 v3, v9
	v_min_u32_e32 v3, 32, v3
	v_lshlrev_b64 v[8:9], v3, v[8:9]
	v_sub_nc_u32_e32 v3, 32, v3
	v_min_u32_e32 v5, 1, v8
	v_or_b32_e32 v5, v9, v5
	v_cvt_f32_u32_e32 v5, v5
	v_ldexp_f32 v5, v5, v3
	s_branch .LBB14_1442
.LBB14_1440:
	s_mov_b32 s3, -1
                                        ; implicit-def: $vgpr5
.LBB14_1441:
	s_mov_b32 s11, 0
.LBB14_1442:
	s_and_b32 vcc_lo, exec_lo, s11
	s_cbranch_vccz .LBB14_1460
; %bb.1443:
	s_cmp_lt_i32 s0, 27
	s_cbranch_scc1 .LBB14_1446
; %bb.1444:
	s_cmp_gt_i32 s0, 27
	s_cbranch_scc0 .LBB14_1447
; %bb.1445:
	global_load_dword v3, v[0:1], off
	s_mov_b32 s10, 0
	s_waitcnt vmcnt(0)
	v_cvt_f32_u32_e32 v5, v3
	s_branch .LBB14_1448
.LBB14_1446:
	s_mov_b32 s10, -1
                                        ; implicit-def: $vgpr5
	s_branch .LBB14_1451
.LBB14_1447:
	s_mov_b32 s10, -1
                                        ; implicit-def: $vgpr5
.LBB14_1448:
	s_andn2_b32 vcc_lo, exec_lo, s10
	s_cbranch_vccnz .LBB14_1450
; %bb.1449:
	global_load_ushort v3, v[0:1], off
	s_waitcnt vmcnt(0)
	v_cvt_f32_u32_e32 v5, v3
.LBB14_1450:
	s_mov_b32 s10, 0
.LBB14_1451:
	s_andn2_b32 vcc_lo, exec_lo, s10
	s_cbranch_vccnz .LBB14_1459
; %bb.1452:
	global_load_ubyte v3, v[0:1], off
	s_mov_b32 s10, 0
	s_mov_b32 s11, exec_lo
	s_waitcnt vmcnt(0)
	v_cmpx_lt_i16_e32 0x7f, v3
	s_xor_b32 s11, exec_lo, s11
	s_cbranch_execz .LBB14_1473
; %bb.1453:
	s_mov_b32 s10, -1
	s_mov_b32 s12, exec_lo
	v_cmpx_eq_u16_e32 0x80, v3
; %bb.1454:
	s_xor_b32 s10, exec_lo, -1
; %bb.1455:
	s_or_b32 exec_lo, exec_lo, s12
	s_and_b32 s10, s10, exec_lo
	s_or_saveexec_b32 s11, s11
	v_mov_b32_e32 v5, 0x7f800001
	s_xor_b32 exec_lo, exec_lo, s11
	s_cbranch_execnz .LBB14_1474
.LBB14_1456:
	s_or_b32 exec_lo, exec_lo, s11
	s_and_saveexec_b32 s11, s10
	s_cbranch_execz .LBB14_1458
.LBB14_1457:
	v_and_b32_e32 v5, 0xffff, v3
	v_lshlrev_b32_e32 v3, 24, v3
	v_and_b32_e32 v8, 7, v5
	v_bfe_u32 v11, v5, 3, 4
	v_and_b32_e32 v3, 0x80000000, v3
	v_ffbh_u32_e32 v9, v8
	v_cmp_eq_u32_e32 vcc_lo, 0, v11
	v_min_u32_e32 v9, 32, v9
	v_subrev_nc_u32_e32 v10, 28, v9
	v_sub_nc_u32_e32 v9, 29, v9
	v_lshlrev_b32_e32 v5, v10, v5
	v_cndmask_b32_e32 v9, v11, v9, vcc_lo
	v_and_b32_e32 v5, 7, v5
	v_cndmask_b32_e32 v5, v8, v5, vcc_lo
	v_lshl_add_u32 v8, v9, 23, 0x3b800000
	v_lshlrev_b32_e32 v5, 20, v5
	v_or3_b32 v5, v3, v8, v5
.LBB14_1458:
	s_or_b32 exec_lo, exec_lo, s11
.LBB14_1459:
	s_mov_b32 s10, -1
.LBB14_1460:
	s_mov_b32 s11, 0
.LBB14_1461:
	s_and_b32 vcc_lo, exec_lo, s11
	s_cbranch_vccz .LBB14_1494
; %bb.1462:
	s_cmp_gt_i32 s0, 22
	s_cbranch_scc0 .LBB14_1472
; %bb.1463:
	s_cmp_lt_i32 s0, 24
	s_cbranch_scc1 .LBB14_1475
; %bb.1464:
	s_cmp_gt_i32 s0, 24
	s_cbranch_scc0 .LBB14_1476
; %bb.1465:
	global_load_ubyte v3, v[0:1], off
	s_mov_b32 s10, exec_lo
	s_waitcnt vmcnt(0)
	v_cmpx_lt_i16_e32 0x7f, v3
	s_xor_b32 s10, exec_lo, s10
	s_cbranch_execz .LBB14_1488
; %bb.1466:
	s_mov_b32 s5, -1
	s_mov_b32 s11, exec_lo
	v_cmpx_eq_u16_e32 0x80, v3
; %bb.1467:
	s_xor_b32 s5, exec_lo, -1
; %bb.1468:
	s_or_b32 exec_lo, exec_lo, s11
	s_and_b32 s5, s5, exec_lo
	s_or_saveexec_b32 s10, s10
	v_mov_b32_e32 v5, 0x7f800001
	s_xor_b32 exec_lo, exec_lo, s10
	s_cbranch_execnz .LBB14_1489
.LBB14_1469:
	s_or_b32 exec_lo, exec_lo, s10
	s_and_saveexec_b32 s10, s5
	s_cbranch_execz .LBB14_1471
.LBB14_1470:
	v_and_b32_e32 v5, 0xffff, v3
	v_lshlrev_b32_e32 v3, 24, v3
	v_and_b32_e32 v8, 3, v5
	v_bfe_u32 v11, v5, 2, 5
	v_and_b32_e32 v3, 0x80000000, v3
	v_ffbh_u32_e32 v9, v8
	v_cmp_eq_u32_e32 vcc_lo, 0, v11
	v_min_u32_e32 v9, 32, v9
	v_subrev_nc_u32_e32 v10, 29, v9
	v_sub_nc_u32_e32 v9, 30, v9
	v_lshlrev_b32_e32 v5, v10, v5
	v_cndmask_b32_e32 v9, v11, v9, vcc_lo
	v_and_b32_e32 v5, 3, v5
	v_cndmask_b32_e32 v5, v8, v5, vcc_lo
	v_lshl_add_u32 v8, v9, 23, 0x37800000
	v_lshlrev_b32_e32 v5, 21, v5
	v_or3_b32 v5, v3, v8, v5
.LBB14_1471:
	s_or_b32 exec_lo, exec_lo, s10
	s_mov_b32 s5, 0
	s_branch .LBB14_1477
.LBB14_1472:
	s_mov_b32 s5, -1
                                        ; implicit-def: $vgpr5
	s_branch .LBB14_1483
.LBB14_1473:
	s_or_saveexec_b32 s11, s11
	v_mov_b32_e32 v5, 0x7f800001
	s_xor_b32 exec_lo, exec_lo, s11
	s_cbranch_execz .LBB14_1456
.LBB14_1474:
	v_cmp_ne_u16_e32 vcc_lo, 0, v3
	v_mov_b32_e32 v5, 0
	s_andn2_b32 s10, s10, exec_lo
	s_and_b32 s12, vcc_lo, exec_lo
	s_or_b32 s10, s10, s12
	s_or_b32 exec_lo, exec_lo, s11
	s_and_saveexec_b32 s11, s10
	s_cbranch_execnz .LBB14_1457
	s_branch .LBB14_1458
.LBB14_1475:
	s_mov_b32 s5, -1
                                        ; implicit-def: $vgpr5
	s_branch .LBB14_1480
.LBB14_1476:
	s_mov_b32 s5, -1
                                        ; implicit-def: $vgpr5
.LBB14_1477:
	s_and_b32 vcc_lo, exec_lo, s5
	s_cbranch_vccz .LBB14_1479
; %bb.1478:
	global_load_ubyte v3, v[0:1], off
	s_waitcnt vmcnt(0)
	v_lshlrev_b32_e32 v3, 24, v3
	v_and_b32_e32 v5, 0x7f000000, v3
	v_ffbh_u32_e32 v8, v5
	v_add_nc_u32_e32 v10, 0x1000000, v5
	v_cmp_ne_u32_e32 vcc_lo, 0, v5
	v_min_u32_e32 v8, 32, v8
	v_sub_nc_u32_e64 v8, v8, 4 clamp
	v_lshlrev_b32_e32 v9, v8, v5
	v_lshlrev_b32_e32 v8, 23, v8
	v_lshrrev_b32_e32 v9, 4, v9
	v_sub_nc_u32_e32 v8, v9, v8
	v_ashrrev_i32_e32 v9, 8, v10
	v_add_nc_u32_e32 v8, 0x3c000000, v8
	v_and_or_b32 v8, 0x7f800000, v9, v8
	v_cndmask_b32_e32 v5, 0, v8, vcc_lo
	v_and_or_b32 v5, 0x80000000, v3, v5
.LBB14_1479:
	s_mov_b32 s5, 0
.LBB14_1480:
	s_andn2_b32 vcc_lo, exec_lo, s5
	s_cbranch_vccnz .LBB14_1482
; %bb.1481:
	global_load_ubyte v3, v[0:1], off
	s_waitcnt vmcnt(0)
	v_lshlrev_b32_e32 v5, 25, v3
	v_lshlrev_b16 v3, 8, v3
	v_lshrrev_b32_e32 v8, 4, v5
	v_and_or_b32 v9, 0x7f00, v3, 0.5
	v_cmp_gt_u32_e32 vcc_lo, 0x8000000, v5
	v_bfe_i32 v3, v3, 0, 16
	v_or_b32_e32 v8, 0x70000000, v8
	v_add_f32_e32 v9, -0.5, v9
	v_mul_f32_e32 v8, 0x7800000, v8
	v_cndmask_b32_e32 v5, v8, v9, vcc_lo
	v_and_or_b32 v5, 0x80000000, v3, v5
.LBB14_1482:
	s_mov_b32 s5, 0
	s_mov_b32 s10, -1
.LBB14_1483:
	s_andn2_b32 vcc_lo, exec_lo, s5
	s_mov_b32 s5, 0
	s_cbranch_vccnz .LBB14_1494
; %bb.1484:
	s_cmp_gt_i32 s0, 14
	s_cbranch_scc0 .LBB14_1487
; %bb.1485:
	s_cmp_eq_u32 s0, 15
	s_cbranch_scc0 .LBB14_1490
; %bb.1486:
	global_load_ushort v3, v[0:1], off
	s_mov_b32 s3, 0
	s_mov_b32 s10, -1
	s_waitcnt vmcnt(0)
	v_lshlrev_b32_e32 v5, 16, v3
	s_branch .LBB14_1492
.LBB14_1487:
	s_mov_b32 s5, -1
	s_branch .LBB14_1491
.LBB14_1488:
	s_or_saveexec_b32 s10, s10
	v_mov_b32_e32 v5, 0x7f800001
	s_xor_b32 exec_lo, exec_lo, s10
	s_cbranch_execz .LBB14_1469
.LBB14_1489:
	v_cmp_ne_u16_e32 vcc_lo, 0, v3
	v_mov_b32_e32 v5, 0
	s_andn2_b32 s5, s5, exec_lo
	s_and_b32 s11, vcc_lo, exec_lo
	s_or_b32 s5, s5, s11
	s_or_b32 exec_lo, exec_lo, s10
	s_and_saveexec_b32 s10, s5
	s_cbranch_execnz .LBB14_1470
	s_branch .LBB14_1471
.LBB14_1490:
	s_mov_b32 s3, -1
.LBB14_1491:
                                        ; implicit-def: $vgpr5
.LBB14_1492:
	s_and_b32 vcc_lo, exec_lo, s5
	s_mov_b32 s5, 0
	s_cbranch_vccz .LBB14_1494
; %bb.1493:
	s_cmp_lg_u32 s0, 11
	s_mov_b32 s5, -1
	s_cselect_b32 s3, -1, 0
.LBB14_1494:
	s_and_b32 vcc_lo, exec_lo, s3
	s_cbranch_vccnz .LBB14_2027
; %bb.1495:
	s_andn2_b32 vcc_lo, exec_lo, s5
	s_cbranch_vccnz .LBB14_1497
.LBB14_1496:
	global_load_ubyte v3, v[0:1], off
	s_mov_b32 s10, -1
	s_waitcnt vmcnt(0)
	v_cmp_ne_u16_e32 vcc_lo, 0, v3
	v_cndmask_b32_e64 v5, 0, 1.0, vcc_lo
.LBB14_1497:
	s_mov_b32 s3, 0
.LBB14_1498:
	s_and_b32 vcc_lo, exec_lo, s3
	s_cbranch_vccz .LBB14_1547
; %bb.1499:
	s_cmp_lt_i32 s0, 5
	s_cbranch_scc1 .LBB14_1504
; %bb.1500:
	s_cmp_lt_i32 s0, 8
	s_cbranch_scc1 .LBB14_1505
	;; [unrolled: 3-line block ×3, first 2 shown]
; %bb.1502:
	s_cmp_gt_i32 s0, 9
	s_cbranch_scc0 .LBB14_1507
; %bb.1503:
	global_load_dwordx2 v[8:9], v[0:1], off
	s_mov_b32 s3, 0
	s_waitcnt vmcnt(0)
	v_cvt_f32_f64_e32 v5, v[8:9]
	s_branch .LBB14_1508
.LBB14_1504:
	s_mov_b32 s3, -1
                                        ; implicit-def: $vgpr5
	s_branch .LBB14_1526
.LBB14_1505:
	s_mov_b32 s3, -1
                                        ; implicit-def: $vgpr5
	s_branch .LBB14_1514
.LBB14_1506:
	s_mov_b32 s3, -1
                                        ; implicit-def: $vgpr5
	s_branch .LBB14_1511
.LBB14_1507:
	s_mov_b32 s3, -1
                                        ; implicit-def: $vgpr5
.LBB14_1508:
	s_andn2_b32 vcc_lo, exec_lo, s3
	s_cbranch_vccnz .LBB14_1510
; %bb.1509:
	global_load_dword v5, v[0:1], off
.LBB14_1510:
	s_mov_b32 s3, 0
.LBB14_1511:
	s_andn2_b32 vcc_lo, exec_lo, s3
	s_cbranch_vccnz .LBB14_1513
; %bb.1512:
	global_load_dword v3, v[0:1], off
	s_waitcnt vmcnt(0)
	v_cvt_f32_f16_e32 v5, v3
.LBB14_1513:
	s_mov_b32 s3, 0
.LBB14_1514:
	s_andn2_b32 vcc_lo, exec_lo, s3
	s_cbranch_vccnz .LBB14_1525
; %bb.1515:
	s_cmp_lt_i32 s0, 6
	s_cbranch_scc1 .LBB14_1518
; %bb.1516:
	s_cmp_gt_i32 s0, 6
	s_cbranch_scc0 .LBB14_1519
; %bb.1517:
	global_load_dwordx2 v[8:9], v[0:1], off
	s_mov_b32 s3, 0
	s_waitcnt vmcnt(0)
	v_cvt_f32_f64_e32 v5, v[8:9]
	s_branch .LBB14_1520
.LBB14_1518:
	s_mov_b32 s3, -1
                                        ; implicit-def: $vgpr5
	s_branch .LBB14_1523
.LBB14_1519:
	s_mov_b32 s3, -1
                                        ; implicit-def: $vgpr5
.LBB14_1520:
	s_andn2_b32 vcc_lo, exec_lo, s3
	s_cbranch_vccnz .LBB14_1522
; %bb.1521:
	global_load_dword v5, v[0:1], off
.LBB14_1522:
	s_mov_b32 s3, 0
.LBB14_1523:
	s_andn2_b32 vcc_lo, exec_lo, s3
	s_cbranch_vccnz .LBB14_1525
; %bb.1524:
	global_load_ushort v3, v[0:1], off
	s_waitcnt vmcnt(0)
	v_cvt_f32_f16_e32 v5, v3
.LBB14_1525:
	s_mov_b32 s3, 0
.LBB14_1526:
	s_andn2_b32 vcc_lo, exec_lo, s3
	s_cbranch_vccnz .LBB14_1546
; %bb.1527:
	s_cmp_lt_i32 s0, 2
	s_cbranch_scc1 .LBB14_1531
; %bb.1528:
	s_cmp_lt_i32 s0, 3
	s_cbranch_scc1 .LBB14_1532
; %bb.1529:
	s_cmp_gt_i32 s0, 3
	s_cbranch_scc0 .LBB14_1533
; %bb.1530:
	global_load_dwordx2 v[8:9], v[0:1], off
	s_mov_b32 s3, 0
	s_waitcnt vmcnt(0)
	v_xor_b32_e32 v3, v8, v9
	v_ffbh_i32_e32 v5, v9
	v_ashrrev_i32_e32 v3, 31, v3
	v_add_nc_u32_e32 v5, -1, v5
	v_add_nc_u32_e32 v3, 32, v3
	v_min_u32_e32 v3, v5, v3
	v_lshlrev_b64 v[8:9], v3, v[8:9]
	v_sub_nc_u32_e32 v3, 32, v3
	v_min_u32_e32 v5, 1, v8
	v_or_b32_e32 v5, v9, v5
	v_cvt_f32_i32_e32 v5, v5
	v_ldexp_f32 v5, v5, v3
	s_branch .LBB14_1534
.LBB14_1531:
	s_mov_b32 s3, -1
                                        ; implicit-def: $vgpr5
	s_branch .LBB14_1540
.LBB14_1532:
	s_mov_b32 s3, -1
                                        ; implicit-def: $vgpr5
	s_branch .LBB14_1537
.LBB14_1533:
	s_mov_b32 s3, -1
                                        ; implicit-def: $vgpr5
.LBB14_1534:
	s_andn2_b32 vcc_lo, exec_lo, s3
	s_cbranch_vccnz .LBB14_1536
; %bb.1535:
	global_load_dword v3, v[0:1], off
	s_waitcnt vmcnt(0)
	v_cvt_f32_i32_e32 v5, v3
.LBB14_1536:
	s_mov_b32 s3, 0
.LBB14_1537:
	s_andn2_b32 vcc_lo, exec_lo, s3
	s_cbranch_vccnz .LBB14_1539
; %bb.1538:
	global_load_sshort v3, v[0:1], off
	s_waitcnt vmcnt(0)
	v_cvt_f32_i32_e32 v5, v3
.LBB14_1539:
	s_mov_b32 s3, 0
.LBB14_1540:
	s_andn2_b32 vcc_lo, exec_lo, s3
	s_cbranch_vccnz .LBB14_1546
; %bb.1541:
	s_cmp_gt_i32 s0, 0
	s_mov_b32 s0, 0
	s_cbranch_scc0 .LBB14_1543
; %bb.1542:
	global_load_sbyte v3, v[0:1], off
	s_waitcnt vmcnt(0)
	v_cvt_f32_i32_e32 v5, v3
	s_branch .LBB14_1544
.LBB14_1543:
	s_mov_b32 s0, -1
                                        ; implicit-def: $vgpr5
.LBB14_1544:
	s_andn2_b32 vcc_lo, exec_lo, s0
	s_cbranch_vccnz .LBB14_1546
; %bb.1545:
	global_load_ubyte v0, v[0:1], off
	s_waitcnt vmcnt(0)
	v_cvt_f32_ubyte0_e32 v5, v0
.LBB14_1546:
	s_mov_b32 s10, -1
.LBB14_1547:
	s_andn2_b32 vcc_lo, exec_lo, s10
	s_cbranch_vccnz .LBB14_1981
; %bb.1548:
	s_waitcnt vmcnt(0)
	v_rcp_f32_e64 v0, |v2|
	v_cmp_gt_f32_e64 vcc_lo, |v2|, 1.0
	s_mov_b32 s0, 0x3b2d2a58
	v_mul_lo_u32 v4, s2, v4
	s_and_b32 s12, s1, 0xff
	s_cmp_lt_i32 s12, 11
	v_cndmask_b32_e64 v0, |v2|, v0, vcc_lo
	v_ashrrev_i32_e32 v8, 31, v4
	v_mul_f32_e32 v1, v0, v0
	v_fmaak_f32 v3, s0, v1, 0xbc7a590c
	v_fmaak_f32 v3, v1, v3, 0x3d29fb3f
	;; [unrolled: 1-line block ×7, first 2 shown]
	v_mul_f32_e32 v1, v1, v3
	v_fmac_f32_e32 v0, v0, v1
	v_sub_f32_e32 v1, 0x3fc90fdb, v0
	v_cndmask_b32_e32 v3, v0, v1, vcc_lo
	v_add_co_u32 v0, vcc_lo, s8, v4
	v_add_co_ci_u32_e64 v1, null, s9, v8, vcc_lo
	v_bfi_b32 v2, 0x7fffffff, v3, v2
	s_cbranch_scc1 .LBB14_1626
; %bb.1549:
	s_and_b32 s1, 0xffff, s12
	s_mov_b32 s10, -1
	s_mov_b32 s3, 0
	s_cmp_gt_i32 s1, 25
	s_mov_b32 s5, 0
	s_mov_b32 s0, 0
	s_cbranch_scc0 .LBB14_1582
; %bb.1550:
	s_cmp_gt_i32 s1, 28
	s_cbranch_scc0 .LBB14_1565
; %bb.1551:
	s_cmp_gt_i32 s1, 43
	s_cbranch_scc0 .LBB14_1561
; %bb.1552:
	s_cmp_gt_i32 s1, 45
	s_cbranch_scc0 .LBB14_1555
; %bb.1553:
	s_mov_b32 s0, -1
	s_mov_b32 s10, 0
	s_cmp_eq_u32 s1, 46
	s_cbranch_scc0 .LBB14_1555
; %bb.1554:
	v_bfe_u32 v8, v2, 16, 1
	v_cmp_o_f32_e32 vcc_lo, v2, v2
	v_mov_b32_e32 v9, 0x7fc0
	s_mov_b32 s0, 0
	s_mov_b32 s5, -1
	v_add3_u32 v8, v2, v8, 0x7fff
	v_cndmask_b32_sdwa v8, v9, v8, vcc_lo dst_sel:DWORD dst_unused:UNUSED_PAD src0_sel:DWORD src1_sel:WORD_1
	global_store_dword v[0:1], v8, off
.LBB14_1555:
	s_and_b32 vcc_lo, exec_lo, s10
	s_cbranch_vccz .LBB14_1560
; %bb.1556:
	s_cmp_eq_u32 s1, 44
	s_mov_b32 s0, -1
	s_cbranch_scc0 .LBB14_1560
; %bb.1557:
	v_bfe_u32 v9, v2, 23, 8
	v_mov_b32_e32 v8, 0xff
	s_mov_b32 s5, exec_lo
	v_cmpx_ne_u32_e32 0xff, v9
	s_cbranch_execz .LBB14_1559
; %bb.1558:
	v_and_b32_e32 v8, 0x400000, v2
	v_and_or_b32 v9, 0x3fffff, v2, v9
	v_cmp_ne_u32_e32 vcc_lo, 0, v8
	v_cmp_ne_u32_e64 s0, 0, v9
	v_lshrrev_b32_e32 v8, 23, v2
	s_and_b32 s0, vcc_lo, s0
	v_cndmask_b32_e64 v9, 0, 1, s0
	v_add_nc_u32_e32 v8, v8, v9
.LBB14_1559:
	s_or_b32 exec_lo, exec_lo, s5
	s_mov_b32 s0, 0
	s_mov_b32 s5, -1
	global_store_byte v[0:1], v8, off
.LBB14_1560:
	s_mov_b32 s10, 0
.LBB14_1561:
	s_and_b32 vcc_lo, exec_lo, s10
	s_cbranch_vccz .LBB14_1564
; %bb.1562:
	s_cmp_eq_u32 s1, 29
	s_mov_b32 s0, -1
	s_cbranch_scc0 .LBB14_1564
; %bb.1563:
	v_trunc_f32_e32 v8, v2
	s_mov_b32 s0, 0
	s_mov_b32 s5, -1
	v_mul_f32_e32 v9, 0x2f800000, v8
	v_floor_f32_e32 v9, v9
	v_fmamk_f32 v8, v9, 0xcf800000, v8
	v_cvt_u32_f32_e32 v9, v9
	v_cvt_u32_f32_e32 v8, v8
	global_store_dwordx2 v[0:1], v[8:9], off
.LBB14_1564:
	s_mov_b32 s10, 0
.LBB14_1565:
	s_and_b32 vcc_lo, exec_lo, s10
	s_cbranch_vccz .LBB14_1581
; %bb.1566:
	s_cmp_lt_i32 s1, 27
	s_mov_b32 s5, -1
	s_cbranch_scc1 .LBB14_1572
; %bb.1567:
	v_cvt_u32_f32_e32 v8, v2
	s_cmp_gt_i32 s1, 27
	s_cbranch_scc0 .LBB14_1569
; %bb.1568:
	s_mov_b32 s5, 0
	global_store_dword v[0:1], v8, off
.LBB14_1569:
	s_andn2_b32 vcc_lo, exec_lo, s5
	s_cbranch_vccnz .LBB14_1571
; %bb.1570:
	global_store_short v[0:1], v8, off
.LBB14_1571:
	s_mov_b32 s5, 0
.LBB14_1572:
	s_andn2_b32 vcc_lo, exec_lo, s5
	s_cbranch_vccnz .LBB14_1580
; %bb.1573:
	v_and_b32_e32 v8, 0x7fffffff, v3
	v_mov_b32_e32 v9, 0x80
	s_mov_b32 s5, exec_lo
	v_cmpx_gt_u32_e32 0x43800000, v8
	s_cbranch_execz .LBB14_1579
; %bb.1574:
	v_cmp_lt_u32_e32 vcc_lo, 0x3bffffff, v8
	s_mov_b32 s10, 0
                                        ; implicit-def: $vgpr8
	s_and_saveexec_b32 s11, vcc_lo
	s_xor_b32 s11, exec_lo, s11
	s_cbranch_execz .LBB14_2028
; %bb.1575:
	v_bfe_u32 v8, v2, 20, 1
	s_mov_b32 s10, exec_lo
	v_add3_u32 v8, v2, v8, 0x487ffff
	v_lshrrev_b32_e32 v8, 20, v8
	s_andn2_saveexec_b32 s11, s11
	s_cbranch_execnz .LBB14_2029
.LBB14_1576:
	s_or_b32 exec_lo, exec_lo, s11
	v_mov_b32_e32 v9, 0
	s_and_saveexec_b32 s11, s10
.LBB14_1577:
	v_lshrrev_b32_e32 v9, 24, v2
	v_and_or_b32 v9, 0x80, v9, v8
.LBB14_1578:
	s_or_b32 exec_lo, exec_lo, s11
.LBB14_1579:
	s_or_b32 exec_lo, exec_lo, s5
	global_store_byte v[0:1], v9, off
.LBB14_1580:
	s_mov_b32 s5, -1
.LBB14_1581:
	s_mov_b32 s10, 0
.LBB14_1582:
	s_and_b32 vcc_lo, exec_lo, s10
	s_cbranch_vccz .LBB14_1622
; %bb.1583:
	s_cmp_gt_i32 s1, 22
	s_mov_b32 s3, -1
	s_cbranch_scc0 .LBB14_1615
; %bb.1584:
	s_cmp_lt_i32 s1, 24
	s_cbranch_scc1 .LBB14_1604
; %bb.1585:
	s_cmp_gt_i32 s1, 24
	s_cbranch_scc0 .LBB14_1593
; %bb.1586:
	v_and_b32_e32 v8, 0x7fffffff, v3
	v_mov_b32_e32 v9, 0x80
	s_mov_b32 s3, exec_lo
	v_cmpx_gt_u32_e32 0x47800000, v8
	s_cbranch_execz .LBB14_1592
; %bb.1587:
	v_cmp_lt_u32_e32 vcc_lo, 0x37ffffff, v8
	s_mov_b32 s5, 0
                                        ; implicit-def: $vgpr8
	s_and_saveexec_b32 s10, vcc_lo
	s_xor_b32 s10, exec_lo, s10
	s_cbranch_execz .LBB14_2031
; %bb.1588:
	v_bfe_u32 v8, v2, 21, 1
	s_mov_b32 s5, exec_lo
	v_add3_u32 v8, v2, v8, 0x88fffff
	v_lshrrev_b32_e32 v8, 21, v8
	s_andn2_saveexec_b32 s10, s10
	s_cbranch_execnz .LBB14_2032
.LBB14_1589:
	s_or_b32 exec_lo, exec_lo, s10
	v_mov_b32_e32 v9, 0
	s_and_saveexec_b32 s10, s5
.LBB14_1590:
	v_lshrrev_b32_e32 v9, 24, v2
	v_and_or_b32 v9, 0x80, v9, v8
.LBB14_1591:
	s_or_b32 exec_lo, exec_lo, s10
.LBB14_1592:
	s_or_b32 exec_lo, exec_lo, s3
	s_mov_b32 s3, 0
	global_store_byte v[0:1], v9, off
.LBB14_1593:
	s_and_b32 vcc_lo, exec_lo, s3
	s_cbranch_vccz .LBB14_1603
; %bb.1594:
	v_and_b32_e32 v9, 0x7fffffff, v3
	s_mov_b32 s3, exec_lo
                                        ; implicit-def: $vgpr8
	v_cmpx_gt_u32_e32 0x43f00000, v9
	s_xor_b32 s3, exec_lo, s3
	s_cbranch_execz .LBB14_1600
; %bb.1595:
	s_mov_b32 s5, exec_lo
                                        ; implicit-def: $vgpr8
	v_cmpx_lt_u32_e32 0x3c7fffff, v9
	s_xor_b32 s5, exec_lo, s5
; %bb.1596:
	v_bfe_u32 v8, v2, 20, 1
	v_add3_u32 v8, v2, v8, 0x407ffff
	v_and_b32_e32 v9, 0xff00000, v8
	v_lshrrev_b32_e32 v8, 20, v8
	v_cmp_ne_u32_e32 vcc_lo, 0x7f00000, v9
	v_cndmask_b32_e32 v8, 0x7e, v8, vcc_lo
; %bb.1597:
	s_andn2_saveexec_b32 s5, s5
; %bb.1598:
	v_add_f32_e64 v8, 0x46800000, |v3|
; %bb.1599:
	s_or_b32 exec_lo, exec_lo, s5
                                        ; implicit-def: $vgpr9
.LBB14_1600:
	s_andn2_saveexec_b32 s3, s3
; %bb.1601:
	v_mov_b32_e32 v8, 0x7f
	v_cmp_lt_u32_e32 vcc_lo, 0x7f800000, v9
	v_cndmask_b32_e32 v8, 0x7e, v8, vcc_lo
; %bb.1602:
	s_or_b32 exec_lo, exec_lo, s3
	v_lshrrev_b32_e32 v9, 24, v2
	v_and_or_b32 v8, 0x80, v9, v8
	global_store_byte v[0:1], v8, off
.LBB14_1603:
	s_mov_b32 s3, 0
.LBB14_1604:
	s_andn2_b32 vcc_lo, exec_lo, s3
	s_cbranch_vccnz .LBB14_1614
; %bb.1605:
	v_and_b32_e32 v9, 0x7fffffff, v3
	s_mov_b32 s3, exec_lo
                                        ; implicit-def: $vgpr8
	v_cmpx_gt_u32_e32 0x47800000, v9
	s_xor_b32 s3, exec_lo, s3
	s_cbranch_execz .LBB14_1611
; %bb.1606:
	s_mov_b32 s5, exec_lo
                                        ; implicit-def: $vgpr8
	v_cmpx_lt_u32_e32 0x387fffff, v9
	s_xor_b32 s5, exec_lo, s5
; %bb.1607:
	v_bfe_u32 v3, v2, 21, 1
	v_add3_u32 v3, v2, v3, 0x80fffff
	v_lshrrev_b32_e32 v8, 21, v3
                                        ; implicit-def: $vgpr3
; %bb.1608:
	s_andn2_saveexec_b32 s5, s5
; %bb.1609:
	v_add_f32_e64 v8, 0x43000000, |v3|
; %bb.1610:
	s_or_b32 exec_lo, exec_lo, s5
                                        ; implicit-def: $vgpr9
.LBB14_1611:
	s_andn2_saveexec_b32 s3, s3
; %bb.1612:
	v_mov_b32_e32 v3, 0x7f
	v_cmp_lt_u32_e32 vcc_lo, 0x7f800000, v9
	v_cndmask_b32_e32 v8, 0x7c, v3, vcc_lo
; %bb.1613:
	s_or_b32 exec_lo, exec_lo, s3
	v_lshrrev_b32_e32 v3, 24, v2
	v_and_or_b32 v3, 0x80, v3, v8
	global_store_byte v[0:1], v3, off
.LBB14_1614:
	s_mov_b32 s3, 0
	s_mov_b32 s5, -1
.LBB14_1615:
	s_andn2_b32 vcc_lo, exec_lo, s3
	s_mov_b32 s3, 0
	s_cbranch_vccnz .LBB14_1622
; %bb.1616:
	s_cmp_gt_i32 s1, 14
	s_mov_b32 s3, -1
	s_cbranch_scc0 .LBB14_1620
; %bb.1617:
	s_cmp_eq_u32 s1, 15
	s_mov_b32 s0, -1
	s_cbranch_scc0 .LBB14_1619
; %bb.1618:
	v_bfe_u32 v3, v2, 16, 1
	v_cmp_o_f32_e32 vcc_lo, v2, v2
	v_mov_b32_e32 v8, 0x7fc0
	s_mov_b32 s0, 0
	s_mov_b32 s5, -1
	v_add3_u32 v3, v2, v3, 0x7fff
	v_cndmask_b32_sdwa v3, v8, v3, vcc_lo dst_sel:DWORD dst_unused:UNUSED_PAD src0_sel:DWORD src1_sel:WORD_1
	global_store_short v[0:1], v3, off
.LBB14_1619:
	s_mov_b32 s3, 0
.LBB14_1620:
	s_and_b32 vcc_lo, exec_lo, s3
	s_mov_b32 s3, 0
	s_cbranch_vccz .LBB14_1622
; %bb.1621:
	s_cmp_lg_u32 s1, 11
	s_mov_b32 s3, -1
	s_cselect_b32 s0, -1, 0
.LBB14_1622:
	s_and_b32 vcc_lo, exec_lo, s0
	s_cbranch_vccnz .LBB14_2030
; %bb.1623:
	s_andn2_b32 vcc_lo, exec_lo, s3
	s_cbranch_vccnz .LBB14_1625
.LBB14_1624:
	v_cmp_neq_f32_e32 vcc_lo, 0, v2
	s_mov_b32 s5, -1
	v_cndmask_b32_e64 v3, 0, 1, vcc_lo
	global_store_byte v[0:1], v3, off
.LBB14_1625:
	s_mov_b32 s0, 0
	s_branch .LBB14_1627
.LBB14_1626:
	s_mov_b32 s0, -1
	s_mov_b32 s5, 0
.LBB14_1627:
	s_and_b32 vcc_lo, exec_lo, s0
	s_cbranch_vccz .LBB14_1666
; %bb.1628:
	s_and_b32 s0, 0xffff, s12
	s_mov_b32 s1, -1
	s_cmp_lt_i32 s0, 5
	s_cbranch_scc1 .LBB14_1649
; %bb.1629:
	s_cmp_lt_i32 s0, 8
	s_cbranch_scc1 .LBB14_1639
; %bb.1630:
	;; [unrolled: 3-line block ×3, first 2 shown]
	s_cmp_gt_i32 s0, 9
	s_cbranch_scc0 .LBB14_1633
; %bb.1632:
	v_cvt_f64_f32_e32 v[8:9], v2
	v_mov_b32_e32 v10, 0
	s_mov_b32 s1, 0
	v_mov_b32_e32 v11, v10
	global_store_dwordx4 v[0:1], v[8:11], off
.LBB14_1633:
	s_andn2_b32 vcc_lo, exec_lo, s1
	s_cbranch_vccnz .LBB14_1635
; %bb.1634:
	v_mov_b32_e32 v3, 0
	global_store_dwordx2 v[0:1], v[2:3], off
.LBB14_1635:
	s_mov_b32 s1, 0
.LBB14_1636:
	s_andn2_b32 vcc_lo, exec_lo, s1
	s_cbranch_vccnz .LBB14_1638
; %bb.1637:
	v_cvt_f16_f32_e32 v3, v2
	v_and_b32_e32 v3, 0xffff, v3
	global_store_dword v[0:1], v3, off
.LBB14_1638:
	s_mov_b32 s1, 0
.LBB14_1639:
	s_andn2_b32 vcc_lo, exec_lo, s1
	s_cbranch_vccnz .LBB14_1648
; %bb.1640:
	s_cmp_lt_i32 s0, 6
	s_mov_b32 s1, -1
	s_cbranch_scc1 .LBB14_1646
; %bb.1641:
	s_cmp_gt_i32 s0, 6
	s_cbranch_scc0 .LBB14_1643
; %bb.1642:
	v_cvt_f64_f32_e32 v[8:9], v2
	s_mov_b32 s1, 0
	global_store_dwordx2 v[0:1], v[8:9], off
.LBB14_1643:
	s_andn2_b32 vcc_lo, exec_lo, s1
	s_cbranch_vccnz .LBB14_1645
; %bb.1644:
	global_store_dword v[0:1], v2, off
.LBB14_1645:
	s_mov_b32 s1, 0
.LBB14_1646:
	s_andn2_b32 vcc_lo, exec_lo, s1
	s_cbranch_vccnz .LBB14_1648
; %bb.1647:
	v_cvt_f16_f32_e32 v3, v2
	global_store_short v[0:1], v3, off
.LBB14_1648:
	s_mov_b32 s1, 0
.LBB14_1649:
	s_andn2_b32 vcc_lo, exec_lo, s1
	s_cbranch_vccnz .LBB14_1665
; %bb.1650:
	s_cmp_lt_i32 s0, 2
	s_mov_b32 s1, -1
	s_cbranch_scc1 .LBB14_1660
; %bb.1651:
	s_cmp_lt_i32 s0, 3
	s_cbranch_scc1 .LBB14_1657
; %bb.1652:
	s_cmp_gt_i32 s0, 3
	s_cbranch_scc0 .LBB14_1654
; %bb.1653:
	v_trunc_f32_e32 v3, v2
	s_mov_b32 s1, 0
	v_mul_f32_e64 v8, 0x2f800000, |v3|
	v_floor_f32_e32 v8, v8
	v_fma_f32 v9, 0xcf800000, v8, |v3|
	v_ashrrev_i32_e32 v3, 31, v3
	v_cvt_u32_f32_e32 v8, v8
	v_cvt_u32_f32_e32 v9, v9
	v_xor_b32_e32 v10, v8, v3
	v_xor_b32_e32 v9, v9, v3
	v_sub_co_u32 v8, vcc_lo, v9, v3
	v_sub_co_ci_u32_e64 v9, null, v10, v3, vcc_lo
	global_store_dwordx2 v[0:1], v[8:9], off
.LBB14_1654:
	s_andn2_b32 vcc_lo, exec_lo, s1
	s_cbranch_vccnz .LBB14_1656
; %bb.1655:
	v_cvt_i32_f32_e32 v3, v2
	global_store_dword v[0:1], v3, off
.LBB14_1656:
	s_mov_b32 s1, 0
.LBB14_1657:
	s_andn2_b32 vcc_lo, exec_lo, s1
	s_cbranch_vccnz .LBB14_1659
; %bb.1658:
	v_cvt_i32_f32_e32 v3, v2
	global_store_short v[0:1], v3, off
.LBB14_1659:
	s_mov_b32 s1, 0
.LBB14_1660:
	s_andn2_b32 vcc_lo, exec_lo, s1
	s_cbranch_vccnz .LBB14_1665
; %bb.1661:
	s_cmp_gt_i32 s0, 0
	s_mov_b32 s0, -1
	s_cbranch_scc0 .LBB14_1663
; %bb.1662:
	v_cvt_i32_f32_e32 v3, v2
	s_mov_b32 s0, 0
	global_store_byte v[0:1], v3, off
.LBB14_1663:
	s_andn2_b32 vcc_lo, exec_lo, s0
	s_cbranch_vccnz .LBB14_1665
; %bb.1664:
	v_trunc_f32_e32 v2, v2
	v_mul_f32_e64 v3, 0x2f800000, |v2|
	v_floor_f32_e32 v3, v3
	v_fma_f32 v3, 0xcf800000, v3, |v2|
	v_ashrrev_i32_e32 v2, 31, v2
	v_cvt_u32_f32_e32 v3, v3
	v_xor_b32_e32 v3, v3, v2
	v_sub_nc_u32_e32 v2, v3, v2
	global_store_byte v[0:1], v2, off
.LBB14_1665:
	s_mov_b32 s5, -1
.LBB14_1666:
	s_andn2_b32 vcc_lo, exec_lo, s5
	s_cbranch_vccnz .LBB14_1981
; %bb.1667:
	v_rcp_f32_e64 v0, |v7|
	v_cmp_gt_f32_e64 vcc_lo, |v7|, 1.0
	s_mov_b32 s0, 0x3b2d2a58
	s_lshl_b32 s1, s2, 7
	s_cmp_lt_i32 s12, 11
	v_add_nc_u32_e32 v4, s1, v4
	v_cndmask_b32_e64 v0, |v7|, v0, vcc_lo
	v_mul_f32_e32 v1, v0, v0
	v_fmaak_f32 v2, s0, v1, 0xbc7a590c
	v_fmaak_f32 v2, v1, v2, 0x3d29fb3f
	;; [unrolled: 1-line block ×7, first 2 shown]
	v_mul_f32_e32 v1, v1, v2
	v_fmac_f32_e32 v0, v0, v1
	v_sub_f32_e32 v1, 0x3fc90fdb, v0
	v_cndmask_b32_e32 v3, v0, v1, vcc_lo
	v_ashrrev_i32_e32 v1, 31, v4
	v_add_co_u32 v0, vcc_lo, s8, v4
	v_bfi_b32 v2, 0x7fffffff, v3, v7
	v_add_co_ci_u32_e64 v1, null, s9, v1, vcc_lo
	s_cbranch_scc1 .LBB14_1745
; %bb.1668:
	s_and_b32 s2, 0xffff, s12
	s_mov_b32 s10, -1
	s_mov_b32 s3, 0
	s_cmp_gt_i32 s2, 25
	s_mov_b32 s5, 0
	s_mov_b32 s0, 0
	s_cbranch_scc0 .LBB14_1701
; %bb.1669:
	s_cmp_gt_i32 s2, 28
	s_cbranch_scc0 .LBB14_1684
; %bb.1670:
	s_cmp_gt_i32 s2, 43
	;; [unrolled: 3-line block ×3, first 2 shown]
	s_cbranch_scc0 .LBB14_1674
; %bb.1672:
	s_mov_b32 s0, -1
	s_mov_b32 s10, 0
	s_cmp_eq_u32 s2, 46
	s_cbranch_scc0 .LBB14_1674
; %bb.1673:
	v_bfe_u32 v7, v2, 16, 1
	v_cmp_o_f32_e32 vcc_lo, v2, v2
	v_mov_b32_e32 v8, 0x7fc0
	s_mov_b32 s0, 0
	s_mov_b32 s5, -1
	v_add3_u32 v7, v2, v7, 0x7fff
	v_cndmask_b32_sdwa v7, v8, v7, vcc_lo dst_sel:DWORD dst_unused:UNUSED_PAD src0_sel:DWORD src1_sel:WORD_1
	global_store_dword v[0:1], v7, off
.LBB14_1674:
	s_and_b32 vcc_lo, exec_lo, s10
	s_cbranch_vccz .LBB14_1679
; %bb.1675:
	s_cmp_eq_u32 s2, 44
	s_mov_b32 s0, -1
	s_cbranch_scc0 .LBB14_1679
; %bb.1676:
	v_bfe_u32 v8, v2, 23, 8
	v_mov_b32_e32 v7, 0xff
	s_mov_b32 s5, exec_lo
	v_cmpx_ne_u32_e32 0xff, v8
	s_cbranch_execz .LBB14_1678
; %bb.1677:
	v_and_b32_e32 v7, 0x400000, v2
	v_and_or_b32 v8, 0x3fffff, v2, v8
	v_cmp_ne_u32_e32 vcc_lo, 0, v7
	v_cmp_ne_u32_e64 s0, 0, v8
	v_lshrrev_b32_e32 v7, 23, v2
	s_and_b32 s0, vcc_lo, s0
	v_cndmask_b32_e64 v8, 0, 1, s0
	v_add_nc_u32_e32 v7, v7, v8
.LBB14_1678:
	s_or_b32 exec_lo, exec_lo, s5
	s_mov_b32 s0, 0
	s_mov_b32 s5, -1
	global_store_byte v[0:1], v7, off
.LBB14_1679:
	s_mov_b32 s10, 0
.LBB14_1680:
	s_and_b32 vcc_lo, exec_lo, s10
	s_cbranch_vccz .LBB14_1683
; %bb.1681:
	s_cmp_eq_u32 s2, 29
	s_mov_b32 s0, -1
	s_cbranch_scc0 .LBB14_1683
; %bb.1682:
	v_trunc_f32_e32 v7, v2
	s_mov_b32 s0, 0
	s_mov_b32 s5, -1
	v_mul_f32_e32 v8, 0x2f800000, v7
	v_floor_f32_e32 v8, v8
	v_fmamk_f32 v7, v8, 0xcf800000, v7
	v_cvt_u32_f32_e32 v8, v8
	v_cvt_u32_f32_e32 v7, v7
	global_store_dwordx2 v[0:1], v[7:8], off
.LBB14_1683:
	s_mov_b32 s10, 0
.LBB14_1684:
	s_and_b32 vcc_lo, exec_lo, s10
	s_cbranch_vccz .LBB14_1700
; %bb.1685:
	s_cmp_lt_i32 s2, 27
	s_mov_b32 s5, -1
	s_cbranch_scc1 .LBB14_1691
; %bb.1686:
	v_cvt_u32_f32_e32 v7, v2
	s_cmp_gt_i32 s2, 27
	s_cbranch_scc0 .LBB14_1688
; %bb.1687:
	s_mov_b32 s5, 0
	global_store_dword v[0:1], v7, off
.LBB14_1688:
	s_andn2_b32 vcc_lo, exec_lo, s5
	s_cbranch_vccnz .LBB14_1690
; %bb.1689:
	global_store_short v[0:1], v7, off
.LBB14_1690:
	s_mov_b32 s5, 0
.LBB14_1691:
	s_andn2_b32 vcc_lo, exec_lo, s5
	s_cbranch_vccnz .LBB14_1699
; %bb.1692:
	v_and_b32_e32 v7, 0x7fffffff, v3
	v_mov_b32_e32 v8, 0x80
	s_mov_b32 s5, exec_lo
	v_cmpx_gt_u32_e32 0x43800000, v7
	s_cbranch_execz .LBB14_1698
; %bb.1693:
	v_cmp_lt_u32_e32 vcc_lo, 0x3bffffff, v7
	s_mov_b32 s10, 0
                                        ; implicit-def: $vgpr7
	s_and_saveexec_b32 s11, vcc_lo
	s_xor_b32 s11, exec_lo, s11
	s_cbranch_execz .LBB14_2033
; %bb.1694:
	v_bfe_u32 v7, v2, 20, 1
	s_mov_b32 s10, exec_lo
	v_add3_u32 v7, v2, v7, 0x487ffff
	v_lshrrev_b32_e32 v7, 20, v7
	s_andn2_saveexec_b32 s11, s11
	s_cbranch_execnz .LBB14_2034
.LBB14_1695:
	s_or_b32 exec_lo, exec_lo, s11
	v_mov_b32_e32 v8, 0
	s_and_saveexec_b32 s11, s10
.LBB14_1696:
	v_lshrrev_b32_e32 v8, 24, v2
	v_and_or_b32 v8, 0x80, v8, v7
.LBB14_1697:
	s_or_b32 exec_lo, exec_lo, s11
.LBB14_1698:
	s_or_b32 exec_lo, exec_lo, s5
	global_store_byte v[0:1], v8, off
.LBB14_1699:
	s_mov_b32 s5, -1
.LBB14_1700:
	s_mov_b32 s10, 0
.LBB14_1701:
	s_and_b32 vcc_lo, exec_lo, s10
	s_cbranch_vccz .LBB14_1741
; %bb.1702:
	s_cmp_gt_i32 s2, 22
	s_mov_b32 s3, -1
	s_cbranch_scc0 .LBB14_1734
; %bb.1703:
	s_cmp_lt_i32 s2, 24
	s_cbranch_scc1 .LBB14_1723
; %bb.1704:
	s_cmp_gt_i32 s2, 24
	s_cbranch_scc0 .LBB14_1712
; %bb.1705:
	v_and_b32_e32 v7, 0x7fffffff, v3
	v_mov_b32_e32 v8, 0x80
	s_mov_b32 s3, exec_lo
	v_cmpx_gt_u32_e32 0x47800000, v7
	s_cbranch_execz .LBB14_1711
; %bb.1706:
	v_cmp_lt_u32_e32 vcc_lo, 0x37ffffff, v7
	s_mov_b32 s5, 0
                                        ; implicit-def: $vgpr7
	s_and_saveexec_b32 s10, vcc_lo
	s_xor_b32 s10, exec_lo, s10
	s_cbranch_execz .LBB14_2036
; %bb.1707:
	v_bfe_u32 v7, v2, 21, 1
	s_mov_b32 s5, exec_lo
	v_add3_u32 v7, v2, v7, 0x88fffff
	v_lshrrev_b32_e32 v7, 21, v7
	s_andn2_saveexec_b32 s10, s10
	s_cbranch_execnz .LBB14_2037
.LBB14_1708:
	s_or_b32 exec_lo, exec_lo, s10
	v_mov_b32_e32 v8, 0
	s_and_saveexec_b32 s10, s5
.LBB14_1709:
	v_lshrrev_b32_e32 v8, 24, v2
	v_and_or_b32 v8, 0x80, v8, v7
.LBB14_1710:
	s_or_b32 exec_lo, exec_lo, s10
.LBB14_1711:
	s_or_b32 exec_lo, exec_lo, s3
	s_mov_b32 s3, 0
	global_store_byte v[0:1], v8, off
.LBB14_1712:
	s_and_b32 vcc_lo, exec_lo, s3
	s_cbranch_vccz .LBB14_1722
; %bb.1713:
	v_and_b32_e32 v8, 0x7fffffff, v3
	s_mov_b32 s3, exec_lo
                                        ; implicit-def: $vgpr7
	v_cmpx_gt_u32_e32 0x43f00000, v8
	s_xor_b32 s3, exec_lo, s3
	s_cbranch_execz .LBB14_1719
; %bb.1714:
	s_mov_b32 s5, exec_lo
                                        ; implicit-def: $vgpr7
	v_cmpx_lt_u32_e32 0x3c7fffff, v8
	s_xor_b32 s5, exec_lo, s5
; %bb.1715:
	v_bfe_u32 v7, v2, 20, 1
	v_add3_u32 v7, v2, v7, 0x407ffff
	v_and_b32_e32 v8, 0xff00000, v7
	v_lshrrev_b32_e32 v7, 20, v7
	v_cmp_ne_u32_e32 vcc_lo, 0x7f00000, v8
	v_cndmask_b32_e32 v7, 0x7e, v7, vcc_lo
; %bb.1716:
	s_andn2_saveexec_b32 s5, s5
; %bb.1717:
	v_add_f32_e64 v7, 0x46800000, |v3|
; %bb.1718:
	s_or_b32 exec_lo, exec_lo, s5
                                        ; implicit-def: $vgpr8
.LBB14_1719:
	s_andn2_saveexec_b32 s3, s3
; %bb.1720:
	v_mov_b32_e32 v7, 0x7f
	v_cmp_lt_u32_e32 vcc_lo, 0x7f800000, v8
	v_cndmask_b32_e32 v7, 0x7e, v7, vcc_lo
; %bb.1721:
	s_or_b32 exec_lo, exec_lo, s3
	v_lshrrev_b32_e32 v8, 24, v2
	v_and_or_b32 v7, 0x80, v8, v7
	global_store_byte v[0:1], v7, off
.LBB14_1722:
	s_mov_b32 s3, 0
.LBB14_1723:
	s_andn2_b32 vcc_lo, exec_lo, s3
	s_cbranch_vccnz .LBB14_1733
; %bb.1724:
	v_and_b32_e32 v8, 0x7fffffff, v3
	s_mov_b32 s3, exec_lo
                                        ; implicit-def: $vgpr7
	v_cmpx_gt_u32_e32 0x47800000, v8
	s_xor_b32 s3, exec_lo, s3
	s_cbranch_execz .LBB14_1730
; %bb.1725:
	s_mov_b32 s5, exec_lo
                                        ; implicit-def: $vgpr7
	v_cmpx_lt_u32_e32 0x387fffff, v8
	s_xor_b32 s5, exec_lo, s5
; %bb.1726:
	v_bfe_u32 v3, v2, 21, 1
	v_add3_u32 v3, v2, v3, 0x80fffff
	v_lshrrev_b32_e32 v7, 21, v3
                                        ; implicit-def: $vgpr3
; %bb.1727:
	s_andn2_saveexec_b32 s5, s5
; %bb.1728:
	v_add_f32_e64 v7, 0x43000000, |v3|
; %bb.1729:
	s_or_b32 exec_lo, exec_lo, s5
                                        ; implicit-def: $vgpr8
.LBB14_1730:
	s_andn2_saveexec_b32 s3, s3
; %bb.1731:
	v_mov_b32_e32 v3, 0x7f
	v_cmp_lt_u32_e32 vcc_lo, 0x7f800000, v8
	v_cndmask_b32_e32 v7, 0x7c, v3, vcc_lo
; %bb.1732:
	s_or_b32 exec_lo, exec_lo, s3
	v_lshrrev_b32_e32 v3, 24, v2
	v_and_or_b32 v3, 0x80, v3, v7
	global_store_byte v[0:1], v3, off
.LBB14_1733:
	s_mov_b32 s3, 0
	s_mov_b32 s5, -1
.LBB14_1734:
	s_andn2_b32 vcc_lo, exec_lo, s3
	s_mov_b32 s3, 0
	s_cbranch_vccnz .LBB14_1741
; %bb.1735:
	s_cmp_gt_i32 s2, 14
	s_mov_b32 s3, -1
	s_cbranch_scc0 .LBB14_1739
; %bb.1736:
	s_cmp_eq_u32 s2, 15
	s_mov_b32 s0, -1
	s_cbranch_scc0 .LBB14_1738
; %bb.1737:
	v_bfe_u32 v3, v2, 16, 1
	v_cmp_o_f32_e32 vcc_lo, v2, v2
	v_mov_b32_e32 v7, 0x7fc0
	s_mov_b32 s0, 0
	s_mov_b32 s5, -1
	v_add3_u32 v3, v2, v3, 0x7fff
	v_cndmask_b32_sdwa v3, v7, v3, vcc_lo dst_sel:DWORD dst_unused:UNUSED_PAD src0_sel:DWORD src1_sel:WORD_1
	global_store_short v[0:1], v3, off
.LBB14_1738:
	s_mov_b32 s3, 0
.LBB14_1739:
	s_and_b32 vcc_lo, exec_lo, s3
	s_mov_b32 s3, 0
	s_cbranch_vccz .LBB14_1741
; %bb.1740:
	s_cmp_lg_u32 s2, 11
	s_mov_b32 s3, -1
	s_cselect_b32 s0, -1, 0
.LBB14_1741:
	s_and_b32 vcc_lo, exec_lo, s0
	s_cbranch_vccnz .LBB14_2035
; %bb.1742:
	s_andn2_b32 vcc_lo, exec_lo, s3
	s_cbranch_vccnz .LBB14_1744
.LBB14_1743:
	v_cmp_neq_f32_e32 vcc_lo, 0, v2
	s_mov_b32 s5, -1
	v_cndmask_b32_e64 v3, 0, 1, vcc_lo
	global_store_byte v[0:1], v3, off
.LBB14_1744:
	s_mov_b32 s0, 0
	s_branch .LBB14_1746
.LBB14_1745:
	s_mov_b32 s0, -1
	s_mov_b32 s5, 0
.LBB14_1746:
	s_and_b32 vcc_lo, exec_lo, s0
	s_cbranch_vccz .LBB14_1785
; %bb.1747:
	s_and_b32 s0, 0xffff, s12
	s_mov_b32 s2, -1
	s_cmp_lt_i32 s0, 5
	s_cbranch_scc1 .LBB14_1768
; %bb.1748:
	s_cmp_lt_i32 s0, 8
	s_cbranch_scc1 .LBB14_1758
; %bb.1749:
	;; [unrolled: 3-line block ×3, first 2 shown]
	s_cmp_gt_i32 s0, 9
	s_cbranch_scc0 .LBB14_1752
; %bb.1751:
	v_cvt_f64_f32_e32 v[7:8], v2
	v_mov_b32_e32 v9, 0
	s_mov_b32 s2, 0
	v_mov_b32_e32 v10, v9
	global_store_dwordx4 v[0:1], v[7:10], off
.LBB14_1752:
	s_andn2_b32 vcc_lo, exec_lo, s2
	s_cbranch_vccnz .LBB14_1754
; %bb.1753:
	v_mov_b32_e32 v3, 0
	global_store_dwordx2 v[0:1], v[2:3], off
.LBB14_1754:
	s_mov_b32 s2, 0
.LBB14_1755:
	s_andn2_b32 vcc_lo, exec_lo, s2
	s_cbranch_vccnz .LBB14_1757
; %bb.1756:
	v_cvt_f16_f32_e32 v3, v2
	v_and_b32_e32 v3, 0xffff, v3
	global_store_dword v[0:1], v3, off
.LBB14_1757:
	s_mov_b32 s2, 0
.LBB14_1758:
	s_andn2_b32 vcc_lo, exec_lo, s2
	s_cbranch_vccnz .LBB14_1767
; %bb.1759:
	s_cmp_lt_i32 s0, 6
	s_mov_b32 s2, -1
	s_cbranch_scc1 .LBB14_1765
; %bb.1760:
	s_cmp_gt_i32 s0, 6
	s_cbranch_scc0 .LBB14_1762
; %bb.1761:
	v_cvt_f64_f32_e32 v[7:8], v2
	s_mov_b32 s2, 0
	global_store_dwordx2 v[0:1], v[7:8], off
.LBB14_1762:
	s_andn2_b32 vcc_lo, exec_lo, s2
	s_cbranch_vccnz .LBB14_1764
; %bb.1763:
	global_store_dword v[0:1], v2, off
.LBB14_1764:
	s_mov_b32 s2, 0
.LBB14_1765:
	s_andn2_b32 vcc_lo, exec_lo, s2
	s_cbranch_vccnz .LBB14_1767
; %bb.1766:
	v_cvt_f16_f32_e32 v3, v2
	global_store_short v[0:1], v3, off
.LBB14_1767:
	s_mov_b32 s2, 0
.LBB14_1768:
	s_andn2_b32 vcc_lo, exec_lo, s2
	s_cbranch_vccnz .LBB14_1784
; %bb.1769:
	s_cmp_lt_i32 s0, 2
	s_mov_b32 s2, -1
	s_cbranch_scc1 .LBB14_1779
; %bb.1770:
	s_cmp_lt_i32 s0, 3
	s_cbranch_scc1 .LBB14_1776
; %bb.1771:
	s_cmp_gt_i32 s0, 3
	s_cbranch_scc0 .LBB14_1773
; %bb.1772:
	v_trunc_f32_e32 v3, v2
	s_mov_b32 s2, 0
	v_mul_f32_e64 v7, 0x2f800000, |v3|
	v_floor_f32_e32 v7, v7
	v_fma_f32 v8, 0xcf800000, v7, |v3|
	v_ashrrev_i32_e32 v3, 31, v3
	v_cvt_u32_f32_e32 v7, v7
	v_cvt_u32_f32_e32 v8, v8
	v_xor_b32_e32 v9, v7, v3
	v_xor_b32_e32 v8, v8, v3
	v_sub_co_u32 v7, vcc_lo, v8, v3
	v_sub_co_ci_u32_e64 v8, null, v9, v3, vcc_lo
	global_store_dwordx2 v[0:1], v[7:8], off
.LBB14_1773:
	s_andn2_b32 vcc_lo, exec_lo, s2
	s_cbranch_vccnz .LBB14_1775
; %bb.1774:
	v_cvt_i32_f32_e32 v3, v2
	global_store_dword v[0:1], v3, off
.LBB14_1775:
	s_mov_b32 s2, 0
.LBB14_1776:
	s_andn2_b32 vcc_lo, exec_lo, s2
	s_cbranch_vccnz .LBB14_1778
; %bb.1777:
	v_cvt_i32_f32_e32 v3, v2
	global_store_short v[0:1], v3, off
.LBB14_1778:
	s_mov_b32 s2, 0
.LBB14_1779:
	s_andn2_b32 vcc_lo, exec_lo, s2
	s_cbranch_vccnz .LBB14_1784
; %bb.1780:
	s_cmp_gt_i32 s0, 0
	s_mov_b32 s0, -1
	s_cbranch_scc0 .LBB14_1782
; %bb.1781:
	v_cvt_i32_f32_e32 v3, v2
	s_mov_b32 s0, 0
	global_store_byte v[0:1], v3, off
.LBB14_1782:
	s_andn2_b32 vcc_lo, exec_lo, s0
	s_cbranch_vccnz .LBB14_1784
; %bb.1783:
	v_trunc_f32_e32 v2, v2
	v_mul_f32_e64 v3, 0x2f800000, |v2|
	v_floor_f32_e32 v3, v3
	v_fma_f32 v3, 0xcf800000, v3, |v2|
	v_ashrrev_i32_e32 v2, 31, v2
	v_cvt_u32_f32_e32 v3, v3
	v_xor_b32_e32 v3, v3, v2
	v_sub_nc_u32_e32 v2, v3, v2
	global_store_byte v[0:1], v2, off
.LBB14_1784:
	s_mov_b32 s5, -1
.LBB14_1785:
	s_andn2_b32 vcc_lo, exec_lo, s5
	s_cbranch_vccnz .LBB14_1981
; %bb.1786:
	v_rcp_f32_e64 v0, |v6|
	v_cmp_gt_f32_e64 vcc_lo, |v6|, 1.0
	s_mov_b32 s0, 0x3b2d2a58
	v_add_nc_u32_e32 v4, s1, v4
	s_cmp_lt_i32 s12, 11
	v_cndmask_b32_e64 v0, |v6|, v0, vcc_lo
	v_mul_f32_e32 v1, v0, v0
	v_fmaak_f32 v2, s0, v1, 0xbc7a590c
	v_fmaak_f32 v2, v1, v2, 0x3d29fb3f
	;; [unrolled: 1-line block ×7, first 2 shown]
	v_mul_f32_e32 v1, v1, v2
	v_fmac_f32_e32 v0, v0, v1
	v_sub_f32_e32 v1, 0x3fc90fdb, v0
	v_cndmask_b32_e32 v3, v0, v1, vcc_lo
	v_ashrrev_i32_e32 v1, 31, v4
	v_add_co_u32 v0, vcc_lo, s8, v4
	v_bfi_b32 v2, 0x7fffffff, v3, v6
	v_add_co_ci_u32_e64 v1, null, s9, v1, vcc_lo
	s_cbranch_scc1 .LBB14_1864
; %bb.1787:
	s_and_b32 s2, 0xffff, s12
	s_mov_b32 s10, -1
	s_mov_b32 s3, 0
	s_cmp_gt_i32 s2, 25
	s_mov_b32 s5, 0
	s_mov_b32 s0, 0
	s_cbranch_scc0 .LBB14_1820
; %bb.1788:
	s_cmp_gt_i32 s2, 28
	s_cbranch_scc0 .LBB14_1803
; %bb.1789:
	s_cmp_gt_i32 s2, 43
	;; [unrolled: 3-line block ×3, first 2 shown]
	s_cbranch_scc0 .LBB14_1793
; %bb.1791:
	s_mov_b32 s0, -1
	s_mov_b32 s10, 0
	s_cmp_eq_u32 s2, 46
	s_cbranch_scc0 .LBB14_1793
; %bb.1792:
	v_bfe_u32 v6, v2, 16, 1
	v_cmp_o_f32_e32 vcc_lo, v2, v2
	v_mov_b32_e32 v7, 0x7fc0
	s_mov_b32 s0, 0
	s_mov_b32 s5, -1
	v_add3_u32 v6, v2, v6, 0x7fff
	v_cndmask_b32_sdwa v6, v7, v6, vcc_lo dst_sel:DWORD dst_unused:UNUSED_PAD src0_sel:DWORD src1_sel:WORD_1
	global_store_dword v[0:1], v6, off
.LBB14_1793:
	s_and_b32 vcc_lo, exec_lo, s10
	s_cbranch_vccz .LBB14_1798
; %bb.1794:
	s_cmp_eq_u32 s2, 44
	s_mov_b32 s0, -1
	s_cbranch_scc0 .LBB14_1798
; %bb.1795:
	v_bfe_u32 v7, v2, 23, 8
	v_mov_b32_e32 v6, 0xff
	s_mov_b32 s5, exec_lo
	v_cmpx_ne_u32_e32 0xff, v7
	s_cbranch_execz .LBB14_1797
; %bb.1796:
	v_and_b32_e32 v6, 0x400000, v2
	v_and_or_b32 v7, 0x3fffff, v2, v7
	v_cmp_ne_u32_e32 vcc_lo, 0, v6
	v_cmp_ne_u32_e64 s0, 0, v7
	v_lshrrev_b32_e32 v6, 23, v2
	s_and_b32 s0, vcc_lo, s0
	v_cndmask_b32_e64 v7, 0, 1, s0
	v_add_nc_u32_e32 v6, v6, v7
.LBB14_1797:
	s_or_b32 exec_lo, exec_lo, s5
	s_mov_b32 s0, 0
	s_mov_b32 s5, -1
	global_store_byte v[0:1], v6, off
.LBB14_1798:
	s_mov_b32 s10, 0
.LBB14_1799:
	s_and_b32 vcc_lo, exec_lo, s10
	s_cbranch_vccz .LBB14_1802
; %bb.1800:
	s_cmp_eq_u32 s2, 29
	s_mov_b32 s0, -1
	s_cbranch_scc0 .LBB14_1802
; %bb.1801:
	v_trunc_f32_e32 v6, v2
	s_mov_b32 s0, 0
	s_mov_b32 s5, -1
	v_mul_f32_e32 v7, 0x2f800000, v6
	v_floor_f32_e32 v7, v7
	v_fmamk_f32 v6, v7, 0xcf800000, v6
	v_cvt_u32_f32_e32 v7, v7
	v_cvt_u32_f32_e32 v6, v6
	global_store_dwordx2 v[0:1], v[6:7], off
.LBB14_1802:
	s_mov_b32 s10, 0
.LBB14_1803:
	s_and_b32 vcc_lo, exec_lo, s10
	s_cbranch_vccz .LBB14_1819
; %bb.1804:
	s_cmp_lt_i32 s2, 27
	s_mov_b32 s5, -1
	s_cbranch_scc1 .LBB14_1810
; %bb.1805:
	v_cvt_u32_f32_e32 v6, v2
	s_cmp_gt_i32 s2, 27
	s_cbranch_scc0 .LBB14_1807
; %bb.1806:
	s_mov_b32 s5, 0
	global_store_dword v[0:1], v6, off
.LBB14_1807:
	s_andn2_b32 vcc_lo, exec_lo, s5
	s_cbranch_vccnz .LBB14_1809
; %bb.1808:
	global_store_short v[0:1], v6, off
.LBB14_1809:
	s_mov_b32 s5, 0
.LBB14_1810:
	s_andn2_b32 vcc_lo, exec_lo, s5
	s_cbranch_vccnz .LBB14_1818
; %bb.1811:
	v_and_b32_e32 v6, 0x7fffffff, v3
	v_mov_b32_e32 v7, 0x80
	s_mov_b32 s5, exec_lo
	v_cmpx_gt_u32_e32 0x43800000, v6
	s_cbranch_execz .LBB14_1817
; %bb.1812:
	v_cmp_lt_u32_e32 vcc_lo, 0x3bffffff, v6
	s_mov_b32 s10, 0
                                        ; implicit-def: $vgpr6
	s_and_saveexec_b32 s11, vcc_lo
	s_xor_b32 s11, exec_lo, s11
	s_cbranch_execz .LBB14_2038
; %bb.1813:
	v_bfe_u32 v6, v2, 20, 1
	s_mov_b32 s10, exec_lo
	v_add3_u32 v6, v2, v6, 0x487ffff
	v_lshrrev_b32_e32 v6, 20, v6
	s_andn2_saveexec_b32 s11, s11
	s_cbranch_execnz .LBB14_2039
.LBB14_1814:
	s_or_b32 exec_lo, exec_lo, s11
	v_mov_b32_e32 v7, 0
	s_and_saveexec_b32 s11, s10
.LBB14_1815:
	v_lshrrev_b32_e32 v7, 24, v2
	v_and_or_b32 v7, 0x80, v7, v6
.LBB14_1816:
	s_or_b32 exec_lo, exec_lo, s11
.LBB14_1817:
	s_or_b32 exec_lo, exec_lo, s5
	global_store_byte v[0:1], v7, off
.LBB14_1818:
	s_mov_b32 s5, -1
.LBB14_1819:
	s_mov_b32 s10, 0
.LBB14_1820:
	s_and_b32 vcc_lo, exec_lo, s10
	s_cbranch_vccz .LBB14_1860
; %bb.1821:
	s_cmp_gt_i32 s2, 22
	s_mov_b32 s3, -1
	s_cbranch_scc0 .LBB14_1853
; %bb.1822:
	s_cmp_lt_i32 s2, 24
	s_cbranch_scc1 .LBB14_1842
; %bb.1823:
	s_cmp_gt_i32 s2, 24
	s_cbranch_scc0 .LBB14_1831
; %bb.1824:
	v_and_b32_e32 v6, 0x7fffffff, v3
	v_mov_b32_e32 v7, 0x80
	s_mov_b32 s3, exec_lo
	v_cmpx_gt_u32_e32 0x47800000, v6
	s_cbranch_execz .LBB14_1830
; %bb.1825:
	v_cmp_lt_u32_e32 vcc_lo, 0x37ffffff, v6
	s_mov_b32 s5, 0
                                        ; implicit-def: $vgpr6
	s_and_saveexec_b32 s10, vcc_lo
	s_xor_b32 s10, exec_lo, s10
	s_cbranch_execz .LBB14_2041
; %bb.1826:
	v_bfe_u32 v6, v2, 21, 1
	s_mov_b32 s5, exec_lo
	v_add3_u32 v6, v2, v6, 0x88fffff
	v_lshrrev_b32_e32 v6, 21, v6
	s_andn2_saveexec_b32 s10, s10
	s_cbranch_execnz .LBB14_2042
.LBB14_1827:
	s_or_b32 exec_lo, exec_lo, s10
	v_mov_b32_e32 v7, 0
	s_and_saveexec_b32 s10, s5
.LBB14_1828:
	v_lshrrev_b32_e32 v7, 24, v2
	v_and_or_b32 v7, 0x80, v7, v6
.LBB14_1829:
	s_or_b32 exec_lo, exec_lo, s10
.LBB14_1830:
	s_or_b32 exec_lo, exec_lo, s3
	s_mov_b32 s3, 0
	global_store_byte v[0:1], v7, off
.LBB14_1831:
	s_and_b32 vcc_lo, exec_lo, s3
	s_cbranch_vccz .LBB14_1841
; %bb.1832:
	v_and_b32_e32 v7, 0x7fffffff, v3
	s_mov_b32 s3, exec_lo
                                        ; implicit-def: $vgpr6
	v_cmpx_gt_u32_e32 0x43f00000, v7
	s_xor_b32 s3, exec_lo, s3
	s_cbranch_execz .LBB14_1838
; %bb.1833:
	s_mov_b32 s5, exec_lo
                                        ; implicit-def: $vgpr6
	v_cmpx_lt_u32_e32 0x3c7fffff, v7
	s_xor_b32 s5, exec_lo, s5
; %bb.1834:
	v_bfe_u32 v6, v2, 20, 1
	v_add3_u32 v6, v2, v6, 0x407ffff
	v_and_b32_e32 v7, 0xff00000, v6
	v_lshrrev_b32_e32 v6, 20, v6
	v_cmp_ne_u32_e32 vcc_lo, 0x7f00000, v7
	v_cndmask_b32_e32 v6, 0x7e, v6, vcc_lo
; %bb.1835:
	s_andn2_saveexec_b32 s5, s5
; %bb.1836:
	v_add_f32_e64 v6, 0x46800000, |v3|
; %bb.1837:
	s_or_b32 exec_lo, exec_lo, s5
                                        ; implicit-def: $vgpr7
.LBB14_1838:
	s_andn2_saveexec_b32 s3, s3
; %bb.1839:
	v_mov_b32_e32 v6, 0x7f
	v_cmp_lt_u32_e32 vcc_lo, 0x7f800000, v7
	v_cndmask_b32_e32 v6, 0x7e, v6, vcc_lo
; %bb.1840:
	s_or_b32 exec_lo, exec_lo, s3
	v_lshrrev_b32_e32 v7, 24, v2
	v_and_or_b32 v6, 0x80, v7, v6
	global_store_byte v[0:1], v6, off
.LBB14_1841:
	s_mov_b32 s3, 0
.LBB14_1842:
	s_andn2_b32 vcc_lo, exec_lo, s3
	s_cbranch_vccnz .LBB14_1852
; %bb.1843:
	v_and_b32_e32 v7, 0x7fffffff, v3
	s_mov_b32 s3, exec_lo
                                        ; implicit-def: $vgpr6
	v_cmpx_gt_u32_e32 0x47800000, v7
	s_xor_b32 s3, exec_lo, s3
	s_cbranch_execz .LBB14_1849
; %bb.1844:
	s_mov_b32 s5, exec_lo
                                        ; implicit-def: $vgpr6
	v_cmpx_lt_u32_e32 0x387fffff, v7
	s_xor_b32 s5, exec_lo, s5
; %bb.1845:
	v_bfe_u32 v3, v2, 21, 1
	v_add3_u32 v3, v2, v3, 0x80fffff
	v_lshrrev_b32_e32 v6, 21, v3
                                        ; implicit-def: $vgpr3
; %bb.1846:
	s_andn2_saveexec_b32 s5, s5
; %bb.1847:
	v_add_f32_e64 v6, 0x43000000, |v3|
; %bb.1848:
	s_or_b32 exec_lo, exec_lo, s5
                                        ; implicit-def: $vgpr7
.LBB14_1849:
	s_andn2_saveexec_b32 s3, s3
; %bb.1850:
	v_mov_b32_e32 v3, 0x7f
	v_cmp_lt_u32_e32 vcc_lo, 0x7f800000, v7
	v_cndmask_b32_e32 v6, 0x7c, v3, vcc_lo
; %bb.1851:
	s_or_b32 exec_lo, exec_lo, s3
	v_lshrrev_b32_e32 v3, 24, v2
	v_and_or_b32 v3, 0x80, v3, v6
	global_store_byte v[0:1], v3, off
.LBB14_1852:
	s_mov_b32 s3, 0
	s_mov_b32 s5, -1
.LBB14_1853:
	s_andn2_b32 vcc_lo, exec_lo, s3
	s_mov_b32 s3, 0
	s_cbranch_vccnz .LBB14_1860
; %bb.1854:
	s_cmp_gt_i32 s2, 14
	s_mov_b32 s3, -1
	s_cbranch_scc0 .LBB14_1858
; %bb.1855:
	s_cmp_eq_u32 s2, 15
	s_mov_b32 s0, -1
	s_cbranch_scc0 .LBB14_1857
; %bb.1856:
	v_bfe_u32 v3, v2, 16, 1
	v_cmp_o_f32_e32 vcc_lo, v2, v2
	v_mov_b32_e32 v6, 0x7fc0
	s_mov_b32 s0, 0
	s_mov_b32 s5, -1
	v_add3_u32 v3, v2, v3, 0x7fff
	v_cndmask_b32_sdwa v3, v6, v3, vcc_lo dst_sel:DWORD dst_unused:UNUSED_PAD src0_sel:DWORD src1_sel:WORD_1
	global_store_short v[0:1], v3, off
.LBB14_1857:
	s_mov_b32 s3, 0
.LBB14_1858:
	s_and_b32 vcc_lo, exec_lo, s3
	s_mov_b32 s3, 0
	s_cbranch_vccz .LBB14_1860
; %bb.1859:
	s_cmp_lg_u32 s2, 11
	s_mov_b32 s3, -1
	s_cselect_b32 s0, -1, 0
.LBB14_1860:
	s_and_b32 vcc_lo, exec_lo, s0
	s_cbranch_vccnz .LBB14_2040
; %bb.1861:
	s_andn2_b32 vcc_lo, exec_lo, s3
	s_cbranch_vccnz .LBB14_1863
.LBB14_1862:
	v_cmp_neq_f32_e32 vcc_lo, 0, v2
	s_mov_b32 s5, -1
	v_cndmask_b32_e64 v3, 0, 1, vcc_lo
	global_store_byte v[0:1], v3, off
.LBB14_1863:
	s_mov_b32 s0, 0
	s_branch .LBB14_1865
.LBB14_1864:
	s_mov_b32 s0, -1
	s_mov_b32 s5, 0
.LBB14_1865:
	s_and_b32 vcc_lo, exec_lo, s0
	s_cbranch_vccz .LBB14_1904
; %bb.1866:
	s_and_b32 s0, 0xffff, s12
	s_mov_b32 s2, -1
	s_cmp_lt_i32 s0, 5
	s_cbranch_scc1 .LBB14_1887
; %bb.1867:
	s_cmp_lt_i32 s0, 8
	s_cbranch_scc1 .LBB14_1877
; %bb.1868:
	;; [unrolled: 3-line block ×3, first 2 shown]
	s_cmp_gt_i32 s0, 9
	s_cbranch_scc0 .LBB14_1871
; %bb.1870:
	v_cvt_f64_f32_e32 v[6:7], v2
	v_mov_b32_e32 v8, 0
	s_mov_b32 s2, 0
	v_mov_b32_e32 v9, v8
	global_store_dwordx4 v[0:1], v[6:9], off
.LBB14_1871:
	s_andn2_b32 vcc_lo, exec_lo, s2
	s_cbranch_vccnz .LBB14_1873
; %bb.1872:
	v_mov_b32_e32 v3, 0
	global_store_dwordx2 v[0:1], v[2:3], off
.LBB14_1873:
	s_mov_b32 s2, 0
.LBB14_1874:
	s_andn2_b32 vcc_lo, exec_lo, s2
	s_cbranch_vccnz .LBB14_1876
; %bb.1875:
	v_cvt_f16_f32_e32 v3, v2
	v_and_b32_e32 v3, 0xffff, v3
	global_store_dword v[0:1], v3, off
.LBB14_1876:
	s_mov_b32 s2, 0
.LBB14_1877:
	s_andn2_b32 vcc_lo, exec_lo, s2
	s_cbranch_vccnz .LBB14_1886
; %bb.1878:
	s_cmp_lt_i32 s0, 6
	s_mov_b32 s2, -1
	s_cbranch_scc1 .LBB14_1884
; %bb.1879:
	s_cmp_gt_i32 s0, 6
	s_cbranch_scc0 .LBB14_1881
; %bb.1880:
	v_cvt_f64_f32_e32 v[6:7], v2
	s_mov_b32 s2, 0
	global_store_dwordx2 v[0:1], v[6:7], off
.LBB14_1881:
	s_andn2_b32 vcc_lo, exec_lo, s2
	s_cbranch_vccnz .LBB14_1883
; %bb.1882:
	global_store_dword v[0:1], v2, off
.LBB14_1883:
	s_mov_b32 s2, 0
.LBB14_1884:
	s_andn2_b32 vcc_lo, exec_lo, s2
	s_cbranch_vccnz .LBB14_1886
; %bb.1885:
	v_cvt_f16_f32_e32 v3, v2
	global_store_short v[0:1], v3, off
.LBB14_1886:
	s_mov_b32 s2, 0
.LBB14_1887:
	s_andn2_b32 vcc_lo, exec_lo, s2
	s_cbranch_vccnz .LBB14_1903
; %bb.1888:
	s_cmp_lt_i32 s0, 2
	s_mov_b32 s2, -1
	s_cbranch_scc1 .LBB14_1898
; %bb.1889:
	s_cmp_lt_i32 s0, 3
	s_cbranch_scc1 .LBB14_1895
; %bb.1890:
	s_cmp_gt_i32 s0, 3
	s_cbranch_scc0 .LBB14_1892
; %bb.1891:
	v_trunc_f32_e32 v3, v2
	s_mov_b32 s2, 0
	v_mul_f32_e64 v6, 0x2f800000, |v3|
	v_floor_f32_e32 v6, v6
	v_fma_f32 v7, 0xcf800000, v6, |v3|
	v_ashrrev_i32_e32 v3, 31, v3
	v_cvt_u32_f32_e32 v6, v6
	v_cvt_u32_f32_e32 v7, v7
	v_xor_b32_e32 v8, v6, v3
	v_xor_b32_e32 v7, v7, v3
	v_sub_co_u32 v6, vcc_lo, v7, v3
	v_sub_co_ci_u32_e64 v7, null, v8, v3, vcc_lo
	global_store_dwordx2 v[0:1], v[6:7], off
.LBB14_1892:
	s_andn2_b32 vcc_lo, exec_lo, s2
	s_cbranch_vccnz .LBB14_1894
; %bb.1893:
	v_cvt_i32_f32_e32 v3, v2
	global_store_dword v[0:1], v3, off
.LBB14_1894:
	s_mov_b32 s2, 0
.LBB14_1895:
	s_andn2_b32 vcc_lo, exec_lo, s2
	s_cbranch_vccnz .LBB14_1897
; %bb.1896:
	v_cvt_i32_f32_e32 v3, v2
	global_store_short v[0:1], v3, off
.LBB14_1897:
	s_mov_b32 s2, 0
.LBB14_1898:
	s_andn2_b32 vcc_lo, exec_lo, s2
	s_cbranch_vccnz .LBB14_1903
; %bb.1899:
	s_cmp_gt_i32 s0, 0
	s_mov_b32 s0, -1
	s_cbranch_scc0 .LBB14_1901
; %bb.1900:
	v_cvt_i32_f32_e32 v3, v2
	s_mov_b32 s0, 0
	global_store_byte v[0:1], v3, off
.LBB14_1901:
	s_andn2_b32 vcc_lo, exec_lo, s0
	s_cbranch_vccnz .LBB14_1903
; %bb.1902:
	v_trunc_f32_e32 v2, v2
	v_mul_f32_e64 v3, 0x2f800000, |v2|
	v_floor_f32_e32 v3, v3
	v_fma_f32 v3, 0xcf800000, v3, |v2|
	v_ashrrev_i32_e32 v2, 31, v2
	v_cvt_u32_f32_e32 v3, v3
	v_xor_b32_e32 v3, v3, v2
	v_sub_nc_u32_e32 v2, v3, v2
	global_store_byte v[0:1], v2, off
.LBB14_1903:
	s_mov_b32 s5, -1
.LBB14_1904:
	s_andn2_b32 vcc_lo, exec_lo, s5
	s_cbranch_vccnz .LBB14_1981
; %bb.1905:
	v_rcp_f32_e64 v0, |v5|
	v_cmp_gt_f32_e64 vcc_lo, |v5|, 1.0
	s_mov_b32 s0, 0x3b2d2a58
	v_add_nc_u32_e32 v4, s1, v4
	s_cmp_lt_i32 s12, 11
	v_cndmask_b32_e64 v0, |v5|, v0, vcc_lo
	v_mul_f32_e32 v1, v0, v0
	v_fmaak_f32 v2, s0, v1, 0xbc7a590c
	v_fmaak_f32 v2, v1, v2, 0x3d29fb3f
	;; [unrolled: 1-line block ×7, first 2 shown]
	v_mul_f32_e32 v1, v1, v2
	v_fmac_f32_e32 v0, v0, v1
	v_sub_f32_e32 v1, 0x3fc90fdb, v0
	v_cndmask_b32_e32 v3, v0, v1, vcc_lo
	v_ashrrev_i32_e32 v1, 31, v4
	v_add_co_u32 v0, vcc_lo, s8, v4
	v_bfi_b32 v2, 0x7fffffff, v3, v5
	v_add_co_ci_u32_e64 v1, null, s9, v1, vcc_lo
	s_cbranch_scc1 .LBB14_2026
; %bb.1906:
	s_and_b32 s1, 0xffff, s12
	s_mov_b32 s3, -1
	s_mov_b32 s2, 0
	s_cmp_gt_i32 s1, 25
	s_mov_b32 s0, 0
	s_cbranch_scc0 .LBB14_1939
; %bb.1907:
	s_cmp_gt_i32 s1, 28
	s_cbranch_scc0 .LBB14_1923
; %bb.1908:
	s_cmp_gt_i32 s1, 43
	;; [unrolled: 3-line block ×3, first 2 shown]
	s_cbranch_scc0 .LBB14_1913
; %bb.1910:
	s_cmp_eq_u32 s1, 46
	s_mov_b32 s0, -1
	s_cbranch_scc0 .LBB14_1912
; %bb.1911:
	v_bfe_u32 v4, v2, 16, 1
	v_cmp_o_f32_e32 vcc_lo, v2, v2
	v_mov_b32_e32 v5, 0x7fc0
	s_mov_b32 s0, 0
	v_add3_u32 v4, v2, v4, 0x7fff
	v_cndmask_b32_sdwa v4, v5, v4, vcc_lo dst_sel:DWORD dst_unused:UNUSED_PAD src0_sel:DWORD src1_sel:WORD_1
	global_store_dword v[0:1], v4, off
.LBB14_1912:
	s_mov_b32 s3, 0
.LBB14_1913:
	s_and_b32 vcc_lo, exec_lo, s3
	s_cbranch_vccz .LBB14_1918
; %bb.1914:
	s_cmp_eq_u32 s1, 44
	s_mov_b32 s0, -1
	s_cbranch_scc0 .LBB14_1918
; %bb.1915:
	v_bfe_u32 v5, v2, 23, 8
	v_mov_b32_e32 v4, 0xff
	s_mov_b32 s3, exec_lo
	v_cmpx_ne_u32_e32 0xff, v5
	s_cbranch_execz .LBB14_1917
; %bb.1916:
	v_and_b32_e32 v4, 0x400000, v2
	v_and_or_b32 v5, 0x3fffff, v2, v5
	v_cmp_ne_u32_e32 vcc_lo, 0, v4
	v_cmp_ne_u32_e64 s0, 0, v5
	v_lshrrev_b32_e32 v4, 23, v2
	s_and_b32 s0, vcc_lo, s0
	v_cndmask_b32_e64 v5, 0, 1, s0
	v_add_nc_u32_e32 v4, v4, v5
.LBB14_1917:
	s_or_b32 exec_lo, exec_lo, s3
	s_mov_b32 s0, 0
	global_store_byte v[0:1], v4, off
.LBB14_1918:
	s_mov_b32 s3, 0
.LBB14_1919:
	s_and_b32 vcc_lo, exec_lo, s3
	s_cbranch_vccz .LBB14_1922
; %bb.1920:
	s_cmp_eq_u32 s1, 29
	s_mov_b32 s0, -1
	s_cbranch_scc0 .LBB14_1922
; %bb.1921:
	v_trunc_f32_e32 v4, v2
	s_mov_b32 s0, 0
	v_mul_f32_e32 v5, 0x2f800000, v4
	v_floor_f32_e32 v5, v5
	v_fmamk_f32 v4, v5, 0xcf800000, v4
	v_cvt_u32_f32_e32 v5, v5
	v_cvt_u32_f32_e32 v4, v4
	global_store_dwordx2 v[0:1], v[4:5], off
.LBB14_1922:
	s_mov_b32 s3, 0
.LBB14_1923:
	s_and_b32 vcc_lo, exec_lo, s3
	s_cbranch_vccz .LBB14_1938
; %bb.1924:
	s_cmp_lt_i32 s1, 27
	s_mov_b32 s3, -1
	s_cbranch_scc1 .LBB14_1930
; %bb.1925:
	v_cvt_u32_f32_e32 v4, v2
	s_cmp_gt_i32 s1, 27
	s_cbranch_scc0 .LBB14_1927
; %bb.1926:
	s_mov_b32 s3, 0
	global_store_dword v[0:1], v4, off
.LBB14_1927:
	s_andn2_b32 vcc_lo, exec_lo, s3
	s_cbranch_vccnz .LBB14_1929
; %bb.1928:
	global_store_short v[0:1], v4, off
.LBB14_1929:
	s_mov_b32 s3, 0
.LBB14_1930:
	s_andn2_b32 vcc_lo, exec_lo, s3
	s_cbranch_vccnz .LBB14_1938
; %bb.1931:
	v_and_b32_e32 v4, 0x7fffffff, v3
	v_mov_b32_e32 v5, 0x80
	s_mov_b32 s3, exec_lo
	v_cmpx_gt_u32_e32 0x43800000, v4
	s_cbranch_execz .LBB14_1937
; %bb.1932:
	v_cmp_lt_u32_e32 vcc_lo, 0x3bffffff, v4
	s_mov_b32 s5, 0
                                        ; implicit-def: $vgpr4
	s_and_saveexec_b32 s8, vcc_lo
	s_xor_b32 s8, exec_lo, s8
	s_cbranch_execz .LBB14_2043
; %bb.1933:
	v_bfe_u32 v4, v2, 20, 1
	s_mov_b32 s5, exec_lo
	v_add3_u32 v4, v2, v4, 0x487ffff
	v_lshrrev_b32_e32 v4, 20, v4
	s_andn2_saveexec_b32 s8, s8
	s_cbranch_execnz .LBB14_2044
.LBB14_1934:
	s_or_b32 exec_lo, exec_lo, s8
	v_mov_b32_e32 v5, 0
	s_and_saveexec_b32 s8, s5
.LBB14_1935:
	v_lshrrev_b32_e32 v5, 24, v2
	v_and_or_b32 v5, 0x80, v5, v4
.LBB14_1936:
	s_or_b32 exec_lo, exec_lo, s8
.LBB14_1937:
	s_or_b32 exec_lo, exec_lo, s3
	global_store_byte v[0:1], v5, off
.LBB14_1938:
	s_mov_b32 s3, 0
.LBB14_1939:
	s_and_b32 vcc_lo, exec_lo, s3
	s_cbranch_vccz .LBB14_1979
; %bb.1940:
	s_cmp_gt_i32 s1, 22
	s_mov_b32 s2, -1
	s_cbranch_scc0 .LBB14_1972
; %bb.1941:
	s_cmp_lt_i32 s1, 24
	s_cbranch_scc1 .LBB14_1961
; %bb.1942:
	s_cmp_gt_i32 s1, 24
	s_cbranch_scc0 .LBB14_1950
; %bb.1943:
	v_and_b32_e32 v4, 0x7fffffff, v3
	v_mov_b32_e32 v5, 0x80
	s_mov_b32 s2, exec_lo
	v_cmpx_gt_u32_e32 0x47800000, v4
	s_cbranch_execz .LBB14_1949
; %bb.1944:
	v_cmp_lt_u32_e32 vcc_lo, 0x37ffffff, v4
	s_mov_b32 s3, 0
                                        ; implicit-def: $vgpr4
	s_and_saveexec_b32 s5, vcc_lo
	s_xor_b32 s5, exec_lo, s5
	s_cbranch_execz .LBB14_2046
; %bb.1945:
	v_bfe_u32 v4, v2, 21, 1
	s_mov_b32 s3, exec_lo
	v_add3_u32 v4, v2, v4, 0x88fffff
	v_lshrrev_b32_e32 v4, 21, v4
	s_andn2_saveexec_b32 s5, s5
	s_cbranch_execnz .LBB14_2047
.LBB14_1946:
	s_or_b32 exec_lo, exec_lo, s5
	v_mov_b32_e32 v5, 0
	s_and_saveexec_b32 s5, s3
.LBB14_1947:
	v_lshrrev_b32_e32 v5, 24, v2
	v_and_or_b32 v5, 0x80, v5, v4
.LBB14_1948:
	s_or_b32 exec_lo, exec_lo, s5
.LBB14_1949:
	s_or_b32 exec_lo, exec_lo, s2
	s_mov_b32 s2, 0
	global_store_byte v[0:1], v5, off
.LBB14_1950:
	s_and_b32 vcc_lo, exec_lo, s2
	s_cbranch_vccz .LBB14_1960
; %bb.1951:
	v_and_b32_e32 v5, 0x7fffffff, v3
	s_mov_b32 s2, exec_lo
                                        ; implicit-def: $vgpr4
	v_cmpx_gt_u32_e32 0x43f00000, v5
	s_xor_b32 s2, exec_lo, s2
	s_cbranch_execz .LBB14_1957
; %bb.1952:
	s_mov_b32 s3, exec_lo
                                        ; implicit-def: $vgpr4
	v_cmpx_lt_u32_e32 0x3c7fffff, v5
	s_xor_b32 s3, exec_lo, s3
; %bb.1953:
	v_bfe_u32 v4, v2, 20, 1
	v_add3_u32 v4, v2, v4, 0x407ffff
	v_and_b32_e32 v5, 0xff00000, v4
	v_lshrrev_b32_e32 v4, 20, v4
	v_cmp_ne_u32_e32 vcc_lo, 0x7f00000, v5
	v_cndmask_b32_e32 v4, 0x7e, v4, vcc_lo
; %bb.1954:
	s_andn2_saveexec_b32 s3, s3
; %bb.1955:
	v_add_f32_e64 v4, 0x46800000, |v3|
; %bb.1956:
	s_or_b32 exec_lo, exec_lo, s3
                                        ; implicit-def: $vgpr5
.LBB14_1957:
	s_andn2_saveexec_b32 s2, s2
; %bb.1958:
	v_mov_b32_e32 v4, 0x7f
	v_cmp_lt_u32_e32 vcc_lo, 0x7f800000, v5
	v_cndmask_b32_e32 v4, 0x7e, v4, vcc_lo
; %bb.1959:
	s_or_b32 exec_lo, exec_lo, s2
	v_lshrrev_b32_e32 v5, 24, v2
	v_and_or_b32 v4, 0x80, v5, v4
	global_store_byte v[0:1], v4, off
.LBB14_1960:
	s_mov_b32 s2, 0
.LBB14_1961:
	s_andn2_b32 vcc_lo, exec_lo, s2
	s_cbranch_vccnz .LBB14_1971
; %bb.1962:
	v_and_b32_e32 v5, 0x7fffffff, v3
	s_mov_b32 s2, exec_lo
                                        ; implicit-def: $vgpr4
	v_cmpx_gt_u32_e32 0x47800000, v5
	s_xor_b32 s2, exec_lo, s2
	s_cbranch_execz .LBB14_1968
; %bb.1963:
	s_mov_b32 s3, exec_lo
                                        ; implicit-def: $vgpr4
	v_cmpx_lt_u32_e32 0x387fffff, v5
	s_xor_b32 s3, exec_lo, s3
; %bb.1964:
	v_bfe_u32 v3, v2, 21, 1
	v_add3_u32 v3, v2, v3, 0x80fffff
	v_lshrrev_b32_e32 v4, 21, v3
                                        ; implicit-def: $vgpr3
; %bb.1965:
	s_andn2_saveexec_b32 s3, s3
; %bb.1966:
	v_add_f32_e64 v4, 0x43000000, |v3|
; %bb.1967:
	s_or_b32 exec_lo, exec_lo, s3
                                        ; implicit-def: $vgpr5
.LBB14_1968:
	s_andn2_saveexec_b32 s2, s2
; %bb.1969:
	v_mov_b32_e32 v3, 0x7f
	v_cmp_lt_u32_e32 vcc_lo, 0x7f800000, v5
	v_cndmask_b32_e32 v4, 0x7c, v3, vcc_lo
; %bb.1970:
	s_or_b32 exec_lo, exec_lo, s2
	v_lshrrev_b32_e32 v3, 24, v2
	v_and_or_b32 v3, 0x80, v3, v4
	global_store_byte v[0:1], v3, off
.LBB14_1971:
	s_mov_b32 s2, 0
.LBB14_1972:
	s_andn2_b32 vcc_lo, exec_lo, s2
	s_mov_b32 s2, 0
	s_cbranch_vccnz .LBB14_1979
; %bb.1973:
	s_cmp_gt_i32 s1, 14
	s_mov_b32 s2, -1
	s_cbranch_scc0 .LBB14_1977
; %bb.1974:
	s_cmp_eq_u32 s1, 15
	s_mov_b32 s0, -1
	s_cbranch_scc0 .LBB14_1976
; %bb.1975:
	v_bfe_u32 v3, v2, 16, 1
	v_cmp_o_f32_e32 vcc_lo, v2, v2
	v_mov_b32_e32 v4, 0x7fc0
	s_mov_b32 s0, 0
	v_add3_u32 v3, v2, v3, 0x7fff
	v_cndmask_b32_sdwa v3, v4, v3, vcc_lo dst_sel:DWORD dst_unused:UNUSED_PAD src0_sel:DWORD src1_sel:WORD_1
	global_store_short v[0:1], v3, off
.LBB14_1976:
	s_mov_b32 s2, 0
.LBB14_1977:
	s_and_b32 vcc_lo, exec_lo, s2
	s_mov_b32 s2, 0
	s_cbranch_vccz .LBB14_1979
; %bb.1978:
	s_cmp_lg_u32 s1, 11
	s_mov_b32 s2, -1
	s_cselect_b32 s0, -1, 0
.LBB14_1979:
	s_and_b32 vcc_lo, exec_lo, s0
	s_cbranch_vccnz .LBB14_2045
.LBB14_1980:
	s_mov_b32 s0, 0
	s_branch .LBB14_1982
.LBB14_1981:
	s_mov_b32 s0, 0
	s_mov_b32 s2, 0
                                        ; implicit-def: $sgpr12
                                        ; implicit-def: $vgpr0_vgpr1
                                        ; implicit-def: $vgpr2
.LBB14_1982:
	s_andn2_b32 s1, s7, exec_lo
	s_and_b32 s3, s4, exec_lo
	s_and_b32 s0, s0, exec_lo
	;; [unrolled: 1-line block ×3, first 2 shown]
	s_or_b32 s7, s1, s3
.LBB14_1983:
	s_or_b32 exec_lo, exec_lo, s6
	s_and_saveexec_b32 s1, s7
	s_cbranch_execz .LBB14_1986
; %bb.1984:
	; divergent unreachable
	s_or_b32 exec_lo, exec_lo, s1
	s_and_saveexec_b32 s1, s4
	s_xor_b32 s1, exec_lo, s1
	s_cbranch_execnz .LBB14_1987
.LBB14_1985:
	s_or_b32 exec_lo, exec_lo, s1
	s_and_saveexec_b32 s1, s0
	s_cbranch_execnz .LBB14_1988
	s_branch .LBB14_2025
.LBB14_1986:
	s_or_b32 exec_lo, exec_lo, s1
	s_and_saveexec_b32 s1, s4
	s_xor_b32 s1, exec_lo, s1
	s_cbranch_execz .LBB14_1985
.LBB14_1987:
	s_waitcnt vmcnt(0)
	v_cmp_neq_f32_e32 vcc_lo, 0, v2
	v_cndmask_b32_e64 v3, 0, 1, vcc_lo
	global_store_byte v[0:1], v3, off
	s_or_b32 exec_lo, exec_lo, s1
	s_and_saveexec_b32 s1, s0
	s_cbranch_execz .LBB14_2025
.LBB14_1988:
	s_sext_i32_i16 s1, s12
	s_mov_b32 s0, -1
	s_cmp_lt_i32 s1, 5
	s_cbranch_scc1 .LBB14_2009
; %bb.1989:
	s_cmp_lt_i32 s1, 8
	s_cbranch_scc1 .LBB14_1999
; %bb.1990:
	;; [unrolled: 3-line block ×3, first 2 shown]
	s_cmp_gt_i32 s1, 9
	s_cbranch_scc0 .LBB14_1993
; %bb.1992:
	s_waitcnt vmcnt(0)
	v_cvt_f64_f32_e32 v[3:4], v2
	v_mov_b32_e32 v5, 0
	s_mov_b32 s0, 0
	v_mov_b32_e32 v6, v5
	global_store_dwordx4 v[0:1], v[3:6], off
.LBB14_1993:
	s_andn2_b32 vcc_lo, exec_lo, s0
	s_cbranch_vccnz .LBB14_1995
; %bb.1994:
	s_waitcnt vmcnt(0)
	v_mov_b32_e32 v3, 0
	global_store_dwordx2 v[0:1], v[2:3], off
.LBB14_1995:
	s_mov_b32 s0, 0
.LBB14_1996:
	s_andn2_b32 vcc_lo, exec_lo, s0
	s_cbranch_vccnz .LBB14_1998
; %bb.1997:
	s_waitcnt vmcnt(0)
	v_cvt_f16_f32_e32 v3, v2
	v_and_b32_e32 v3, 0xffff, v3
	global_store_dword v[0:1], v3, off
.LBB14_1998:
	s_mov_b32 s0, 0
.LBB14_1999:
	s_andn2_b32 vcc_lo, exec_lo, s0
	s_cbranch_vccnz .LBB14_2008
; %bb.2000:
	s_sext_i32_i16 s1, s12
	s_mov_b32 s0, -1
	s_cmp_lt_i32 s1, 6
	s_cbranch_scc1 .LBB14_2006
; %bb.2001:
	s_cmp_gt_i32 s1, 6
	s_cbranch_scc0 .LBB14_2003
; %bb.2002:
	s_waitcnt vmcnt(0)
	v_cvt_f64_f32_e32 v[3:4], v2
	s_mov_b32 s0, 0
	global_store_dwordx2 v[0:1], v[3:4], off
.LBB14_2003:
	s_andn2_b32 vcc_lo, exec_lo, s0
	s_cbranch_vccnz .LBB14_2005
; %bb.2004:
	s_waitcnt vmcnt(0)
	global_store_dword v[0:1], v2, off
.LBB14_2005:
	s_mov_b32 s0, 0
.LBB14_2006:
	s_andn2_b32 vcc_lo, exec_lo, s0
	s_cbranch_vccnz .LBB14_2008
; %bb.2007:
	s_waitcnt vmcnt(0)
	v_cvt_f16_f32_e32 v3, v2
	global_store_short v[0:1], v3, off
.LBB14_2008:
	s_mov_b32 s0, 0
.LBB14_2009:
	s_andn2_b32 vcc_lo, exec_lo, s0
	s_cbranch_vccnz .LBB14_2025
; %bb.2010:
	s_sext_i32_i16 s1, s12
	s_mov_b32 s0, -1
	s_cmp_lt_i32 s1, 2
	s_cbranch_scc1 .LBB14_2020
; %bb.2011:
	s_cmp_lt_i32 s1, 3
	s_cbranch_scc1 .LBB14_2017
; %bb.2012:
	s_cmp_gt_i32 s1, 3
	s_cbranch_scc0 .LBB14_2014
; %bb.2013:
	s_waitcnt vmcnt(0)
	v_trunc_f32_e32 v3, v2
	s_mov_b32 s0, 0
	v_mul_f32_e64 v4, 0x2f800000, |v3|
	v_ashrrev_i32_e32 v6, 31, v3
	v_floor_f32_e32 v4, v4
	v_fma_f32 v5, 0xcf800000, v4, |v3|
	v_cvt_u32_f32_e32 v4, v4
	v_cvt_u32_f32_e32 v3, v5
	v_xor_b32_e32 v4, v4, v6
	v_xor_b32_e32 v3, v3, v6
	v_sub_co_u32 v3, vcc_lo, v3, v6
	v_sub_co_ci_u32_e64 v4, null, v4, v6, vcc_lo
	global_store_dwordx2 v[0:1], v[3:4], off
.LBB14_2014:
	s_andn2_b32 vcc_lo, exec_lo, s0
	s_cbranch_vccnz .LBB14_2016
; %bb.2015:
	s_waitcnt vmcnt(0)
	v_cvt_i32_f32_e32 v3, v2
	global_store_dword v[0:1], v3, off
.LBB14_2016:
	s_mov_b32 s0, 0
.LBB14_2017:
	s_andn2_b32 vcc_lo, exec_lo, s0
	s_cbranch_vccnz .LBB14_2019
; %bb.2018:
	s_waitcnt vmcnt(0)
	v_cvt_i32_f32_e32 v3, v2
	global_store_short v[0:1], v3, off
.LBB14_2019:
	s_mov_b32 s0, 0
.LBB14_2020:
	s_andn2_b32 vcc_lo, exec_lo, s0
	s_cbranch_vccnz .LBB14_2025
; %bb.2021:
	s_sext_i32_i16 s0, s12
	s_cmp_gt_i32 s0, 0
	s_mov_b32 s0, -1
	s_cbranch_scc0 .LBB14_2023
; %bb.2022:
	s_waitcnt vmcnt(0)
	v_cvt_i32_f32_e32 v3, v2
	s_mov_b32 s0, 0
	global_store_byte v[0:1], v3, off
.LBB14_2023:
	s_andn2_b32 vcc_lo, exec_lo, s0
	s_cbranch_vccnz .LBB14_2025
; %bb.2024:
	s_waitcnt vmcnt(0)
	v_trunc_f32_e32 v2, v2
	v_mul_f32_e64 v3, 0x2f800000, |v2|
	v_floor_f32_e32 v3, v3
	v_fma_f32 v3, 0xcf800000, v3, |v2|
	v_ashrrev_i32_e32 v2, 31, v2
	v_cvt_u32_f32_e32 v3, v3
	v_xor_b32_e32 v3, v3, v2
	v_sub_nc_u32_e32 v2, v3, v2
	global_store_byte v[0:1], v2, off
	s_endpgm
.LBB14_2025:
	s_endpgm
.LBB14_2026:
	s_mov_b32 s2, 0
	s_mov_b32 s0, -1
	s_branch .LBB14_1982
.LBB14_2027:
	s_or_b32 s4, s4, exec_lo
	s_trap 2
	s_cbranch_execz .LBB14_1496
	s_branch .LBB14_1497
.LBB14_2028:
	s_andn2_saveexec_b32 s11, s11
	s_cbranch_execz .LBB14_1576
.LBB14_2029:
	v_add_f32_e64 v8, 0x46000000, |v3|
	s_andn2_b32 s10, s10, exec_lo
	v_and_b32_e32 v8, 0xff, v8
	v_cmp_ne_u32_e32 vcc_lo, 0, v8
	s_and_b32 s13, vcc_lo, exec_lo
	s_or_b32 s10, s10, s13
	s_or_b32 exec_lo, exec_lo, s11
	v_mov_b32_e32 v9, 0
	s_and_saveexec_b32 s11, s10
	s_cbranch_execnz .LBB14_1577
	s_branch .LBB14_1578
.LBB14_2030:
	s_or_b32 s4, s4, exec_lo
	s_trap 2
	s_cbranch_execz .LBB14_1624
	s_branch .LBB14_1625
.LBB14_2031:
	s_andn2_saveexec_b32 s10, s10
	s_cbranch_execz .LBB14_1589
.LBB14_2032:
	v_add_f32_e64 v8, 0x42800000, |v3|
	s_andn2_b32 s5, s5, exec_lo
	v_and_b32_e32 v8, 0xff, v8
	v_cmp_ne_u32_e32 vcc_lo, 0, v8
	s_and_b32 s11, vcc_lo, exec_lo
	s_or_b32 s5, s5, s11
	s_or_b32 exec_lo, exec_lo, s10
	v_mov_b32_e32 v9, 0
	s_and_saveexec_b32 s10, s5
	s_cbranch_execnz .LBB14_1590
	s_branch .LBB14_1591
.LBB14_2033:
	s_andn2_saveexec_b32 s11, s11
	s_cbranch_execz .LBB14_1695
.LBB14_2034:
	v_add_f32_e64 v7, 0x46000000, |v3|
	s_andn2_b32 s10, s10, exec_lo
	v_and_b32_e32 v7, 0xff, v7
	v_cmp_ne_u32_e32 vcc_lo, 0, v7
	s_and_b32 s13, vcc_lo, exec_lo
	s_or_b32 s10, s10, s13
	s_or_b32 exec_lo, exec_lo, s11
	v_mov_b32_e32 v8, 0
	s_and_saveexec_b32 s11, s10
	s_cbranch_execnz .LBB14_1696
	s_branch .LBB14_1697
.LBB14_2035:
	s_or_b32 s4, s4, exec_lo
	s_trap 2
	s_cbranch_execz .LBB14_1743
	s_branch .LBB14_1744
.LBB14_2036:
	s_andn2_saveexec_b32 s10, s10
	s_cbranch_execz .LBB14_1708
.LBB14_2037:
	v_add_f32_e64 v7, 0x42800000, |v3|
	s_andn2_b32 s5, s5, exec_lo
	v_and_b32_e32 v7, 0xff, v7
	v_cmp_ne_u32_e32 vcc_lo, 0, v7
	s_and_b32 s11, vcc_lo, exec_lo
	s_or_b32 s5, s5, s11
	s_or_b32 exec_lo, exec_lo, s10
	v_mov_b32_e32 v8, 0
	s_and_saveexec_b32 s10, s5
	s_cbranch_execnz .LBB14_1709
	s_branch .LBB14_1710
.LBB14_2038:
	s_andn2_saveexec_b32 s11, s11
	s_cbranch_execz .LBB14_1814
.LBB14_2039:
	v_add_f32_e64 v6, 0x46000000, |v3|
	s_andn2_b32 s10, s10, exec_lo
	v_and_b32_e32 v6, 0xff, v6
	v_cmp_ne_u32_e32 vcc_lo, 0, v6
	s_and_b32 s13, vcc_lo, exec_lo
	s_or_b32 s10, s10, s13
	s_or_b32 exec_lo, exec_lo, s11
	v_mov_b32_e32 v7, 0
	s_and_saveexec_b32 s11, s10
	s_cbranch_execnz .LBB14_1815
	s_branch .LBB14_1816
.LBB14_2040:
	s_or_b32 s4, s4, exec_lo
	s_trap 2
	s_cbranch_execz .LBB14_1862
	s_branch .LBB14_1863
.LBB14_2041:
	s_andn2_saveexec_b32 s10, s10
	s_cbranch_execz .LBB14_1827
.LBB14_2042:
	v_add_f32_e64 v6, 0x42800000, |v3|
	s_andn2_b32 s5, s5, exec_lo
	v_and_b32_e32 v6, 0xff, v6
	v_cmp_ne_u32_e32 vcc_lo, 0, v6
	s_and_b32 s11, vcc_lo, exec_lo
	s_or_b32 s5, s5, s11
	s_or_b32 exec_lo, exec_lo, s10
	v_mov_b32_e32 v7, 0
	s_and_saveexec_b32 s10, s5
	s_cbranch_execnz .LBB14_1828
	s_branch .LBB14_1829
.LBB14_2043:
	s_andn2_saveexec_b32 s8, s8
	s_cbranch_execz .LBB14_1934
.LBB14_2044:
	v_add_f32_e64 v4, 0x46000000, |v3|
	s_andn2_b32 s5, s5, exec_lo
	v_and_b32_e32 v4, 0xff, v4
	v_cmp_ne_u32_e32 vcc_lo, 0, v4
	s_and_b32 s9, vcc_lo, exec_lo
	s_or_b32 s5, s5, s9
	s_or_b32 exec_lo, exec_lo, s8
	v_mov_b32_e32 v5, 0
	s_and_saveexec_b32 s8, s5
	s_cbranch_execnz .LBB14_1935
	s_branch .LBB14_1936
.LBB14_2045:
	s_mov_b32 s2, 0
	s_or_b32 s4, s4, exec_lo
	s_trap 2
	s_branch .LBB14_1980
.LBB14_2046:
	s_andn2_saveexec_b32 s5, s5
	s_cbranch_execz .LBB14_1946
.LBB14_2047:
	v_add_f32_e64 v4, 0x42800000, |v3|
	s_andn2_b32 s3, s3, exec_lo
	v_and_b32_e32 v4, 0xff, v4
	v_cmp_ne_u32_e32 vcc_lo, 0, v4
	s_and_b32 s8, vcc_lo, exec_lo
	s_or_b32 s3, s3, s8
	s_or_b32 exec_lo, exec_lo, s5
	v_mov_b32_e32 v5, 0
	s_and_saveexec_b32 s5, s3
	s_cbranch_execnz .LBB14_1947
	s_branch .LBB14_1948
	.section	.rodata,"a",@progbits
	.p2align	6, 0x0
	.amdhsa_kernel _ZN2at6native32elementwise_kernel_manual_unrollILi128ELi4EZNS0_15gpu_kernel_implIZZZNS0_16atan_kernel_cudaERNS_18TensorIteratorBaseEENKUlvE0_clEvENKUlvE0_clEvEUlfE_EEvS4_RKT_EUlibE_EEviT1_
		.amdhsa_group_segment_fixed_size 0
		.amdhsa_private_segment_fixed_size 0
		.amdhsa_kernarg_size 40
		.amdhsa_user_sgpr_count 6
		.amdhsa_user_sgpr_private_segment_buffer 1
		.amdhsa_user_sgpr_dispatch_ptr 0
		.amdhsa_user_sgpr_queue_ptr 0
		.amdhsa_user_sgpr_kernarg_segment_ptr 1
		.amdhsa_user_sgpr_dispatch_id 0
		.amdhsa_user_sgpr_flat_scratch_init 0
		.amdhsa_user_sgpr_private_segment_size 0
		.amdhsa_wavefront_size32 1
		.amdhsa_uses_dynamic_stack 0
		.amdhsa_system_sgpr_private_segment_wavefront_offset 0
		.amdhsa_system_sgpr_workgroup_id_x 1
		.amdhsa_system_sgpr_workgroup_id_y 0
		.amdhsa_system_sgpr_workgroup_id_z 0
		.amdhsa_system_sgpr_workgroup_info 0
		.amdhsa_system_vgpr_workitem_id 0
		.amdhsa_next_free_vgpr 12
		.amdhsa_next_free_sgpr 26
		.amdhsa_reserve_vcc 1
		.amdhsa_reserve_flat_scratch 0
		.amdhsa_float_round_mode_32 0
		.amdhsa_float_round_mode_16_64 0
		.amdhsa_float_denorm_mode_32 3
		.amdhsa_float_denorm_mode_16_64 3
		.amdhsa_dx10_clamp 1
		.amdhsa_ieee_mode 1
		.amdhsa_fp16_overflow 0
		.amdhsa_workgroup_processor_mode 1
		.amdhsa_memory_ordered 1
		.amdhsa_forward_progress 1
		.amdhsa_shared_vgpr_count 0
		.amdhsa_exception_fp_ieee_invalid_op 0
		.amdhsa_exception_fp_denorm_src 0
		.amdhsa_exception_fp_ieee_div_zero 0
		.amdhsa_exception_fp_ieee_overflow 0
		.amdhsa_exception_fp_ieee_underflow 0
		.amdhsa_exception_fp_ieee_inexact 0
		.amdhsa_exception_int_div_zero 0
	.end_amdhsa_kernel
	.section	.text._ZN2at6native32elementwise_kernel_manual_unrollILi128ELi4EZNS0_15gpu_kernel_implIZZZNS0_16atan_kernel_cudaERNS_18TensorIteratorBaseEENKUlvE0_clEvENKUlvE0_clEvEUlfE_EEvS4_RKT_EUlibE_EEviT1_,"axG",@progbits,_ZN2at6native32elementwise_kernel_manual_unrollILi128ELi4EZNS0_15gpu_kernel_implIZZZNS0_16atan_kernel_cudaERNS_18TensorIteratorBaseEENKUlvE0_clEvENKUlvE0_clEvEUlfE_EEvS4_RKT_EUlibE_EEviT1_,comdat
.Lfunc_end14:
	.size	_ZN2at6native32elementwise_kernel_manual_unrollILi128ELi4EZNS0_15gpu_kernel_implIZZZNS0_16atan_kernel_cudaERNS_18TensorIteratorBaseEENKUlvE0_clEvENKUlvE0_clEvEUlfE_EEvS4_RKT_EUlibE_EEviT1_, .Lfunc_end14-_ZN2at6native32elementwise_kernel_manual_unrollILi128ELi4EZNS0_15gpu_kernel_implIZZZNS0_16atan_kernel_cudaERNS_18TensorIteratorBaseEENKUlvE0_clEvENKUlvE0_clEvEUlfE_EEvS4_RKT_EUlibE_EEviT1_
                                        ; -- End function
	.set _ZN2at6native32elementwise_kernel_manual_unrollILi128ELi4EZNS0_15gpu_kernel_implIZZZNS0_16atan_kernel_cudaERNS_18TensorIteratorBaseEENKUlvE0_clEvENKUlvE0_clEvEUlfE_EEvS4_RKT_EUlibE_EEviT1_.num_vgpr, 12
	.set _ZN2at6native32elementwise_kernel_manual_unrollILi128ELi4EZNS0_15gpu_kernel_implIZZZNS0_16atan_kernel_cudaERNS_18TensorIteratorBaseEENKUlvE0_clEvENKUlvE0_clEvEUlfE_EEvS4_RKT_EUlibE_EEviT1_.num_agpr, 0
	.set _ZN2at6native32elementwise_kernel_manual_unrollILi128ELi4EZNS0_15gpu_kernel_implIZZZNS0_16atan_kernel_cudaERNS_18TensorIteratorBaseEENKUlvE0_clEvENKUlvE0_clEvEUlfE_EEvS4_RKT_EUlibE_EEviT1_.numbered_sgpr, 26
	.set _ZN2at6native32elementwise_kernel_manual_unrollILi128ELi4EZNS0_15gpu_kernel_implIZZZNS0_16atan_kernel_cudaERNS_18TensorIteratorBaseEENKUlvE0_clEvENKUlvE0_clEvEUlfE_EEvS4_RKT_EUlibE_EEviT1_.num_named_barrier, 0
	.set _ZN2at6native32elementwise_kernel_manual_unrollILi128ELi4EZNS0_15gpu_kernel_implIZZZNS0_16atan_kernel_cudaERNS_18TensorIteratorBaseEENKUlvE0_clEvENKUlvE0_clEvEUlfE_EEvS4_RKT_EUlibE_EEviT1_.private_seg_size, 0
	.set _ZN2at6native32elementwise_kernel_manual_unrollILi128ELi4EZNS0_15gpu_kernel_implIZZZNS0_16atan_kernel_cudaERNS_18TensorIteratorBaseEENKUlvE0_clEvENKUlvE0_clEvEUlfE_EEvS4_RKT_EUlibE_EEviT1_.uses_vcc, 1
	.set _ZN2at6native32elementwise_kernel_manual_unrollILi128ELi4EZNS0_15gpu_kernel_implIZZZNS0_16atan_kernel_cudaERNS_18TensorIteratorBaseEENKUlvE0_clEvENKUlvE0_clEvEUlfE_EEvS4_RKT_EUlibE_EEviT1_.uses_flat_scratch, 0
	.set _ZN2at6native32elementwise_kernel_manual_unrollILi128ELi4EZNS0_15gpu_kernel_implIZZZNS0_16atan_kernel_cudaERNS_18TensorIteratorBaseEENKUlvE0_clEvENKUlvE0_clEvEUlfE_EEvS4_RKT_EUlibE_EEviT1_.has_dyn_sized_stack, 0
	.set _ZN2at6native32elementwise_kernel_manual_unrollILi128ELi4EZNS0_15gpu_kernel_implIZZZNS0_16atan_kernel_cudaERNS_18TensorIteratorBaseEENKUlvE0_clEvENKUlvE0_clEvEUlfE_EEvS4_RKT_EUlibE_EEviT1_.has_recursion, 0
	.set _ZN2at6native32elementwise_kernel_manual_unrollILi128ELi4EZNS0_15gpu_kernel_implIZZZNS0_16atan_kernel_cudaERNS_18TensorIteratorBaseEENKUlvE0_clEvENKUlvE0_clEvEUlfE_EEvS4_RKT_EUlibE_EEviT1_.has_indirect_call, 0
	.section	.AMDGPU.csdata,"",@progbits
; Kernel info:
; codeLenInByte = 32408
; TotalNumSgprs: 28
; NumVgprs: 12
; ScratchSize: 0
; MemoryBound: 1
; FloatMode: 240
; IeeeMode: 1
; LDSByteSize: 0 bytes/workgroup (compile time only)
; SGPRBlocks: 0
; VGPRBlocks: 1
; NumSGPRsForWavesPerEU: 28
; NumVGPRsForWavesPerEU: 12
; Occupancy: 16
; WaveLimiterHint : 0
; COMPUTE_PGM_RSRC2:SCRATCH_EN: 0
; COMPUTE_PGM_RSRC2:USER_SGPR: 6
; COMPUTE_PGM_RSRC2:TRAP_HANDLER: 0
; COMPUTE_PGM_RSRC2:TGID_X_EN: 1
; COMPUTE_PGM_RSRC2:TGID_Y_EN: 0
; COMPUTE_PGM_RSRC2:TGID_Z_EN: 0
; COMPUTE_PGM_RSRC2:TIDIG_COMP_CNT: 0
	.section	.text._ZN2at6native32elementwise_kernel_manual_unrollILi128ELi4EZNS0_15gpu_kernel_implIZZZNS0_16atan_kernel_cudaERNS_18TensorIteratorBaseEENKUlvE0_clEvENKUlvE0_clEvEUlfE_EEvS4_RKT_EUlibE0_EEviT1_,"axG",@progbits,_ZN2at6native32elementwise_kernel_manual_unrollILi128ELi4EZNS0_15gpu_kernel_implIZZZNS0_16atan_kernel_cudaERNS_18TensorIteratorBaseEENKUlvE0_clEvENKUlvE0_clEvEUlfE_EEvS4_RKT_EUlibE0_EEviT1_,comdat
	.globl	_ZN2at6native32elementwise_kernel_manual_unrollILi128ELi4EZNS0_15gpu_kernel_implIZZZNS0_16atan_kernel_cudaERNS_18TensorIteratorBaseEENKUlvE0_clEvENKUlvE0_clEvEUlfE_EEvS4_RKT_EUlibE0_EEviT1_ ; -- Begin function _ZN2at6native32elementwise_kernel_manual_unrollILi128ELi4EZNS0_15gpu_kernel_implIZZZNS0_16atan_kernel_cudaERNS_18TensorIteratorBaseEENKUlvE0_clEvENKUlvE0_clEvEUlfE_EEvS4_RKT_EUlibE0_EEviT1_
	.p2align	8
	.type	_ZN2at6native32elementwise_kernel_manual_unrollILi128ELi4EZNS0_15gpu_kernel_implIZZZNS0_16atan_kernel_cudaERNS_18TensorIteratorBaseEENKUlvE0_clEvENKUlvE0_clEvEUlfE_EEvS4_RKT_EUlibE0_EEviT1_,@function
_ZN2at6native32elementwise_kernel_manual_unrollILi128ELi4EZNS0_15gpu_kernel_implIZZZNS0_16atan_kernel_cudaERNS_18TensorIteratorBaseEENKUlvE0_clEvENKUlvE0_clEvEUlfE_EEvS4_RKT_EUlibE0_EEviT1_: ; @_ZN2at6native32elementwise_kernel_manual_unrollILi128ELi4EZNS0_15gpu_kernel_implIZZZNS0_16atan_kernel_cudaERNS_18TensorIteratorBaseEENKUlvE0_clEvENKUlvE0_clEvEUlfE_EEvS4_RKT_EUlibE0_EEviT1_
; %bb.0:
	s_clause 0x1
	s_load_dword s24, s[4:5], 0x8
	s_load_dword s33, s[4:5], 0x0
	v_lshl_or_b32 v8, s6, 9, v0
	s_add_u32 s2, s4, 8
	s_addc_u32 s3, s5, 0
	s_mov_b32 s1, -1
	s_mov_b32 s26, 0
	v_or_b32_e32 v15, 0x180, v8
	s_mov_b32 s12, 0
	s_mov_b32 s0, exec_lo
	s_waitcnt lgkmcnt(0)
	s_add_i32 s25, s24, -1
	s_cmp_gt_u32 s25, 1
	s_cselect_b32 s27, -1, 0
	v_cmpx_le_i32_e64 s33, v15
	s_xor_b32 s28, exec_lo, s0
	s_cbranch_execz .LBB15_1089
; %bb.1:
	v_mov_b32_e32 v0, 0
	s_clause 0x3
	s_load_dwordx4 s[16:19], s[2:3], 0x4
	s_load_dwordx2 s[6:7], s[2:3], 0x14
	s_load_dwordx4 s[12:15], s[2:3], 0xc4
	s_load_dwordx4 s[8:11], s[2:3], 0x148
	s_cmp_lg_u32 s24, 0
	s_mov_b32 s39, 0
	s_cselect_b32 s34, -1, 0
	global_load_ushort v0, v0, s[2:3] offset:345
	s_add_u32 s20, s2, 0xc4
	s_addc_u32 s21, s3, 0
	s_min_u32 s35, s25, 15
	s_cmp_gt_u32 s24, 1
	s_mov_b32 s37, 0
	s_cselect_b32 s31, -1, 0
	s_mov_b32 s36, 0
	s_mov_b32 s38, exec_lo
	s_waitcnt vmcnt(0)
	v_readfirstlane_b32 s29, v0
	s_and_b32 s0, 0xffff, s29
	s_lshr_b32 s30, s0, 8
	v_cmpx_gt_i32_e64 s33, v8
	s_cbranch_execz .LBB15_266
; %bb.2:
	s_andn2_b32 vcc_lo, exec_lo, s27
	s_cbranch_vccnz .LBB15_7
; %bb.3:
	s_andn2_b32 vcc_lo, exec_lo, s34
	s_cbranch_vccnz .LBB15_8
; %bb.4:
	s_add_i32 s37, s35, 1
	s_cmp_eq_u32 s25, 2
	s_cbranch_scc1 .LBB15_9
; %bb.5:
	v_mov_b32_e32 v2, 0
	v_mov_b32_e32 v0, 0
	;; [unrolled: 1-line block ×3, first 2 shown]
	s_and_b32 s36, s37, 28
	s_mov_b32 s40, 0
	s_mov_b64 s[0:1], s[2:3]
	s_mov_b64 s[22:23], s[20:21]
.LBB15_6:                               ; =>This Inner Loop Header: Depth=1
	s_clause 0x1
	s_load_dwordx8 s[44:51], s[0:1], 0x4
	s_load_dwordx4 s[60:63], s[0:1], 0x24
	s_load_dwordx8 s[52:59], s[22:23], 0x0
	s_add_u32 s0, s0, 48
	s_addc_u32 s1, s1, 0
	s_add_i32 s40, s40, 4
	s_add_u32 s22, s22, 32
	s_addc_u32 s23, s23, 0
	s_cmp_lg_u32 s36, s40
	s_waitcnt lgkmcnt(0)
	v_mul_hi_u32 v3, s45, v1
	v_add_nc_u32_e32 v3, v1, v3
	v_lshrrev_b32_e32 v3, s46, v3
	v_mul_hi_u32 v4, s48, v3
	v_mul_lo_u32 v6, v3, s44
	v_add_nc_u32_e32 v4, v3, v4
	v_sub_nc_u32_e32 v1, v1, v6
	v_lshrrev_b32_e32 v4, s49, v4
	v_mul_lo_u32 v6, v1, s52
	v_mul_lo_u32 v9, v1, s53
	v_mul_hi_u32 v5, s51, v4
	v_add_nc_u32_e32 v5, v4, v5
	v_lshrrev_b32_e32 v5, s60, v5
	v_mul_hi_u32 v7, s62, v5
	v_mul_lo_u32 v10, v5, s50
	v_add_nc_u32_e32 v1, v5, v7
	v_mul_lo_u32 v7, v4, s47
	v_sub_nc_u32_e32 v4, v4, v10
	v_lshrrev_b32_e32 v1, s63, v1
	v_mul_lo_u32 v10, v4, s56
	v_mul_lo_u32 v4, v4, s57
	v_sub_nc_u32_e32 v3, v3, v7
	v_mul_lo_u32 v11, v1, s61
	v_mul_lo_u32 v7, v3, s54
	;; [unrolled: 1-line block ×3, first 2 shown]
	v_sub_nc_u32_e32 v5, v5, v11
	v_add3_u32 v0, v6, v0, v7
	v_mul_lo_u32 v11, v5, s58
	v_mul_lo_u32 v5, v5, s59
	v_add3_u32 v2, v9, v2, v3
	v_add3_u32 v0, v10, v0, v11
	v_add3_u32 v2, v4, v2, v5
	s_cbranch_scc1 .LBB15_6
	s_branch .LBB15_10
.LBB15_7:
                                        ; implicit-def: $vgpr0
                                        ; implicit-def: $vgpr2
	s_branch .LBB15_14
.LBB15_8:
	v_mov_b32_e32 v0, 0
	v_mov_b32_e32 v2, 0
	s_branch .LBB15_13
.LBB15_9:
	v_mov_b32_e32 v0, 0
	v_mov_b32_e32 v2, 0
	;; [unrolled: 1-line block ×3, first 2 shown]
.LBB15_10:
	s_and_b32 s37, s37, 3
	s_cmp_eq_u32 s37, 0
	s_cbranch_scc1 .LBB15_13
; %bb.11:
	s_lshl_b32 s0, s36, 3
	s_mul_i32 s22, s36, 12
	s_add_u32 s0, s2, s0
	s_addc_u32 s1, s3, 0
	s_add_u32 s0, s0, 0xc4
	s_addc_u32 s1, s1, 0
	;; [unrolled: 2-line block ×3, first 2 shown]
	.p2align	6
.LBB15_12:                              ; =>This Inner Loop Header: Depth=1
	s_clause 0x1
	s_load_dwordx2 s[40:41], s[22:23], 0x4
	s_load_dword s36, s[22:23], 0xc
	s_load_dwordx2 s[42:43], s[0:1], 0x0
	s_add_u32 s22, s22, 12
	s_addc_u32 s23, s23, 0
	s_add_u32 s0, s0, 8
	s_addc_u32 s1, s1, 0
	s_add_i32 s37, s37, -1
	s_cmp_lg_u32 s37, 0
	s_waitcnt lgkmcnt(0)
	v_mul_hi_u32 v3, s41, v1
	v_add_nc_u32_e32 v3, v1, v3
	v_lshrrev_b32_e32 v4, s36, v3
	v_mul_lo_u32 v3, v4, s40
	v_sub_nc_u32_e32 v3, v1, v3
	v_mad_u64_u32 v[0:1], null, v3, s42, v[0:1]
	v_mad_u64_u32 v[2:3], null, v3, s43, v[2:3]
	v_mov_b32_e32 v1, v4
	s_cbranch_scc1 .LBB15_12
.LBB15_13:
	s_cbranch_execnz .LBB15_16
.LBB15_14:
	s_waitcnt lgkmcnt(0)
	v_mul_hi_u32 v0, s17, v8
	s_andn2_b32 vcc_lo, exec_lo, s31
	v_add_nc_u32_e32 v0, v8, v0
	v_lshrrev_b32_e32 v1, s18, v0
	v_mul_lo_u32 v0, v1, s16
	v_sub_nc_u32_e32 v2, v8, v0
	v_mul_lo_u32 v0, v2, s12
	v_mul_lo_u32 v2, v2, s13
	s_cbranch_vccnz .LBB15_16
; %bb.15:
	v_mul_hi_u32 v3, s6, v1
	v_add_nc_u32_e32 v3, v1, v3
	v_lshrrev_b32_e32 v3, s7, v3
	v_mul_lo_u32 v3, v3, s19
	v_sub_nc_u32_e32 v3, v1, v3
	v_mad_u64_u32 v[0:1], null, v3, s14, v[0:1]
	v_mad_u64_u32 v[2:3], null, v3, s15, v[2:3]
.LBB15_16:
	s_waitcnt lgkmcnt(0)
	v_add_co_u32 v1, s0, s10, v2
	v_add_co_ci_u32_e64 v2, null, s11, 0, s0
	s_and_b32 s0, 0xffff, s30
	s_cmp_lt_i32 s0, 11
	s_cbranch_scc1 .LBB15_23
; %bb.17:
	s_cmp_gt_i32 s0, 25
	s_cbranch_scc0 .LBB15_32
; %bb.18:
	s_cmp_gt_i32 s0, 28
	s_cbranch_scc0 .LBB15_35
	;; [unrolled: 3-line block ×4, first 2 shown]
; %bb.21:
	s_cmp_eq_u32 s0, 46
	s_mov_b32 s23, 0
	s_cbranch_scc0 .LBB15_41
; %bb.22:
	global_load_dword v3, v[1:2], off
	s_mov_b32 s22, -1
	s_mov_b32 s1, 0
	s_waitcnt vmcnt(0)
	v_lshlrev_b32_e32 v3, 16, v3
	s_branch .LBB15_43
.LBB15_23:
	s_mov_b32 s1, 0
	s_mov_b32 s22, 0
                                        ; implicit-def: $vgpr3
	s_cbranch_execnz .LBB15_216
.LBB15_24:
	s_andn2_b32 vcc_lo, exec_lo, s22
	s_cbranch_vccnz .LBB15_263
.LBB15_25:
	s_waitcnt vmcnt(0)
	v_rcp_f32_e64 v1, |v3|
	v_cmp_gt_f32_e64 vcc_lo, |v3|, 1.0
	s_mov_b32 s0, 0x3b2d2a58
	s_and_b32 s22, s29, 0xff
	s_cmp_lt_i32 s22, 11
	v_cndmask_b32_e64 v1, |v3|, v1, vcc_lo
	v_mul_f32_e32 v2, v1, v1
	v_fmaak_f32 v4, s0, v2, 0xbc7a590c
	v_add_co_u32 v0, s0, s8, v0
	v_fmaak_f32 v4, v2, v4, 0x3d29fb3f
	v_fmaak_f32 v4, v2, v4, 0xbd97d4d7
	;; [unrolled: 1-line block ×6, first 2 shown]
	v_mul_f32_e32 v2, v2, v4
	v_fmac_f32_e32 v1, v1, v2
	v_sub_f32_e32 v2, 0x3fc90fdb, v1
	v_cndmask_b32_e32 v4, v1, v2, vcc_lo
	v_add_co_ci_u32_e64 v1, null, s9, 0, s0
	v_bfi_b32 v2, 0x7fffffff, v4, v3
	s_cbranch_scc1 .LBB15_33
; %bb.26:
	s_and_b32 s23, 0xffff, s22
	s_cmp_gt_i32 s23, 25
	s_cbranch_scc0 .LBB15_36
; %bb.27:
	s_cmp_gt_i32 s23, 28
	s_cbranch_scc0 .LBB15_38
; %bb.28:
	;; [unrolled: 3-line block ×4, first 2 shown]
	s_mov_b32 s37, 0
	s_mov_b32 s0, -1
	s_cmp_eq_u32 s23, 46
	s_mov_b32 s36, 0
	s_cbranch_scc0 .LBB15_47
; %bb.31:
	v_bfe_u32 v3, v2, 16, 1
	v_cmp_o_f32_e32 vcc_lo, v2, v2
	v_mov_b32_e32 v5, 0x7fc0
	s_mov_b32 s36, -1
	s_mov_b32 s0, 0
	v_add3_u32 v3, v2, v3, 0x7fff
	v_cndmask_b32_sdwa v3, v5, v3, vcc_lo dst_sel:DWORD dst_unused:UNUSED_PAD src0_sel:DWORD src1_sel:WORD_1
	global_store_dword v[0:1], v3, off
	s_branch .LBB15_47
.LBB15_32:
	s_mov_b32 s1, 0
	s_mov_b32 s22, 0
                                        ; implicit-def: $vgpr3
	s_cbranch_execnz .LBB15_181
	s_branch .LBB15_215
.LBB15_33:
	s_mov_b32 s0, 0
	s_mov_b32 s36, 0
	s_cbranch_execnz .LBB15_116
.LBB15_34:
	s_andn2_b32 vcc_lo, exec_lo, s36
	s_cbranch_vccz .LBB15_154
	s_branch .LBB15_264
.LBB15_35:
	s_mov_b32 s23, -1
	s_mov_b32 s1, 0
	s_mov_b32 s22, 0
                                        ; implicit-def: $vgpr3
	s_branch .LBB15_162
.LBB15_36:
	s_mov_b32 s37, -1
	s_mov_b32 s0, 0
	s_mov_b32 s36, 0
	s_branch .LBB15_74
.LBB15_37:
	s_mov_b32 s23, -1
	s_mov_b32 s1, 0
	s_mov_b32 s22, 0
                                        ; implicit-def: $vgpr3
	s_branch .LBB15_157
.LBB15_38:
	s_mov_b32 s37, -1
	s_mov_b32 s0, 0
	s_mov_b32 s36, 0
	s_branch .LBB15_57
.LBB15_39:
	s_mov_b32 s23, -1
	s_mov_b32 s1, 0
	s_branch .LBB15_42
.LBB15_40:
	s_mov_b32 s37, -1
	s_mov_b32 s0, 0
	s_mov_b32 s36, 0
	s_branch .LBB15_53
.LBB15_41:
	s_mov_b32 s1, -1
.LBB15_42:
	s_mov_b32 s22, 0
                                        ; implicit-def: $vgpr3
.LBB15_43:
	s_and_b32 vcc_lo, exec_lo, s23
	s_cbranch_vccz .LBB15_156
; %bb.44:
	s_cmp_eq_u32 s0, 44
	s_cbranch_scc0 .LBB15_155
; %bb.45:
	global_load_ubyte v3, v[1:2], off
	s_mov_b32 s1, 0
	s_mov_b32 s22, -1
	s_waitcnt vmcnt(0)
	v_lshlrev_b32_e32 v4, 23, v3
	v_cmp_ne_u32_e32 vcc_lo, 0xff, v3
	v_cndmask_b32_e32 v4, 0x7f800001, v4, vcc_lo
	v_cmp_ne_u32_e32 vcc_lo, 0, v3
	v_cndmask_b32_e32 v3, 0x400000, v4, vcc_lo
	s_branch .LBB15_156
.LBB15_46:
	s_mov_b32 s37, -1
	s_mov_b32 s0, 0
	s_mov_b32 s36, 0
.LBB15_47:
	s_and_b32 vcc_lo, exec_lo, s37
	s_cbranch_vccz .LBB15_52
; %bb.48:
	s_cmp_eq_u32 s23, 44
	s_mov_b32 s0, -1
	s_cbranch_scc0 .LBB15_52
; %bb.49:
	v_bfe_u32 v5, v2, 23, 8
	v_mov_b32_e32 v3, 0xff
	s_mov_b32 s36, exec_lo
	v_cmpx_ne_u32_e32 0xff, v5
	s_cbranch_execz .LBB15_51
; %bb.50:
	v_and_b32_e32 v3, 0x400000, v2
	v_and_or_b32 v5, 0x3fffff, v2, v5
	v_cmp_ne_u32_e32 vcc_lo, 0, v3
	v_cmp_ne_u32_e64 s0, 0, v5
	v_lshrrev_b32_e32 v3, 23, v2
	s_and_b32 s0, vcc_lo, s0
	v_cndmask_b32_e64 v5, 0, 1, s0
	v_add_nc_u32_e32 v3, v3, v5
.LBB15_51:
	s_or_b32 exec_lo, exec_lo, s36
	s_mov_b32 s36, -1
	s_mov_b32 s0, 0
	global_store_byte v[0:1], v3, off
.LBB15_52:
	s_mov_b32 s37, 0
.LBB15_53:
	s_and_b32 vcc_lo, exec_lo, s37
	s_cbranch_vccz .LBB15_56
; %bb.54:
	s_cmp_eq_u32 s23, 29
	s_mov_b32 s0, -1
	s_cbranch_scc0 .LBB15_56
; %bb.55:
	v_trunc_f32_e32 v3, v2
	s_mov_b32 s36, -1
	s_mov_b32 s0, 0
	s_mov_b32 s37, 0
	v_mul_f32_e32 v5, 0x2f800000, v3
	v_floor_f32_e32 v5, v5
	v_fmamk_f32 v3, v5, 0xcf800000, v3
	v_cvt_u32_f32_e32 v6, v5
	v_cvt_u32_f32_e32 v5, v3
	global_store_dwordx2 v[0:1], v[5:6], off
	s_branch .LBB15_57
.LBB15_56:
	s_mov_b32 s37, 0
.LBB15_57:
	s_and_b32 vcc_lo, exec_lo, s37
	s_cbranch_vccz .LBB15_73
; %bb.58:
	s_cmp_lt_i32 s23, 27
	s_mov_b32 s36, -1
	s_cbranch_scc1 .LBB15_64
; %bb.59:
	v_cvt_u32_f32_e32 v3, v2
	s_cmp_gt_i32 s23, 27
	s_cbranch_scc0 .LBB15_61
; %bb.60:
	s_mov_b32 s36, 0
	global_store_dword v[0:1], v3, off
.LBB15_61:
	s_andn2_b32 vcc_lo, exec_lo, s36
	s_cbranch_vccnz .LBB15_63
; %bb.62:
	global_store_short v[0:1], v3, off
.LBB15_63:
	s_mov_b32 s36, 0
.LBB15_64:
	s_andn2_b32 vcc_lo, exec_lo, s36
	s_cbranch_vccnz .LBB15_72
; %bb.65:
	v_and_b32_e32 v3, 0x7fffffff, v4
	v_mov_b32_e32 v5, 0x80
	s_mov_b32 s36, exec_lo
	v_cmpx_gt_u32_e32 0x43800000, v3
	s_cbranch_execz .LBB15_71
; %bb.66:
	v_cmp_lt_u32_e32 vcc_lo, 0x3bffffff, v3
	s_mov_b32 s37, 0
                                        ; implicit-def: $vgpr3
	s_and_saveexec_b32 s40, vcc_lo
	s_xor_b32 s40, exec_lo, s40
	s_cbranch_execz .LBB15_307
; %bb.67:
	v_bfe_u32 v3, v2, 20, 1
	s_mov_b32 s37, exec_lo
	v_add3_u32 v3, v2, v3, 0x487ffff
	v_lshrrev_b32_e32 v3, 20, v3
	s_andn2_saveexec_b32 s40, s40
	s_cbranch_execnz .LBB15_308
.LBB15_68:
	s_or_b32 exec_lo, exec_lo, s40
	v_mov_b32_e32 v5, 0
	s_and_saveexec_b32 s40, s37
.LBB15_69:
	v_lshrrev_b32_e32 v5, 24, v2
	v_and_or_b32 v5, 0x80, v5, v3
.LBB15_70:
	s_or_b32 exec_lo, exec_lo, s40
.LBB15_71:
	s_or_b32 exec_lo, exec_lo, s36
	global_store_byte v[0:1], v5, off
.LBB15_72:
	s_mov_b32 s36, -1
.LBB15_73:
	s_mov_b32 s37, 0
.LBB15_74:
	s_and_b32 vcc_lo, exec_lo, s37
	s_cbranch_vccz .LBB15_115
; %bb.75:
	s_cmp_gt_i32 s23, 22
	s_mov_b32 s37, -1
	s_cbranch_scc0 .LBB15_107
; %bb.76:
	s_cmp_lt_i32 s23, 24
	s_mov_b32 s36, -1
	s_cbranch_scc1 .LBB15_96
; %bb.77:
	s_cmp_gt_i32 s23, 24
	s_cbranch_scc0 .LBB15_85
; %bb.78:
	v_and_b32_e32 v3, 0x7fffffff, v4
	v_mov_b32_e32 v5, 0x80
	s_mov_b32 s36, exec_lo
	v_cmpx_gt_u32_e32 0x47800000, v3
	s_cbranch_execz .LBB15_84
; %bb.79:
	v_cmp_lt_u32_e32 vcc_lo, 0x37ffffff, v3
	s_mov_b32 s37, 0
                                        ; implicit-def: $vgpr3
	s_and_saveexec_b32 s40, vcc_lo
	s_xor_b32 s40, exec_lo, s40
	s_cbranch_execz .LBB15_311
; %bb.80:
	v_bfe_u32 v3, v2, 21, 1
	s_mov_b32 s37, exec_lo
	v_add3_u32 v3, v2, v3, 0x88fffff
	v_lshrrev_b32_e32 v3, 21, v3
	s_andn2_saveexec_b32 s40, s40
	s_cbranch_execnz .LBB15_312
.LBB15_81:
	s_or_b32 exec_lo, exec_lo, s40
	v_mov_b32_e32 v5, 0
	s_and_saveexec_b32 s40, s37
.LBB15_82:
	v_lshrrev_b32_e32 v5, 24, v2
	v_and_or_b32 v5, 0x80, v5, v3
.LBB15_83:
	s_or_b32 exec_lo, exec_lo, s40
.LBB15_84:
	s_or_b32 exec_lo, exec_lo, s36
	s_mov_b32 s36, 0
	global_store_byte v[0:1], v5, off
.LBB15_85:
	s_and_b32 vcc_lo, exec_lo, s36
	s_cbranch_vccz .LBB15_95
; %bb.86:
	v_and_b32_e32 v5, 0x7fffffff, v4
	s_mov_b32 s36, exec_lo
                                        ; implicit-def: $vgpr3
	v_cmpx_gt_u32_e32 0x43f00000, v5
	s_xor_b32 s36, exec_lo, s36
	s_cbranch_execz .LBB15_92
; %bb.87:
	s_mov_b32 s37, exec_lo
                                        ; implicit-def: $vgpr3
	v_cmpx_lt_u32_e32 0x3c7fffff, v5
	s_xor_b32 s37, exec_lo, s37
; %bb.88:
	v_bfe_u32 v3, v2, 20, 1
	v_add3_u32 v3, v2, v3, 0x407ffff
	v_and_b32_e32 v5, 0xff00000, v3
	v_lshrrev_b32_e32 v3, 20, v3
	v_cmp_ne_u32_e32 vcc_lo, 0x7f00000, v5
	v_cndmask_b32_e32 v3, 0x7e, v3, vcc_lo
; %bb.89:
	s_andn2_saveexec_b32 s37, s37
; %bb.90:
	v_add_f32_e64 v3, 0x46800000, |v4|
; %bb.91:
	s_or_b32 exec_lo, exec_lo, s37
                                        ; implicit-def: $vgpr5
.LBB15_92:
	s_andn2_saveexec_b32 s36, s36
; %bb.93:
	v_mov_b32_e32 v3, 0x7f
	v_cmp_lt_u32_e32 vcc_lo, 0x7f800000, v5
	v_cndmask_b32_e32 v3, 0x7e, v3, vcc_lo
; %bb.94:
	s_or_b32 exec_lo, exec_lo, s36
	v_lshrrev_b32_e32 v5, 24, v2
	v_and_or_b32 v3, 0x80, v5, v3
	global_store_byte v[0:1], v3, off
.LBB15_95:
	s_mov_b32 s36, 0
.LBB15_96:
	s_andn2_b32 vcc_lo, exec_lo, s36
	s_cbranch_vccnz .LBB15_106
; %bb.97:
	v_and_b32_e32 v5, 0x7fffffff, v4
	s_mov_b32 s36, exec_lo
                                        ; implicit-def: $vgpr3
	v_cmpx_gt_u32_e32 0x47800000, v5
	s_xor_b32 s36, exec_lo, s36
	s_cbranch_execz .LBB15_103
; %bb.98:
	s_mov_b32 s37, exec_lo
                                        ; implicit-def: $vgpr3
	v_cmpx_lt_u32_e32 0x387fffff, v5
	s_xor_b32 s37, exec_lo, s37
; %bb.99:
	v_bfe_u32 v3, v2, 21, 1
                                        ; implicit-def: $vgpr4
	v_add3_u32 v3, v2, v3, 0x80fffff
	v_lshrrev_b32_e32 v3, 21, v3
; %bb.100:
	s_andn2_saveexec_b32 s37, s37
; %bb.101:
	v_add_f32_e64 v3, 0x43000000, |v4|
; %bb.102:
	s_or_b32 exec_lo, exec_lo, s37
                                        ; implicit-def: $vgpr5
.LBB15_103:
	s_andn2_saveexec_b32 s36, s36
; %bb.104:
	v_mov_b32_e32 v3, 0x7f
	v_cmp_lt_u32_e32 vcc_lo, 0x7f800000, v5
	v_cndmask_b32_e32 v3, 0x7c, v3, vcc_lo
; %bb.105:
	s_or_b32 exec_lo, exec_lo, s36
	v_lshrrev_b32_e32 v4, 24, v2
	v_and_or_b32 v3, 0x80, v4, v3
	global_store_byte v[0:1], v3, off
.LBB15_106:
	s_mov_b32 s37, 0
	s_mov_b32 s36, -1
.LBB15_107:
	s_andn2_b32 vcc_lo, exec_lo, s37
	s_cbranch_vccnz .LBB15_115
; %bb.108:
	s_cmp_gt_i32 s23, 14
	s_mov_b32 s37, -1
	s_cbranch_scc0 .LBB15_112
; %bb.109:
	s_cmp_eq_u32 s23, 15
	s_mov_b32 s0, -1
	s_cbranch_scc0 .LBB15_111
; %bb.110:
	v_bfe_u32 v3, v2, 16, 1
	v_cmp_o_f32_e32 vcc_lo, v2, v2
	v_mov_b32_e32 v4, 0x7fc0
	s_mov_b32 s36, -1
	s_mov_b32 s0, 0
	v_add3_u32 v3, v2, v3, 0x7fff
	v_cndmask_b32_sdwa v3, v4, v3, vcc_lo dst_sel:DWORD dst_unused:UNUSED_PAD src0_sel:DWORD src1_sel:WORD_1
	global_store_short v[0:1], v3, off
.LBB15_111:
	s_mov_b32 s37, 0
.LBB15_112:
	s_and_b32 vcc_lo, exec_lo, s37
	s_cbranch_vccz .LBB15_115
; %bb.113:
	s_cmp_eq_u32 s23, 11
	s_mov_b32 s0, -1
	s_cbranch_scc0 .LBB15_115
; %bb.114:
	v_cmp_neq_f32_e32 vcc_lo, 0, v2
	s_mov_b32 s0, 0
	s_mov_b32 s36, -1
	v_cndmask_b32_e64 v3, 0, 1, vcc_lo
	global_store_byte v[0:1], v3, off
.LBB15_115:
	s_branch .LBB15_34
.LBB15_116:
	s_and_b32 s22, 0xffff, s22
	s_mov_b32 s23, -1
	s_cmp_lt_i32 s22, 5
	s_cbranch_scc1 .LBB15_137
; %bb.117:
	s_cmp_lt_i32 s22, 8
	s_cbranch_scc1 .LBB15_127
; %bb.118:
	;; [unrolled: 3-line block ×3, first 2 shown]
	s_cmp_gt_i32 s22, 9
	s_cbranch_scc0 .LBB15_121
; %bb.120:
	v_cvt_f64_f32_e32 v[3:4], v2
	v_mov_b32_e32 v5, 0
	s_mov_b32 s23, 0
	v_mov_b32_e32 v6, v5
	global_store_dwordx4 v[0:1], v[3:6], off
.LBB15_121:
	s_andn2_b32 vcc_lo, exec_lo, s23
	s_cbranch_vccnz .LBB15_123
; %bb.122:
	v_mov_b32_e32 v3, 0
	global_store_dwordx2 v[0:1], v[2:3], off
.LBB15_123:
	s_mov_b32 s23, 0
.LBB15_124:
	s_andn2_b32 vcc_lo, exec_lo, s23
	s_cbranch_vccnz .LBB15_126
; %bb.125:
	v_cvt_f16_f32_e32 v3, v2
	v_and_b32_e32 v3, 0xffff, v3
	global_store_dword v[0:1], v3, off
.LBB15_126:
	s_mov_b32 s23, 0
.LBB15_127:
	s_andn2_b32 vcc_lo, exec_lo, s23
	s_cbranch_vccnz .LBB15_136
; %bb.128:
	s_cmp_lt_i32 s22, 6
	s_mov_b32 s23, -1
	s_cbranch_scc1 .LBB15_134
; %bb.129:
	s_cmp_gt_i32 s22, 6
	s_cbranch_scc0 .LBB15_131
; %bb.130:
	v_cvt_f64_f32_e32 v[3:4], v2
	s_mov_b32 s23, 0
	global_store_dwordx2 v[0:1], v[3:4], off
.LBB15_131:
	s_andn2_b32 vcc_lo, exec_lo, s23
	s_cbranch_vccnz .LBB15_133
; %bb.132:
	global_store_dword v[0:1], v2, off
.LBB15_133:
	s_mov_b32 s23, 0
.LBB15_134:
	s_andn2_b32 vcc_lo, exec_lo, s23
	s_cbranch_vccnz .LBB15_136
; %bb.135:
	v_cvt_f16_f32_e32 v3, v2
	global_store_short v[0:1], v3, off
.LBB15_136:
	s_mov_b32 s23, 0
.LBB15_137:
	s_andn2_b32 vcc_lo, exec_lo, s23
	s_cbranch_vccnz .LBB15_153
; %bb.138:
	s_cmp_lt_i32 s22, 2
	s_mov_b32 s23, -1
	s_cbranch_scc1 .LBB15_148
; %bb.139:
	s_cmp_lt_i32 s22, 3
	s_cbranch_scc1 .LBB15_145
; %bb.140:
	s_cmp_gt_i32 s22, 3
	s_cbranch_scc0 .LBB15_142
; %bb.141:
	v_trunc_f32_e32 v3, v2
	s_mov_b32 s23, 0
	v_mul_f32_e64 v4, 0x2f800000, |v3|
	v_ashrrev_i32_e32 v6, 31, v3
	v_floor_f32_e32 v4, v4
	v_fma_f32 v5, 0xcf800000, v4, |v3|
	v_cvt_u32_f32_e32 v4, v4
	v_cvt_u32_f32_e32 v3, v5
	v_xor_b32_e32 v4, v4, v6
	v_xor_b32_e32 v3, v3, v6
	v_sub_co_u32 v3, vcc_lo, v3, v6
	v_sub_co_ci_u32_e64 v4, null, v4, v6, vcc_lo
	global_store_dwordx2 v[0:1], v[3:4], off
.LBB15_142:
	s_andn2_b32 vcc_lo, exec_lo, s23
	s_cbranch_vccnz .LBB15_144
; %bb.143:
	v_cvt_i32_f32_e32 v3, v2
	global_store_dword v[0:1], v3, off
.LBB15_144:
	s_mov_b32 s23, 0
.LBB15_145:
	s_andn2_b32 vcc_lo, exec_lo, s23
	s_cbranch_vccnz .LBB15_147
; %bb.146:
	v_cvt_i32_f32_e32 v3, v2
	global_store_short v[0:1], v3, off
.LBB15_147:
	s_mov_b32 s23, 0
.LBB15_148:
	s_andn2_b32 vcc_lo, exec_lo, s23
	s_cbranch_vccnz .LBB15_153
; %bb.149:
	s_cmp_gt_i32 s22, 0
	s_mov_b32 s22, -1
	s_cbranch_scc0 .LBB15_151
; %bb.150:
	v_cvt_i32_f32_e32 v3, v2
	s_mov_b32 s22, 0
	global_store_byte v[0:1], v3, off
.LBB15_151:
	s_andn2_b32 vcc_lo, exec_lo, s22
	s_cbranch_vccnz .LBB15_153
; %bb.152:
	v_trunc_f32_e32 v2, v2
	v_mul_f32_e64 v3, 0x2f800000, |v2|
	v_floor_f32_e32 v3, v3
	v_fma_f32 v3, 0xcf800000, v3, |v2|
	v_ashrrev_i32_e32 v2, 31, v2
	v_cvt_u32_f32_e32 v3, v3
	v_xor_b32_e32 v3, v3, v2
	v_sub_nc_u32_e32 v2, v3, v2
	global_store_byte v[0:1], v2, off
.LBB15_153:
.LBB15_154:
	v_add_nc_u32_e32 v8, 0x80, v8
	s_mov_b32 s22, -1
	s_branch .LBB15_265
.LBB15_155:
	s_mov_b32 s1, -1
                                        ; implicit-def: $vgpr3
.LBB15_156:
	s_mov_b32 s23, 0
.LBB15_157:
	s_and_b32 vcc_lo, exec_lo, s23
	s_cbranch_vccz .LBB15_161
; %bb.158:
	s_cmp_eq_u32 s0, 29
	s_cbranch_scc0 .LBB15_160
; %bb.159:
	global_load_dwordx2 v[3:4], v[1:2], off
	s_mov_b32 s22, -1
	s_mov_b32 s1, 0
	s_mov_b32 s23, 0
	s_waitcnt vmcnt(0)
	v_ffbh_u32_e32 v5, v4
	v_min_u32_e32 v5, 32, v5
	v_lshlrev_b64 v[3:4], v5, v[3:4]
	v_min_u32_e32 v3, 1, v3
	v_or_b32_e32 v3, v4, v3
	v_sub_nc_u32_e32 v4, 32, v5
	v_cvt_f32_u32_e32 v3, v3
	v_ldexp_f32 v3, v3, v4
	s_branch .LBB15_162
.LBB15_160:
	s_mov_b32 s1, -1
                                        ; implicit-def: $vgpr3
.LBB15_161:
	s_mov_b32 s23, 0
.LBB15_162:
	s_and_b32 vcc_lo, exec_lo, s23
	s_cbranch_vccz .LBB15_180
; %bb.163:
	s_cmp_lt_i32 s0, 27
	s_cbranch_scc1 .LBB15_166
; %bb.164:
	s_cmp_gt_i32 s0, 27
	s_cbranch_scc0 .LBB15_167
; %bb.165:
	global_load_dword v3, v[1:2], off
	s_mov_b32 s22, 0
	s_waitcnt vmcnt(0)
	v_cvt_f32_u32_e32 v3, v3
	s_branch .LBB15_168
.LBB15_166:
	s_mov_b32 s22, -1
                                        ; implicit-def: $vgpr3
	s_branch .LBB15_171
.LBB15_167:
	s_mov_b32 s22, -1
                                        ; implicit-def: $vgpr3
.LBB15_168:
	s_andn2_b32 vcc_lo, exec_lo, s22
	s_cbranch_vccnz .LBB15_170
; %bb.169:
	global_load_ushort v3, v[1:2], off
	s_waitcnt vmcnt(0)
	v_cvt_f32_u32_e32 v3, v3
.LBB15_170:
	s_mov_b32 s22, 0
.LBB15_171:
	s_andn2_b32 vcc_lo, exec_lo, s22
	s_cbranch_vccnz .LBB15_179
; %bb.172:
	global_load_ubyte v4, v[1:2], off
	s_mov_b32 s22, 0
	s_mov_b32 s23, exec_lo
	s_waitcnt vmcnt(0)
	v_cmpx_lt_i16_e32 0x7f, v4
	s_xor_b32 s23, exec_lo, s23
	s_cbranch_execz .LBB15_192
; %bb.173:
	s_mov_b32 s22, -1
	s_mov_b32 s36, exec_lo
	v_cmpx_eq_u16_e32 0x80, v4
; %bb.174:
	s_xor_b32 s22, exec_lo, -1
; %bb.175:
	s_or_b32 exec_lo, exec_lo, s36
	s_and_b32 s22, s22, exec_lo
	s_or_saveexec_b32 s23, s23
	v_mov_b32_e32 v3, 0x7f800001
	s_xor_b32 exec_lo, exec_lo, s23
	s_cbranch_execnz .LBB15_193
.LBB15_176:
	s_or_b32 exec_lo, exec_lo, s23
	s_and_saveexec_b32 s23, s22
	s_cbranch_execz .LBB15_178
.LBB15_177:
	v_and_b32_e32 v3, 0xffff, v4
	v_lshlrev_b32_e32 v4, 24, v4
	v_and_b32_e32 v5, 7, v3
	v_bfe_u32 v9, v3, 3, 4
	v_and_b32_e32 v4, 0x80000000, v4
	v_ffbh_u32_e32 v6, v5
	v_cmp_eq_u32_e32 vcc_lo, 0, v9
	v_min_u32_e32 v6, 32, v6
	v_subrev_nc_u32_e32 v7, 28, v6
	v_sub_nc_u32_e32 v6, 29, v6
	v_lshlrev_b32_e32 v3, v7, v3
	v_cndmask_b32_e32 v6, v9, v6, vcc_lo
	v_and_b32_e32 v3, 7, v3
	v_cndmask_b32_e32 v3, v5, v3, vcc_lo
	v_lshl_add_u32 v5, v6, 23, 0x3b800000
	v_lshlrev_b32_e32 v3, 20, v3
	v_or3_b32 v3, v4, v5, v3
.LBB15_178:
	s_or_b32 exec_lo, exec_lo, s23
.LBB15_179:
	s_mov_b32 s22, -1
.LBB15_180:
	s_branch .LBB15_215
.LBB15_181:
	s_cmp_gt_i32 s0, 22
	s_cbranch_scc0 .LBB15_191
; %bb.182:
	s_cmp_lt_i32 s0, 24
	s_cbranch_scc1 .LBB15_194
; %bb.183:
	s_cmp_gt_i32 s0, 24
	s_cbranch_scc0 .LBB15_195
; %bb.184:
	global_load_ubyte v4, v[1:2], off
	s_mov_b32 s22, 0
	s_mov_b32 s23, exec_lo
	s_waitcnt vmcnt(0)
	v_cmpx_lt_i16_e32 0x7f, v4
	s_xor_b32 s23, exec_lo, s23
	s_cbranch_execz .LBB15_207
; %bb.185:
	s_mov_b32 s22, -1
	s_mov_b32 s36, exec_lo
	v_cmpx_eq_u16_e32 0x80, v4
; %bb.186:
	s_xor_b32 s22, exec_lo, -1
; %bb.187:
	s_or_b32 exec_lo, exec_lo, s36
	s_and_b32 s22, s22, exec_lo
	s_or_saveexec_b32 s23, s23
	v_mov_b32_e32 v3, 0x7f800001
	s_xor_b32 exec_lo, exec_lo, s23
	s_cbranch_execnz .LBB15_208
.LBB15_188:
	s_or_b32 exec_lo, exec_lo, s23
	s_and_saveexec_b32 s23, s22
	s_cbranch_execz .LBB15_190
.LBB15_189:
	v_and_b32_e32 v3, 0xffff, v4
	v_lshlrev_b32_e32 v4, 24, v4
	v_and_b32_e32 v5, 3, v3
	v_bfe_u32 v9, v3, 2, 5
	v_and_b32_e32 v4, 0x80000000, v4
	v_ffbh_u32_e32 v6, v5
	v_cmp_eq_u32_e32 vcc_lo, 0, v9
	v_min_u32_e32 v6, 32, v6
	v_subrev_nc_u32_e32 v7, 29, v6
	v_sub_nc_u32_e32 v6, 30, v6
	v_lshlrev_b32_e32 v3, v7, v3
	v_cndmask_b32_e32 v6, v9, v6, vcc_lo
	v_and_b32_e32 v3, 3, v3
	v_cndmask_b32_e32 v3, v5, v3, vcc_lo
	v_lshl_add_u32 v5, v6, 23, 0x37800000
	v_lshlrev_b32_e32 v3, 21, v3
	v_or3_b32 v3, v4, v5, v3
.LBB15_190:
	s_or_b32 exec_lo, exec_lo, s23
	s_mov_b32 s22, 0
	s_branch .LBB15_196
.LBB15_191:
	s_mov_b32 s23, -1
                                        ; implicit-def: $vgpr3
	s_branch .LBB15_202
.LBB15_192:
	s_or_saveexec_b32 s23, s23
	v_mov_b32_e32 v3, 0x7f800001
	s_xor_b32 exec_lo, exec_lo, s23
	s_cbranch_execz .LBB15_176
.LBB15_193:
	v_cmp_ne_u16_e32 vcc_lo, 0, v4
	v_mov_b32_e32 v3, 0
	s_andn2_b32 s22, s22, exec_lo
	s_and_b32 s36, vcc_lo, exec_lo
	s_or_b32 s22, s22, s36
	s_or_b32 exec_lo, exec_lo, s23
	s_and_saveexec_b32 s23, s22
	s_cbranch_execnz .LBB15_177
	s_branch .LBB15_178
.LBB15_194:
	s_mov_b32 s22, -1
                                        ; implicit-def: $vgpr3
	s_branch .LBB15_199
.LBB15_195:
	s_mov_b32 s22, -1
                                        ; implicit-def: $vgpr3
.LBB15_196:
	s_and_b32 vcc_lo, exec_lo, s22
	s_cbranch_vccz .LBB15_198
; %bb.197:
	global_load_ubyte v3, v[1:2], off
	s_waitcnt vmcnt(0)
	v_lshlrev_b32_e32 v3, 24, v3
	v_and_b32_e32 v4, 0x7f000000, v3
	v_ffbh_u32_e32 v5, v4
	v_add_nc_u32_e32 v7, 0x1000000, v4
	v_cmp_ne_u32_e32 vcc_lo, 0, v4
	v_min_u32_e32 v5, 32, v5
	v_sub_nc_u32_e64 v5, v5, 4 clamp
	v_lshlrev_b32_e32 v6, v5, v4
	v_lshlrev_b32_e32 v5, 23, v5
	v_lshrrev_b32_e32 v6, 4, v6
	v_sub_nc_u32_e32 v5, v6, v5
	v_ashrrev_i32_e32 v6, 8, v7
	v_add_nc_u32_e32 v5, 0x3c000000, v5
	v_and_or_b32 v5, 0x7f800000, v6, v5
	v_cndmask_b32_e32 v4, 0, v5, vcc_lo
	v_and_or_b32 v3, 0x80000000, v3, v4
.LBB15_198:
	s_mov_b32 s22, 0
.LBB15_199:
	s_andn2_b32 vcc_lo, exec_lo, s22
	s_cbranch_vccnz .LBB15_201
; %bb.200:
	global_load_ubyte v3, v[1:2], off
	s_waitcnt vmcnt(0)
	v_lshlrev_b32_e32 v4, 25, v3
	v_lshlrev_b16 v3, 8, v3
	v_lshrrev_b32_e32 v5, 4, v4
	v_and_or_b32 v6, 0x7f00, v3, 0.5
	v_cmp_gt_u32_e32 vcc_lo, 0x8000000, v4
	v_bfe_i32 v3, v3, 0, 16
	v_or_b32_e32 v5, 0x70000000, v5
	v_add_f32_e32 v6, -0.5, v6
	v_mul_f32_e32 v5, 0x7800000, v5
	v_cndmask_b32_e32 v4, v5, v6, vcc_lo
	v_and_or_b32 v3, 0x80000000, v3, v4
.LBB15_201:
	s_mov_b32 s23, 0
	s_mov_b32 s22, -1
.LBB15_202:
	s_andn2_b32 vcc_lo, exec_lo, s23
	s_cbranch_vccnz .LBB15_215
; %bb.203:
	s_cmp_gt_i32 s0, 14
	s_cbranch_scc0 .LBB15_206
; %bb.204:
	s_cmp_eq_u32 s0, 15
	s_cbranch_scc0 .LBB15_209
; %bb.205:
	global_load_ushort v3, v[1:2], off
	s_mov_b32 s22, -1
	s_mov_b32 s1, 0
	s_waitcnt vmcnt(0)
	v_lshlrev_b32_e32 v3, 16, v3
	s_branch .LBB15_210
.LBB15_206:
	s_mov_b32 s23, -1
                                        ; implicit-def: $vgpr3
	s_branch .LBB15_211
.LBB15_207:
	s_or_saveexec_b32 s23, s23
	v_mov_b32_e32 v3, 0x7f800001
	s_xor_b32 exec_lo, exec_lo, s23
	s_cbranch_execz .LBB15_188
.LBB15_208:
	v_cmp_ne_u16_e32 vcc_lo, 0, v4
	v_mov_b32_e32 v3, 0
	s_andn2_b32 s22, s22, exec_lo
	s_and_b32 s36, vcc_lo, exec_lo
	s_or_b32 s22, s22, s36
	s_or_b32 exec_lo, exec_lo, s23
	s_and_saveexec_b32 s23, s22
	s_cbranch_execnz .LBB15_189
	s_branch .LBB15_190
.LBB15_209:
	s_mov_b32 s1, -1
                                        ; implicit-def: $vgpr3
.LBB15_210:
	s_mov_b32 s23, 0
.LBB15_211:
	s_and_b32 vcc_lo, exec_lo, s23
	s_cbranch_vccz .LBB15_215
; %bb.212:
	s_cmp_eq_u32 s0, 11
	s_cbranch_scc0 .LBB15_214
; %bb.213:
	global_load_ubyte v3, v[1:2], off
	s_mov_b32 s1, 0
	s_mov_b32 s22, -1
	s_waitcnt vmcnt(0)
	v_cmp_ne_u16_e32 vcc_lo, 0, v3
	v_cndmask_b32_e64 v3, 0, 1.0, vcc_lo
	s_branch .LBB15_215
.LBB15_214:
	s_mov_b32 s1, -1
                                        ; implicit-def: $vgpr3
.LBB15_215:
	s_branch .LBB15_24
.LBB15_216:
	s_cmp_lt_i32 s0, 5
	s_cbranch_scc1 .LBB15_221
; %bb.217:
	s_cmp_lt_i32 s0, 8
	s_cbranch_scc1 .LBB15_222
; %bb.218:
	;; [unrolled: 3-line block ×3, first 2 shown]
	s_cmp_gt_i32 s0, 9
	s_cbranch_scc0 .LBB15_224
; %bb.220:
	global_load_dwordx2 v[3:4], v[1:2], off
	s_mov_b32 s22, 0
	s_waitcnt vmcnt(0)
	v_cvt_f32_f64_e32 v3, v[3:4]
	s_branch .LBB15_225
.LBB15_221:
                                        ; implicit-def: $vgpr3
	s_branch .LBB15_243
.LBB15_222:
	s_mov_b32 s22, -1
                                        ; implicit-def: $vgpr3
	s_branch .LBB15_231
.LBB15_223:
	s_mov_b32 s22, -1
                                        ; implicit-def: $vgpr3
	s_branch .LBB15_228
.LBB15_224:
	s_mov_b32 s22, -1
                                        ; implicit-def: $vgpr3
.LBB15_225:
	s_andn2_b32 vcc_lo, exec_lo, s22
	s_cbranch_vccnz .LBB15_227
; %bb.226:
	global_load_dword v3, v[1:2], off
.LBB15_227:
	s_mov_b32 s22, 0
.LBB15_228:
	s_andn2_b32 vcc_lo, exec_lo, s22
	s_cbranch_vccnz .LBB15_230
; %bb.229:
	global_load_dword v3, v[1:2], off
	s_waitcnt vmcnt(0)
	v_cvt_f32_f16_e32 v3, v3
.LBB15_230:
	s_mov_b32 s22, 0
.LBB15_231:
	s_andn2_b32 vcc_lo, exec_lo, s22
	s_cbranch_vccnz .LBB15_242
; %bb.232:
	s_cmp_lt_i32 s0, 6
	s_cbranch_scc1 .LBB15_235
; %bb.233:
	s_cmp_gt_i32 s0, 6
	s_cbranch_scc0 .LBB15_236
; %bb.234:
	global_load_dwordx2 v[3:4], v[1:2], off
	s_mov_b32 s22, 0
	s_waitcnt vmcnt(0)
	v_cvt_f32_f64_e32 v3, v[3:4]
	s_branch .LBB15_237
.LBB15_235:
	s_mov_b32 s22, -1
                                        ; implicit-def: $vgpr3
	s_branch .LBB15_240
.LBB15_236:
	s_mov_b32 s22, -1
                                        ; implicit-def: $vgpr3
.LBB15_237:
	s_andn2_b32 vcc_lo, exec_lo, s22
	s_cbranch_vccnz .LBB15_239
; %bb.238:
	global_load_dword v3, v[1:2], off
.LBB15_239:
	s_mov_b32 s22, 0
.LBB15_240:
	s_andn2_b32 vcc_lo, exec_lo, s22
	s_cbranch_vccnz .LBB15_242
; %bb.241:
	global_load_ushort v3, v[1:2], off
	s_waitcnt vmcnt(0)
	v_cvt_f32_f16_e32 v3, v3
.LBB15_242:
	s_cbranch_execnz .LBB15_262
.LBB15_243:
	s_cmp_lt_i32 s0, 2
	s_cbranch_scc1 .LBB15_247
; %bb.244:
	s_cmp_lt_i32 s0, 3
	s_cbranch_scc1 .LBB15_248
; %bb.245:
	s_cmp_gt_i32 s0, 3
	s_cbranch_scc0 .LBB15_249
; %bb.246:
	global_load_dwordx2 v[3:4], v[1:2], off
	s_mov_b32 s22, 0
	s_waitcnt vmcnt(0)
	v_xor_b32_e32 v5, v3, v4
	v_ffbh_i32_e32 v6, v4
	v_ashrrev_i32_e32 v5, 31, v5
	v_add_nc_u32_e32 v6, -1, v6
	v_add_nc_u32_e32 v5, 32, v5
	v_min_u32_e32 v5, v6, v5
	v_lshlrev_b64 v[3:4], v5, v[3:4]
	v_min_u32_e32 v3, 1, v3
	v_or_b32_e32 v3, v4, v3
	v_sub_nc_u32_e32 v4, 32, v5
	v_cvt_f32_i32_e32 v3, v3
	v_ldexp_f32 v3, v3, v4
	s_branch .LBB15_250
.LBB15_247:
	s_mov_b32 s22, -1
                                        ; implicit-def: $vgpr3
	s_branch .LBB15_256
.LBB15_248:
	s_mov_b32 s22, -1
                                        ; implicit-def: $vgpr3
	s_branch .LBB15_253
.LBB15_249:
	s_mov_b32 s22, -1
                                        ; implicit-def: $vgpr3
.LBB15_250:
	s_andn2_b32 vcc_lo, exec_lo, s22
	s_cbranch_vccnz .LBB15_252
; %bb.251:
	global_load_dword v3, v[1:2], off
	s_waitcnt vmcnt(0)
	v_cvt_f32_i32_e32 v3, v3
.LBB15_252:
	s_mov_b32 s22, 0
.LBB15_253:
	s_andn2_b32 vcc_lo, exec_lo, s22
	s_cbranch_vccnz .LBB15_255
; %bb.254:
	global_load_sshort v3, v[1:2], off
	s_waitcnt vmcnt(0)
	v_cvt_f32_i32_e32 v3, v3
.LBB15_255:
	s_mov_b32 s22, 0
.LBB15_256:
	s_andn2_b32 vcc_lo, exec_lo, s22
	s_cbranch_vccnz .LBB15_262
; %bb.257:
	s_cmp_gt_i32 s0, 0
	s_mov_b32 s0, 0
	s_cbranch_scc0 .LBB15_259
; %bb.258:
	global_load_sbyte v3, v[1:2], off
	s_waitcnt vmcnt(0)
	v_cvt_f32_i32_e32 v3, v3
	s_branch .LBB15_260
.LBB15_259:
	s_mov_b32 s0, -1
                                        ; implicit-def: $vgpr3
.LBB15_260:
	s_andn2_b32 vcc_lo, exec_lo, s0
	s_cbranch_vccnz .LBB15_262
; %bb.261:
	global_load_ubyte v1, v[1:2], off
	s_waitcnt vmcnt(0)
	v_cvt_f32_ubyte0_e32 v3, v1
.LBB15_262:
	s_branch .LBB15_25
.LBB15_263:
	s_mov_b32 s0, 0
.LBB15_264:
	s_mov_b32 s22, 0
                                        ; implicit-def: $vgpr8
.LBB15_265:
	s_and_b32 s36, s0, exec_lo
	s_and_b32 s37, s1, exec_lo
	s_orn2_b32 s1, s22, exec_lo
.LBB15_266:
	s_or_b32 exec_lo, exec_lo, s38
	s_mov_b32 s22, 0
	s_mov_b32 s0, 0
                                        ; implicit-def: $vgpr1_vgpr2
                                        ; implicit-def: $vgpr0
                                        ; implicit-def: $vgpr4
	s_and_saveexec_b32 s38, s1
	s_cbranch_execz .LBB15_273
; %bb.267:
	s_mov_b32 s0, -1
	s_mov_b32 s39, s37
	s_mov_b32 s40, s36
	s_mov_b32 s41, exec_lo
	v_cmpx_gt_i32_e64 s33, v8
	s_cbranch_execz .LBB15_543
; %bb.268:
	s_andn2_b32 vcc_lo, exec_lo, s27
	s_cbranch_vccnz .LBB15_276
; %bb.269:
	s_andn2_b32 vcc_lo, exec_lo, s34
	s_cbranch_vccnz .LBB15_277
; %bb.270:
	s_add_i32 s40, s35, 1
	s_cmp_eq_u32 s25, 2
	s_cbranch_scc1 .LBB15_278
; %bb.271:
	v_mov_b32_e32 v2, 0
	v_mov_b32_e32 v0, 0
	;; [unrolled: 1-line block ×3, first 2 shown]
	s_and_b32 s39, s40, 28
	s_mov_b32 s42, 0
	s_mov_b64 s[0:1], s[2:3]
	s_mov_b64 s[22:23], s[20:21]
.LBB15_272:                             ; =>This Inner Loop Header: Depth=1
	s_clause 0x1
	s_load_dwordx8 s[44:51], s[0:1], 0x4
	s_load_dwordx4 s[60:63], s[0:1], 0x24
	s_load_dwordx8 s[52:59], s[22:23], 0x0
	s_add_u32 s0, s0, 48
	s_addc_u32 s1, s1, 0
	s_add_i32 s42, s42, 4
	s_add_u32 s22, s22, 32
	s_addc_u32 s23, s23, 0
	s_cmp_eq_u32 s39, s42
	s_waitcnt vmcnt(0) lgkmcnt(0)
	v_mul_hi_u32 v3, s45, v1
	v_add_nc_u32_e32 v3, v1, v3
	v_lshrrev_b32_e32 v3, s46, v3
	v_mul_hi_u32 v4, s48, v3
	v_mul_lo_u32 v6, v3, s44
	v_add_nc_u32_e32 v4, v3, v4
	v_sub_nc_u32_e32 v1, v1, v6
	v_lshrrev_b32_e32 v4, s49, v4
	v_mul_lo_u32 v6, v1, s52
	v_mul_lo_u32 v9, v1, s53
	v_mul_hi_u32 v5, s51, v4
	v_add_nc_u32_e32 v5, v4, v5
	v_lshrrev_b32_e32 v5, s60, v5
	v_mul_hi_u32 v7, s62, v5
	v_mul_lo_u32 v10, v5, s50
	v_add_nc_u32_e32 v1, v5, v7
	v_mul_lo_u32 v7, v4, s47
	v_sub_nc_u32_e32 v4, v4, v10
	v_lshrrev_b32_e32 v1, s63, v1
	v_mul_lo_u32 v10, v4, s56
	v_mul_lo_u32 v4, v4, s57
	v_sub_nc_u32_e32 v3, v3, v7
	v_mul_lo_u32 v11, v1, s61
	v_mul_lo_u32 v7, v3, s54
	;; [unrolled: 1-line block ×3, first 2 shown]
	v_sub_nc_u32_e32 v5, v5, v11
	v_add3_u32 v0, v6, v0, v7
	v_mul_lo_u32 v11, v5, s58
	v_mul_lo_u32 v5, v5, s59
	v_add3_u32 v2, v9, v2, v3
	v_add3_u32 v0, v10, v0, v11
	;; [unrolled: 1-line block ×3, first 2 shown]
	s_cbranch_scc0 .LBB15_272
	s_branch .LBB15_279
.LBB15_273:
	s_or_b32 exec_lo, exec_lo, s38
	s_mov_b32 s1, 0
	s_waitcnt lgkmcnt(0)
	s_and_saveexec_b32 s6, s37
	s_cbranch_execnz .LBB15_921
.LBB15_274:
	s_or_b32 exec_lo, exec_lo, s6
	s_and_saveexec_b32 s6, s39
	s_xor_b32 s6, exec_lo, s6
	s_cbranch_execz .LBB15_922
.LBB15_275:
	global_load_ubyte v3, v[1:2], off
	s_or_b32 s0, s0, exec_lo
	s_waitcnt vmcnt(0)
	v_cmp_ne_u16_e32 vcc_lo, 0, v3
	v_cndmask_b32_e64 v4, 0, 1.0, vcc_lo
	s_or_b32 exec_lo, exec_lo, s6
	s_and_saveexec_b32 s6, s22
	s_cbranch_execz .LBB15_968
	s_branch .LBB15_923
.LBB15_276:
                                        ; implicit-def: $vgpr0
                                        ; implicit-def: $vgpr2
	s_andn2_b32 vcc_lo, exec_lo, s0
	s_cbranch_vccz .LBB15_283
	s_branch .LBB15_285
.LBB15_277:
	v_mov_b32_e32 v0, 0
	v_mov_b32_e32 v2, 0
	s_branch .LBB15_282
.LBB15_278:
	v_mov_b32_e32 v0, 0
	v_mov_b32_e32 v2, 0
	;; [unrolled: 1-line block ×3, first 2 shown]
	s_mov_b32 s39, 0
.LBB15_279:
	s_and_b32 s40, s40, 3
	s_cmp_eq_u32 s40, 0
	s_cbranch_scc1 .LBB15_282
; %bb.280:
	s_lshl_b32 s0, s39, 3
	s_mul_i32 s22, s39, 12
	s_add_u32 s0, s2, s0
	s_addc_u32 s1, s3, 0
	s_add_u32 s0, s0, 0xc4
	s_addc_u32 s1, s1, 0
	;; [unrolled: 2-line block ×3, first 2 shown]
	.p2align	6
.LBB15_281:                             ; =>This Inner Loop Header: Depth=1
	s_clause 0x1
	s_load_dwordx2 s[42:43], s[22:23], 0x4
	s_load_dword s39, s[22:23], 0xc
	s_load_dwordx2 s[44:45], s[0:1], 0x0
	s_add_u32 s22, s22, 12
	s_addc_u32 s23, s23, 0
	s_add_u32 s0, s0, 8
	s_addc_u32 s1, s1, 0
	s_add_i32 s40, s40, -1
	s_cmp_lg_u32 s40, 0
	s_waitcnt vmcnt(0) lgkmcnt(0)
	v_mul_hi_u32 v3, s43, v1
	v_add_nc_u32_e32 v3, v1, v3
	v_lshrrev_b32_e32 v4, s39, v3
	v_mul_lo_u32 v3, v4, s42
	v_sub_nc_u32_e32 v3, v1, v3
	v_mad_u64_u32 v[0:1], null, v3, s44, v[0:1]
	v_mad_u64_u32 v[2:3], null, v3, s45, v[2:3]
	v_mov_b32_e32 v1, v4
	s_cbranch_scc1 .LBB15_281
.LBB15_282:
	s_cbranch_execnz .LBB15_285
.LBB15_283:
	s_waitcnt lgkmcnt(0)
	v_mul_hi_u32 v0, s17, v8
	s_andn2_b32 vcc_lo, exec_lo, s31
	v_add_nc_u32_e32 v0, v8, v0
	v_lshrrev_b32_e32 v1, s18, v0
	v_mul_lo_u32 v0, v1, s16
	v_sub_nc_u32_e32 v2, v8, v0
	v_mul_lo_u32 v0, v2, s12
	v_mul_lo_u32 v2, v2, s13
	s_cbranch_vccnz .LBB15_285
; %bb.284:
	s_waitcnt vmcnt(0)
	v_mul_hi_u32 v3, s6, v1
	v_add_nc_u32_e32 v3, v1, v3
	v_lshrrev_b32_e32 v3, s7, v3
	v_mul_lo_u32 v3, v3, s19
	v_sub_nc_u32_e32 v3, v1, v3
	v_mad_u64_u32 v[0:1], null, v3, s14, v[0:1]
	v_mad_u64_u32 v[2:3], null, v3, s15, v[2:3]
.LBB15_285:
	s_waitcnt lgkmcnt(0)
	v_add_co_u32 v1, s0, s10, v2
	v_add_co_ci_u32_e64 v2, null, s11, 0, s0
	s_and_b32 s0, 0xffff, s30
	s_cmp_lt_i32 s0, 11
	s_cbranch_scc1 .LBB15_292
; %bb.286:
	s_cmp_gt_i32 s0, 25
	s_cbranch_scc0 .LBB15_301
; %bb.287:
	s_cmp_gt_i32 s0, 28
	s_cbranch_scc0 .LBB15_303
	;; [unrolled: 3-line block ×4, first 2 shown]
; %bb.290:
	s_cmp_eq_u32 s0, 46
	s_mov_b32 s23, 0
	s_cbranch_scc0 .LBB15_313
; %bb.291:
	global_load_dword v3, v[1:2], off
	s_mov_b32 s22, -1
	s_mov_b32 s1, 0
	s_waitcnt vmcnt(0)
	v_lshlrev_b32_e32 v3, 16, v3
	s_branch .LBB15_315
.LBB15_292:
	s_mov_b32 s22, 0
	s_mov_b32 s1, s37
                                        ; implicit-def: $vgpr3
	s_cbranch_execnz .LBB15_492
.LBB15_293:
	s_andn2_b32 vcc_lo, exec_lo, s22
	s_cbranch_vccnz .LBB15_540
.LBB15_294:
	s_waitcnt vmcnt(0)
	v_rcp_f32_e64 v1, |v3|
	v_cmp_gt_f32_e64 vcc_lo, |v3|, 1.0
	s_mov_b32 s0, 0x3b2d2a58
	s_and_b32 s22, s29, 0xff
	s_cmp_lt_i32 s22, 11
	v_cndmask_b32_e64 v1, |v3|, v1, vcc_lo
	v_mul_f32_e32 v2, v1, v1
	v_fmaak_f32 v4, s0, v2, 0xbc7a590c
	v_add_co_u32 v0, s0, s8, v0
	v_fmaak_f32 v4, v2, v4, 0x3d29fb3f
	v_fmaak_f32 v4, v2, v4, 0xbd97d4d7
	;; [unrolled: 1-line block ×6, first 2 shown]
	v_mul_f32_e32 v2, v2, v4
	v_fmac_f32_e32 v1, v1, v2
	v_sub_f32_e32 v2, 0x3fc90fdb, v1
	v_cndmask_b32_e32 v4, v1, v2, vcc_lo
	v_add_co_ci_u32_e64 v1, null, s9, 0, s0
	v_bfi_b32 v2, 0x7fffffff, v4, v3
	s_cbranch_scc1 .LBB15_302
; %bb.295:
	s_and_b32 s23, 0xffff, s22
	s_cmp_gt_i32 s23, 25
	s_cbranch_scc0 .LBB15_304
; %bb.296:
	s_cmp_gt_i32 s23, 28
	s_cbranch_scc0 .LBB15_306
; %bb.297:
	;; [unrolled: 3-line block ×4, first 2 shown]
	s_mov_b32 s40, 0
	s_mov_b32 s0, -1
	s_cmp_eq_u32 s23, 46
	s_mov_b32 s39, 0
	s_cbranch_scc0 .LBB15_319
; %bb.300:
	v_bfe_u32 v3, v2, 16, 1
	v_cmp_o_f32_e32 vcc_lo, v2, v2
	v_mov_b32_e32 v5, 0x7fc0
	s_mov_b32 s39, -1
	s_mov_b32 s0, 0
	v_add3_u32 v3, v2, v3, 0x7fff
	v_cndmask_b32_sdwa v3, v5, v3, vcc_lo dst_sel:DWORD dst_unused:UNUSED_PAD src0_sel:DWORD src1_sel:WORD_1
	global_store_dword v[0:1], v3, off
	s_branch .LBB15_319
.LBB15_301:
	s_mov_b32 s23, -1
	s_mov_b32 s22, 0
	s_mov_b32 s1, s37
                                        ; implicit-def: $vgpr3
	s_branch .LBB15_456
.LBB15_302:
	s_mov_b32 s23, -1
	s_mov_b32 s39, 0
	s_mov_b32 s0, s36
	s_branch .LBB15_388
.LBB15_303:
	s_mov_b32 s23, -1
	s_mov_b32 s22, 0
	s_mov_b32 s1, s37
                                        ; implicit-def: $vgpr3
	s_branch .LBB15_437
.LBB15_304:
	s_mov_b32 s40, -1
	s_mov_b32 s39, 0
	s_mov_b32 s0, s36
	s_branch .LBB15_346
.LBB15_305:
	s_mov_b32 s23, -1
	s_mov_b32 s22, 0
	s_mov_b32 s1, s37
                                        ; implicit-def: $vgpr3
	s_branch .LBB15_432
.LBB15_306:
	s_mov_b32 s40, -1
	s_mov_b32 s39, 0
	s_mov_b32 s0, s36
	s_branch .LBB15_329
.LBB15_307:
	s_andn2_saveexec_b32 s40, s40
	s_cbranch_execz .LBB15_68
.LBB15_308:
	v_add_f32_e64 v3, 0x46000000, |v4|
	s_andn2_b32 s37, s37, exec_lo
	v_and_b32_e32 v3, 0xff, v3
	v_cmp_ne_u32_e32 vcc_lo, 0, v3
	s_and_b32 s41, vcc_lo, exec_lo
	s_or_b32 s37, s37, s41
	s_or_b32 exec_lo, exec_lo, s40
	v_mov_b32_e32 v5, 0
	s_and_saveexec_b32 s40, s37
	s_cbranch_execnz .LBB15_69
	s_branch .LBB15_70
.LBB15_309:
	s_mov_b32 s23, -1
	s_mov_b32 s22, 0
	s_mov_b32 s1, s37
	s_branch .LBB15_314
.LBB15_310:
	s_mov_b32 s40, -1
	s_mov_b32 s39, 0
	s_mov_b32 s0, s36
	s_branch .LBB15_325
.LBB15_311:
	s_andn2_saveexec_b32 s40, s40
	s_cbranch_execz .LBB15_81
.LBB15_312:
	v_add_f32_e64 v3, 0x42800000, |v4|
	s_andn2_b32 s37, s37, exec_lo
	v_and_b32_e32 v3, 0xff, v3
	v_cmp_ne_u32_e32 vcc_lo, 0, v3
	s_and_b32 s41, vcc_lo, exec_lo
	s_or_b32 s37, s37, s41
	s_or_b32 exec_lo, exec_lo, s40
	v_mov_b32_e32 v5, 0
	s_and_saveexec_b32 s40, s37
	s_cbranch_execnz .LBB15_82
	s_branch .LBB15_83
.LBB15_313:
	s_mov_b32 s1, -1
	s_mov_b32 s22, 0
.LBB15_314:
                                        ; implicit-def: $vgpr3
.LBB15_315:
	s_and_b32 vcc_lo, exec_lo, s23
	s_cbranch_vccz .LBB15_431
; %bb.316:
	s_cmp_eq_u32 s0, 44
	s_cbranch_scc0 .LBB15_430
; %bb.317:
	global_load_ubyte v3, v[1:2], off
	s_mov_b32 s1, 0
	s_mov_b32 s22, -1
	s_waitcnt vmcnt(0)
	v_lshlrev_b32_e32 v4, 23, v3
	v_cmp_ne_u32_e32 vcc_lo, 0xff, v3
	v_cndmask_b32_e32 v4, 0x7f800001, v4, vcc_lo
	v_cmp_ne_u32_e32 vcc_lo, 0, v3
	v_cndmask_b32_e32 v3, 0x400000, v4, vcc_lo
	s_branch .LBB15_431
.LBB15_318:
	s_mov_b32 s40, -1
	s_mov_b32 s39, 0
	s_mov_b32 s0, s36
.LBB15_319:
	s_and_b32 vcc_lo, exec_lo, s40
	s_cbranch_vccz .LBB15_324
; %bb.320:
	s_cmp_eq_u32 s23, 44
	s_mov_b32 s0, -1
	s_cbranch_scc0 .LBB15_324
; %bb.321:
	v_bfe_u32 v5, v2, 23, 8
	v_mov_b32_e32 v3, 0xff
	s_mov_b32 s39, exec_lo
	v_cmpx_ne_u32_e32 0xff, v5
	s_cbranch_execz .LBB15_323
; %bb.322:
	v_and_b32_e32 v3, 0x400000, v2
	v_and_or_b32 v5, 0x3fffff, v2, v5
	v_cmp_ne_u32_e32 vcc_lo, 0, v3
	v_cmp_ne_u32_e64 s0, 0, v5
	v_lshrrev_b32_e32 v3, 23, v2
	s_and_b32 s0, vcc_lo, s0
	v_cndmask_b32_e64 v5, 0, 1, s0
	v_add_nc_u32_e32 v3, v3, v5
.LBB15_323:
	s_or_b32 exec_lo, exec_lo, s39
	s_mov_b32 s39, -1
	s_mov_b32 s0, 0
	global_store_byte v[0:1], v3, off
.LBB15_324:
	s_mov_b32 s40, 0
.LBB15_325:
	s_and_b32 vcc_lo, exec_lo, s40
	s_cbranch_vccz .LBB15_328
; %bb.326:
	s_cmp_eq_u32 s23, 29
	s_mov_b32 s0, -1
	s_cbranch_scc0 .LBB15_328
; %bb.327:
	v_trunc_f32_e32 v3, v2
	s_mov_b32 s39, -1
	s_mov_b32 s0, 0
	s_mov_b32 s40, 0
	v_mul_f32_e32 v5, 0x2f800000, v3
	v_floor_f32_e32 v5, v5
	v_fmamk_f32 v3, v5, 0xcf800000, v3
	v_cvt_u32_f32_e32 v6, v5
	v_cvt_u32_f32_e32 v5, v3
	global_store_dwordx2 v[0:1], v[5:6], off
	s_branch .LBB15_329
.LBB15_328:
	s_mov_b32 s40, 0
.LBB15_329:
	s_and_b32 vcc_lo, exec_lo, s40
	s_cbranch_vccz .LBB15_345
; %bb.330:
	s_cmp_lt_i32 s23, 27
	s_mov_b32 s39, -1
	s_cbranch_scc1 .LBB15_336
; %bb.331:
	v_cvt_u32_f32_e32 v3, v2
	s_cmp_gt_i32 s23, 27
	s_cbranch_scc0 .LBB15_333
; %bb.332:
	s_mov_b32 s39, 0
	global_store_dword v[0:1], v3, off
.LBB15_333:
	s_andn2_b32 vcc_lo, exec_lo, s39
	s_cbranch_vccnz .LBB15_335
; %bb.334:
	global_store_short v[0:1], v3, off
.LBB15_335:
	s_mov_b32 s39, 0
.LBB15_336:
	s_andn2_b32 vcc_lo, exec_lo, s39
	s_cbranch_vccnz .LBB15_344
; %bb.337:
	v_and_b32_e32 v3, 0x7fffffff, v4
	v_mov_b32_e32 v5, 0x80
	s_mov_b32 s39, exec_lo
	v_cmpx_gt_u32_e32 0x43800000, v3
	s_cbranch_execz .LBB15_343
; %bb.338:
	v_cmp_lt_u32_e32 vcc_lo, 0x3bffffff, v3
	s_mov_b32 s40, 0
                                        ; implicit-def: $vgpr3
	s_and_saveexec_b32 s42, vcc_lo
	s_xor_b32 s42, exec_lo, s42
	s_cbranch_execz .LBB15_571
; %bb.339:
	v_bfe_u32 v3, v2, 20, 1
	s_mov_b32 s40, exec_lo
	v_add3_u32 v3, v2, v3, 0x487ffff
	v_lshrrev_b32_e32 v3, 20, v3
	s_andn2_saveexec_b32 s42, s42
	s_cbranch_execnz .LBB15_572
.LBB15_340:
	s_or_b32 exec_lo, exec_lo, s42
	v_mov_b32_e32 v5, 0
	s_and_saveexec_b32 s42, s40
.LBB15_341:
	v_lshrrev_b32_e32 v5, 24, v2
	v_and_or_b32 v5, 0x80, v5, v3
.LBB15_342:
	s_or_b32 exec_lo, exec_lo, s42
.LBB15_343:
	s_or_b32 exec_lo, exec_lo, s39
	global_store_byte v[0:1], v5, off
.LBB15_344:
	s_mov_b32 s39, -1
.LBB15_345:
	s_mov_b32 s40, 0
.LBB15_346:
	s_and_b32 vcc_lo, exec_lo, s40
	s_cbranch_vccz .LBB15_387
; %bb.347:
	s_cmp_gt_i32 s23, 22
	s_mov_b32 s40, -1
	s_cbranch_scc0 .LBB15_379
; %bb.348:
	s_cmp_lt_i32 s23, 24
	s_mov_b32 s39, -1
	s_cbranch_scc1 .LBB15_368
; %bb.349:
	s_cmp_gt_i32 s23, 24
	s_cbranch_scc0 .LBB15_357
; %bb.350:
	v_and_b32_e32 v3, 0x7fffffff, v4
	v_mov_b32_e32 v5, 0x80
	s_mov_b32 s39, exec_lo
	v_cmpx_gt_u32_e32 0x47800000, v3
	s_cbranch_execz .LBB15_356
; %bb.351:
	v_cmp_lt_u32_e32 vcc_lo, 0x37ffffff, v3
	s_mov_b32 s40, 0
                                        ; implicit-def: $vgpr3
	s_and_saveexec_b32 s42, vcc_lo
	s_xor_b32 s42, exec_lo, s42
	s_cbranch_execz .LBB15_574
; %bb.352:
	v_bfe_u32 v3, v2, 21, 1
	s_mov_b32 s40, exec_lo
	v_add3_u32 v3, v2, v3, 0x88fffff
	v_lshrrev_b32_e32 v3, 21, v3
	s_andn2_saveexec_b32 s42, s42
	s_cbranch_execnz .LBB15_575
.LBB15_353:
	s_or_b32 exec_lo, exec_lo, s42
	v_mov_b32_e32 v5, 0
	s_and_saveexec_b32 s42, s40
.LBB15_354:
	v_lshrrev_b32_e32 v5, 24, v2
	v_and_or_b32 v5, 0x80, v5, v3
.LBB15_355:
	s_or_b32 exec_lo, exec_lo, s42
.LBB15_356:
	s_or_b32 exec_lo, exec_lo, s39
	s_mov_b32 s39, 0
	global_store_byte v[0:1], v5, off
.LBB15_357:
	s_and_b32 vcc_lo, exec_lo, s39
	s_cbranch_vccz .LBB15_367
; %bb.358:
	v_and_b32_e32 v5, 0x7fffffff, v4
	s_mov_b32 s39, exec_lo
                                        ; implicit-def: $vgpr3
	v_cmpx_gt_u32_e32 0x43f00000, v5
	s_xor_b32 s39, exec_lo, s39
	s_cbranch_execz .LBB15_364
; %bb.359:
	s_mov_b32 s40, exec_lo
                                        ; implicit-def: $vgpr3
	v_cmpx_lt_u32_e32 0x3c7fffff, v5
	s_xor_b32 s40, exec_lo, s40
; %bb.360:
	v_bfe_u32 v3, v2, 20, 1
	v_add3_u32 v3, v2, v3, 0x407ffff
	v_and_b32_e32 v5, 0xff00000, v3
	v_lshrrev_b32_e32 v3, 20, v3
	v_cmp_ne_u32_e32 vcc_lo, 0x7f00000, v5
	v_cndmask_b32_e32 v3, 0x7e, v3, vcc_lo
; %bb.361:
	s_andn2_saveexec_b32 s40, s40
; %bb.362:
	v_add_f32_e64 v3, 0x46800000, |v4|
; %bb.363:
	s_or_b32 exec_lo, exec_lo, s40
                                        ; implicit-def: $vgpr5
.LBB15_364:
	s_andn2_saveexec_b32 s39, s39
; %bb.365:
	v_mov_b32_e32 v3, 0x7f
	v_cmp_lt_u32_e32 vcc_lo, 0x7f800000, v5
	v_cndmask_b32_e32 v3, 0x7e, v3, vcc_lo
; %bb.366:
	s_or_b32 exec_lo, exec_lo, s39
	v_lshrrev_b32_e32 v5, 24, v2
	v_and_or_b32 v3, 0x80, v5, v3
	global_store_byte v[0:1], v3, off
.LBB15_367:
	s_mov_b32 s39, 0
.LBB15_368:
	s_andn2_b32 vcc_lo, exec_lo, s39
	s_cbranch_vccnz .LBB15_378
; %bb.369:
	v_and_b32_e32 v5, 0x7fffffff, v4
	s_mov_b32 s39, exec_lo
                                        ; implicit-def: $vgpr3
	v_cmpx_gt_u32_e32 0x47800000, v5
	s_xor_b32 s39, exec_lo, s39
	s_cbranch_execz .LBB15_375
; %bb.370:
	s_mov_b32 s40, exec_lo
                                        ; implicit-def: $vgpr3
	v_cmpx_lt_u32_e32 0x387fffff, v5
	s_xor_b32 s40, exec_lo, s40
; %bb.371:
	v_bfe_u32 v3, v2, 21, 1
                                        ; implicit-def: $vgpr4
	v_add3_u32 v3, v2, v3, 0x80fffff
	v_lshrrev_b32_e32 v3, 21, v3
; %bb.372:
	s_andn2_saveexec_b32 s40, s40
; %bb.373:
	v_add_f32_e64 v3, 0x43000000, |v4|
; %bb.374:
	s_or_b32 exec_lo, exec_lo, s40
                                        ; implicit-def: $vgpr5
.LBB15_375:
	s_andn2_saveexec_b32 s39, s39
; %bb.376:
	v_mov_b32_e32 v3, 0x7f
	v_cmp_lt_u32_e32 vcc_lo, 0x7f800000, v5
	v_cndmask_b32_e32 v3, 0x7c, v3, vcc_lo
; %bb.377:
	s_or_b32 exec_lo, exec_lo, s39
	v_lshrrev_b32_e32 v4, 24, v2
	v_and_or_b32 v3, 0x80, v4, v3
	global_store_byte v[0:1], v3, off
.LBB15_378:
	s_mov_b32 s40, 0
	s_mov_b32 s39, -1
.LBB15_379:
	s_andn2_b32 vcc_lo, exec_lo, s40
	s_cbranch_vccnz .LBB15_387
; %bb.380:
	s_cmp_gt_i32 s23, 14
	s_mov_b32 s40, -1
	s_cbranch_scc0 .LBB15_384
; %bb.381:
	s_cmp_eq_u32 s23, 15
	s_mov_b32 s0, -1
	s_cbranch_scc0 .LBB15_383
; %bb.382:
	v_bfe_u32 v3, v2, 16, 1
	v_cmp_o_f32_e32 vcc_lo, v2, v2
	v_mov_b32_e32 v4, 0x7fc0
	s_mov_b32 s39, -1
	s_mov_b32 s0, 0
	v_add3_u32 v3, v2, v3, 0x7fff
	v_cndmask_b32_sdwa v3, v4, v3, vcc_lo dst_sel:DWORD dst_unused:UNUSED_PAD src0_sel:DWORD src1_sel:WORD_1
	global_store_short v[0:1], v3, off
.LBB15_383:
	s_mov_b32 s40, 0
.LBB15_384:
	s_and_b32 vcc_lo, exec_lo, s40
	s_cbranch_vccz .LBB15_387
; %bb.385:
	s_cmp_eq_u32 s23, 11
	s_mov_b32 s0, -1
	s_cbranch_scc0 .LBB15_387
; %bb.386:
	v_cmp_neq_f32_e32 vcc_lo, 0, v2
	s_mov_b32 s0, 0
	s_mov_b32 s39, -1
	v_cndmask_b32_e64 v3, 0, 1, vcc_lo
	global_store_byte v[0:1], v3, off
.LBB15_387:
	s_mov_b32 s23, 0
.LBB15_388:
	s_and_b32 vcc_lo, exec_lo, s23
	s_cbranch_vccz .LBB15_427
; %bb.389:
	s_and_b32 s22, 0xffff, s22
	s_mov_b32 s23, -1
	s_cmp_lt_i32 s22, 5
	s_cbranch_scc1 .LBB15_410
; %bb.390:
	s_cmp_lt_i32 s22, 8
	s_cbranch_scc1 .LBB15_400
; %bb.391:
	;; [unrolled: 3-line block ×3, first 2 shown]
	s_cmp_gt_i32 s22, 9
	s_cbranch_scc0 .LBB15_394
; %bb.393:
	v_cvt_f64_f32_e32 v[3:4], v2
	v_mov_b32_e32 v5, 0
	s_mov_b32 s23, 0
	v_mov_b32_e32 v6, v5
	global_store_dwordx4 v[0:1], v[3:6], off
.LBB15_394:
	s_andn2_b32 vcc_lo, exec_lo, s23
	s_cbranch_vccnz .LBB15_396
; %bb.395:
	v_mov_b32_e32 v3, 0
	global_store_dwordx2 v[0:1], v[2:3], off
.LBB15_396:
	s_mov_b32 s23, 0
.LBB15_397:
	s_andn2_b32 vcc_lo, exec_lo, s23
	s_cbranch_vccnz .LBB15_399
; %bb.398:
	v_cvt_f16_f32_e32 v3, v2
	v_and_b32_e32 v3, 0xffff, v3
	global_store_dword v[0:1], v3, off
.LBB15_399:
	s_mov_b32 s23, 0
.LBB15_400:
	s_andn2_b32 vcc_lo, exec_lo, s23
	s_cbranch_vccnz .LBB15_409
; %bb.401:
	s_cmp_lt_i32 s22, 6
	s_mov_b32 s23, -1
	s_cbranch_scc1 .LBB15_407
; %bb.402:
	s_cmp_gt_i32 s22, 6
	s_cbranch_scc0 .LBB15_404
; %bb.403:
	v_cvt_f64_f32_e32 v[3:4], v2
	s_mov_b32 s23, 0
	global_store_dwordx2 v[0:1], v[3:4], off
.LBB15_404:
	s_andn2_b32 vcc_lo, exec_lo, s23
	s_cbranch_vccnz .LBB15_406
; %bb.405:
	global_store_dword v[0:1], v2, off
.LBB15_406:
	s_mov_b32 s23, 0
.LBB15_407:
	s_andn2_b32 vcc_lo, exec_lo, s23
	s_cbranch_vccnz .LBB15_409
; %bb.408:
	v_cvt_f16_f32_e32 v3, v2
	global_store_short v[0:1], v3, off
.LBB15_409:
	s_mov_b32 s23, 0
.LBB15_410:
	s_andn2_b32 vcc_lo, exec_lo, s23
	s_cbranch_vccnz .LBB15_426
; %bb.411:
	s_cmp_lt_i32 s22, 2
	s_mov_b32 s23, -1
	s_cbranch_scc1 .LBB15_421
; %bb.412:
	s_cmp_lt_i32 s22, 3
	s_cbranch_scc1 .LBB15_418
; %bb.413:
	s_cmp_gt_i32 s22, 3
	s_cbranch_scc0 .LBB15_415
; %bb.414:
	v_trunc_f32_e32 v3, v2
	s_mov_b32 s23, 0
	v_mul_f32_e64 v4, 0x2f800000, |v3|
	v_ashrrev_i32_e32 v6, 31, v3
	v_floor_f32_e32 v4, v4
	v_fma_f32 v5, 0xcf800000, v4, |v3|
	v_cvt_u32_f32_e32 v4, v4
	v_cvt_u32_f32_e32 v3, v5
	v_xor_b32_e32 v4, v4, v6
	v_xor_b32_e32 v3, v3, v6
	v_sub_co_u32 v3, vcc_lo, v3, v6
	v_sub_co_ci_u32_e64 v4, null, v4, v6, vcc_lo
	global_store_dwordx2 v[0:1], v[3:4], off
.LBB15_415:
	s_andn2_b32 vcc_lo, exec_lo, s23
	s_cbranch_vccnz .LBB15_417
; %bb.416:
	v_cvt_i32_f32_e32 v3, v2
	global_store_dword v[0:1], v3, off
.LBB15_417:
	s_mov_b32 s23, 0
.LBB15_418:
	s_andn2_b32 vcc_lo, exec_lo, s23
	s_cbranch_vccnz .LBB15_420
; %bb.419:
	v_cvt_i32_f32_e32 v3, v2
	global_store_short v[0:1], v3, off
.LBB15_420:
	s_mov_b32 s23, 0
.LBB15_421:
	s_andn2_b32 vcc_lo, exec_lo, s23
	s_cbranch_vccnz .LBB15_426
; %bb.422:
	s_cmp_gt_i32 s22, 0
	s_mov_b32 s22, -1
	s_cbranch_scc0 .LBB15_424
; %bb.423:
	v_cvt_i32_f32_e32 v3, v2
	s_mov_b32 s22, 0
	global_store_byte v[0:1], v3, off
.LBB15_424:
	s_andn2_b32 vcc_lo, exec_lo, s22
	s_cbranch_vccnz .LBB15_426
; %bb.425:
	v_trunc_f32_e32 v2, v2
	v_mul_f32_e64 v3, 0x2f800000, |v2|
	v_floor_f32_e32 v3, v3
	v_fma_f32 v3, 0xcf800000, v3, |v2|
	v_ashrrev_i32_e32 v2, 31, v2
	v_cvt_u32_f32_e32 v3, v3
	v_xor_b32_e32 v3, v3, v2
	v_sub_nc_u32_e32 v2, v3, v2
	global_store_byte v[0:1], v2, off
.LBB15_426:
	s_mov_b32 s39, -1
.LBB15_427:
	s_andn2_b32 vcc_lo, exec_lo, s39
	s_cbranch_vccnz .LBB15_429
; %bb.428:
	v_add_nc_u32_e32 v8, 0x80, v8
	s_mov_b32 s22, -1
	s_branch .LBB15_542
.LBB15_429:
	s_mov_b32 s22, 0
	s_branch .LBB15_541
.LBB15_430:
	s_mov_b32 s1, -1
                                        ; implicit-def: $vgpr3
.LBB15_431:
	s_mov_b32 s23, 0
.LBB15_432:
	s_and_b32 vcc_lo, exec_lo, s23
	s_cbranch_vccz .LBB15_436
; %bb.433:
	s_cmp_eq_u32 s0, 29
	s_cbranch_scc0 .LBB15_435
; %bb.434:
	global_load_dwordx2 v[3:4], v[1:2], off
	s_mov_b32 s22, -1
	s_mov_b32 s1, 0
	s_mov_b32 s23, 0
	s_waitcnt vmcnt(0)
	v_ffbh_u32_e32 v5, v4
	v_min_u32_e32 v5, 32, v5
	v_lshlrev_b64 v[3:4], v5, v[3:4]
	v_min_u32_e32 v3, 1, v3
	v_or_b32_e32 v3, v4, v3
	v_sub_nc_u32_e32 v4, 32, v5
	v_cvt_f32_u32_e32 v3, v3
	v_ldexp_f32 v3, v3, v4
	s_branch .LBB15_437
.LBB15_435:
	s_mov_b32 s1, -1
                                        ; implicit-def: $vgpr3
.LBB15_436:
	s_mov_b32 s23, 0
.LBB15_437:
	s_and_b32 vcc_lo, exec_lo, s23
	s_cbranch_vccz .LBB15_455
; %bb.438:
	s_cmp_lt_i32 s0, 27
	s_cbranch_scc1 .LBB15_441
; %bb.439:
	s_cmp_gt_i32 s0, 27
	s_cbranch_scc0 .LBB15_442
; %bb.440:
	global_load_dword v3, v[1:2], off
	s_mov_b32 s22, 0
	s_waitcnt vmcnt(0)
	v_cvt_f32_u32_e32 v3, v3
	s_branch .LBB15_443
.LBB15_441:
	s_mov_b32 s22, -1
                                        ; implicit-def: $vgpr3
	s_branch .LBB15_446
.LBB15_442:
	s_mov_b32 s22, -1
                                        ; implicit-def: $vgpr3
.LBB15_443:
	s_andn2_b32 vcc_lo, exec_lo, s22
	s_cbranch_vccnz .LBB15_445
; %bb.444:
	global_load_ushort v3, v[1:2], off
	s_waitcnt vmcnt(0)
	v_cvt_f32_u32_e32 v3, v3
.LBB15_445:
	s_mov_b32 s22, 0
.LBB15_446:
	s_andn2_b32 vcc_lo, exec_lo, s22
	s_cbranch_vccnz .LBB15_454
; %bb.447:
	global_load_ubyte v4, v[1:2], off
	s_mov_b32 s22, 0
	s_mov_b32 s23, exec_lo
	s_waitcnt vmcnt(0)
	v_cmpx_lt_i16_e32 0x7f, v4
	s_xor_b32 s23, exec_lo, s23
	s_cbranch_execz .LBB15_468
; %bb.448:
	s_mov_b32 s22, -1
	s_mov_b32 s39, exec_lo
	v_cmpx_eq_u16_e32 0x80, v4
; %bb.449:
	s_xor_b32 s22, exec_lo, -1
; %bb.450:
	s_or_b32 exec_lo, exec_lo, s39
	s_and_b32 s22, s22, exec_lo
	s_or_saveexec_b32 s23, s23
	v_mov_b32_e32 v3, 0x7f800001
	s_xor_b32 exec_lo, exec_lo, s23
	s_cbranch_execnz .LBB15_469
.LBB15_451:
	s_or_b32 exec_lo, exec_lo, s23
	s_and_saveexec_b32 s23, s22
	s_cbranch_execz .LBB15_453
.LBB15_452:
	v_and_b32_e32 v3, 0xffff, v4
	v_lshlrev_b32_e32 v4, 24, v4
	v_and_b32_e32 v5, 7, v3
	v_bfe_u32 v9, v3, 3, 4
	v_and_b32_e32 v4, 0x80000000, v4
	v_ffbh_u32_e32 v6, v5
	v_cmp_eq_u32_e32 vcc_lo, 0, v9
	v_min_u32_e32 v6, 32, v6
	v_subrev_nc_u32_e32 v7, 28, v6
	v_sub_nc_u32_e32 v6, 29, v6
	v_lshlrev_b32_e32 v3, v7, v3
	v_cndmask_b32_e32 v6, v9, v6, vcc_lo
	v_and_b32_e32 v3, 7, v3
	v_cndmask_b32_e32 v3, v5, v3, vcc_lo
	v_lshl_add_u32 v5, v6, 23, 0x3b800000
	v_lshlrev_b32_e32 v3, 20, v3
	v_or3_b32 v3, v4, v5, v3
.LBB15_453:
	s_or_b32 exec_lo, exec_lo, s23
.LBB15_454:
	s_mov_b32 s22, -1
.LBB15_455:
	s_mov_b32 s23, 0
.LBB15_456:
	s_and_b32 vcc_lo, exec_lo, s23
	s_cbranch_vccz .LBB15_491
; %bb.457:
	s_cmp_gt_i32 s0, 22
	s_cbranch_scc0 .LBB15_467
; %bb.458:
	s_cmp_lt_i32 s0, 24
	s_cbranch_scc1 .LBB15_470
; %bb.459:
	s_cmp_gt_i32 s0, 24
	s_cbranch_scc0 .LBB15_471
; %bb.460:
	global_load_ubyte v4, v[1:2], off
	s_mov_b32 s22, 0
	s_mov_b32 s23, exec_lo
	s_waitcnt vmcnt(0)
	v_cmpx_lt_i16_e32 0x7f, v4
	s_xor_b32 s23, exec_lo, s23
	s_cbranch_execz .LBB15_483
; %bb.461:
	s_mov_b32 s22, -1
	s_mov_b32 s39, exec_lo
	v_cmpx_eq_u16_e32 0x80, v4
; %bb.462:
	s_xor_b32 s22, exec_lo, -1
; %bb.463:
	s_or_b32 exec_lo, exec_lo, s39
	s_and_b32 s22, s22, exec_lo
	s_or_saveexec_b32 s23, s23
	v_mov_b32_e32 v3, 0x7f800001
	s_xor_b32 exec_lo, exec_lo, s23
	s_cbranch_execnz .LBB15_484
.LBB15_464:
	s_or_b32 exec_lo, exec_lo, s23
	s_and_saveexec_b32 s23, s22
	s_cbranch_execz .LBB15_466
.LBB15_465:
	v_and_b32_e32 v3, 0xffff, v4
	v_lshlrev_b32_e32 v4, 24, v4
	v_and_b32_e32 v5, 3, v3
	v_bfe_u32 v9, v3, 2, 5
	v_and_b32_e32 v4, 0x80000000, v4
	v_ffbh_u32_e32 v6, v5
	v_cmp_eq_u32_e32 vcc_lo, 0, v9
	v_min_u32_e32 v6, 32, v6
	v_subrev_nc_u32_e32 v7, 29, v6
	v_sub_nc_u32_e32 v6, 30, v6
	v_lshlrev_b32_e32 v3, v7, v3
	v_cndmask_b32_e32 v6, v9, v6, vcc_lo
	v_and_b32_e32 v3, 3, v3
	v_cndmask_b32_e32 v3, v5, v3, vcc_lo
	v_lshl_add_u32 v5, v6, 23, 0x37800000
	v_lshlrev_b32_e32 v3, 21, v3
	v_or3_b32 v3, v4, v5, v3
.LBB15_466:
	s_or_b32 exec_lo, exec_lo, s23
	s_mov_b32 s22, 0
	s_branch .LBB15_472
.LBB15_467:
	s_mov_b32 s23, -1
                                        ; implicit-def: $vgpr3
	s_branch .LBB15_478
.LBB15_468:
	s_or_saveexec_b32 s23, s23
	v_mov_b32_e32 v3, 0x7f800001
	s_xor_b32 exec_lo, exec_lo, s23
	s_cbranch_execz .LBB15_451
.LBB15_469:
	v_cmp_ne_u16_e32 vcc_lo, 0, v4
	v_mov_b32_e32 v3, 0
	s_andn2_b32 s22, s22, exec_lo
	s_and_b32 s39, vcc_lo, exec_lo
	s_or_b32 s22, s22, s39
	s_or_b32 exec_lo, exec_lo, s23
	s_and_saveexec_b32 s23, s22
	s_cbranch_execnz .LBB15_452
	s_branch .LBB15_453
.LBB15_470:
	s_mov_b32 s22, -1
                                        ; implicit-def: $vgpr3
	s_branch .LBB15_475
.LBB15_471:
	s_mov_b32 s22, -1
                                        ; implicit-def: $vgpr3
.LBB15_472:
	s_and_b32 vcc_lo, exec_lo, s22
	s_cbranch_vccz .LBB15_474
; %bb.473:
	global_load_ubyte v3, v[1:2], off
	s_waitcnt vmcnt(0)
	v_lshlrev_b32_e32 v3, 24, v3
	v_and_b32_e32 v4, 0x7f000000, v3
	v_ffbh_u32_e32 v5, v4
	v_add_nc_u32_e32 v7, 0x1000000, v4
	v_cmp_ne_u32_e32 vcc_lo, 0, v4
	v_min_u32_e32 v5, 32, v5
	v_sub_nc_u32_e64 v5, v5, 4 clamp
	v_lshlrev_b32_e32 v6, v5, v4
	v_lshlrev_b32_e32 v5, 23, v5
	v_lshrrev_b32_e32 v6, 4, v6
	v_sub_nc_u32_e32 v5, v6, v5
	v_ashrrev_i32_e32 v6, 8, v7
	v_add_nc_u32_e32 v5, 0x3c000000, v5
	v_and_or_b32 v5, 0x7f800000, v6, v5
	v_cndmask_b32_e32 v4, 0, v5, vcc_lo
	v_and_or_b32 v3, 0x80000000, v3, v4
.LBB15_474:
	s_mov_b32 s22, 0
.LBB15_475:
	s_andn2_b32 vcc_lo, exec_lo, s22
	s_cbranch_vccnz .LBB15_477
; %bb.476:
	global_load_ubyte v3, v[1:2], off
	s_waitcnt vmcnt(0)
	v_lshlrev_b32_e32 v4, 25, v3
	v_lshlrev_b16 v3, 8, v3
	v_lshrrev_b32_e32 v5, 4, v4
	v_and_or_b32 v6, 0x7f00, v3, 0.5
	v_cmp_gt_u32_e32 vcc_lo, 0x8000000, v4
	v_bfe_i32 v3, v3, 0, 16
	v_or_b32_e32 v5, 0x70000000, v5
	v_add_f32_e32 v6, -0.5, v6
	v_mul_f32_e32 v5, 0x7800000, v5
	v_cndmask_b32_e32 v4, v5, v6, vcc_lo
	v_and_or_b32 v3, 0x80000000, v3, v4
.LBB15_477:
	s_mov_b32 s23, 0
	s_mov_b32 s22, -1
.LBB15_478:
	s_andn2_b32 vcc_lo, exec_lo, s23
	s_cbranch_vccnz .LBB15_491
; %bb.479:
	s_cmp_gt_i32 s0, 14
	s_cbranch_scc0 .LBB15_482
; %bb.480:
	s_cmp_eq_u32 s0, 15
	s_cbranch_scc0 .LBB15_485
; %bb.481:
	global_load_ushort v3, v[1:2], off
	s_mov_b32 s22, -1
	s_mov_b32 s1, 0
	s_waitcnt vmcnt(0)
	v_lshlrev_b32_e32 v3, 16, v3
	s_branch .LBB15_486
.LBB15_482:
	s_mov_b32 s23, -1
                                        ; implicit-def: $vgpr3
	s_branch .LBB15_487
.LBB15_483:
	s_or_saveexec_b32 s23, s23
	v_mov_b32_e32 v3, 0x7f800001
	s_xor_b32 exec_lo, exec_lo, s23
	s_cbranch_execz .LBB15_464
.LBB15_484:
	v_cmp_ne_u16_e32 vcc_lo, 0, v4
	v_mov_b32_e32 v3, 0
	s_andn2_b32 s22, s22, exec_lo
	s_and_b32 s39, vcc_lo, exec_lo
	s_or_b32 s22, s22, s39
	s_or_b32 exec_lo, exec_lo, s23
	s_and_saveexec_b32 s23, s22
	s_cbranch_execnz .LBB15_465
	s_branch .LBB15_466
.LBB15_485:
	s_mov_b32 s1, -1
                                        ; implicit-def: $vgpr3
.LBB15_486:
	s_mov_b32 s23, 0
.LBB15_487:
	s_and_b32 vcc_lo, exec_lo, s23
	s_cbranch_vccz .LBB15_491
; %bb.488:
	s_cmp_eq_u32 s0, 11
	s_cbranch_scc0 .LBB15_490
; %bb.489:
	global_load_ubyte v3, v[1:2], off
	s_mov_b32 s1, 0
	s_mov_b32 s22, -1
	s_waitcnt vmcnt(0)
	v_cmp_ne_u16_e32 vcc_lo, 0, v3
	v_cndmask_b32_e64 v3, 0, 1.0, vcc_lo
	s_branch .LBB15_491
.LBB15_490:
	s_mov_b32 s1, -1
                                        ; implicit-def: $vgpr3
.LBB15_491:
	s_branch .LBB15_293
.LBB15_492:
	s_cmp_lt_i32 s0, 5
	s_cbranch_scc1 .LBB15_497
; %bb.493:
	s_cmp_lt_i32 s0, 8
	s_cbranch_scc1 .LBB15_498
; %bb.494:
	;; [unrolled: 3-line block ×3, first 2 shown]
	s_cmp_gt_i32 s0, 9
	s_cbranch_scc0 .LBB15_500
; %bb.496:
	global_load_dwordx2 v[3:4], v[1:2], off
	s_mov_b32 s22, 0
	s_waitcnt vmcnt(0)
	v_cvt_f32_f64_e32 v3, v[3:4]
	s_branch .LBB15_501
.LBB15_497:
	s_mov_b32 s22, -1
                                        ; implicit-def: $vgpr3
	s_branch .LBB15_519
.LBB15_498:
	s_mov_b32 s22, -1
                                        ; implicit-def: $vgpr3
	s_branch .LBB15_507
.LBB15_499:
	s_mov_b32 s22, -1
                                        ; implicit-def: $vgpr3
	s_branch .LBB15_504
.LBB15_500:
	s_mov_b32 s22, -1
                                        ; implicit-def: $vgpr3
.LBB15_501:
	s_andn2_b32 vcc_lo, exec_lo, s22
	s_cbranch_vccnz .LBB15_503
; %bb.502:
	global_load_dword v3, v[1:2], off
.LBB15_503:
	s_mov_b32 s22, 0
.LBB15_504:
	s_andn2_b32 vcc_lo, exec_lo, s22
	s_cbranch_vccnz .LBB15_506
; %bb.505:
	global_load_dword v3, v[1:2], off
	s_waitcnt vmcnt(0)
	v_cvt_f32_f16_e32 v3, v3
.LBB15_506:
	s_mov_b32 s22, 0
.LBB15_507:
	s_andn2_b32 vcc_lo, exec_lo, s22
	s_cbranch_vccnz .LBB15_518
; %bb.508:
	s_cmp_lt_i32 s0, 6
	s_cbranch_scc1 .LBB15_511
; %bb.509:
	s_cmp_gt_i32 s0, 6
	s_cbranch_scc0 .LBB15_512
; %bb.510:
	global_load_dwordx2 v[3:4], v[1:2], off
	s_mov_b32 s22, 0
	s_waitcnt vmcnt(0)
	v_cvt_f32_f64_e32 v3, v[3:4]
	s_branch .LBB15_513
.LBB15_511:
	s_mov_b32 s22, -1
                                        ; implicit-def: $vgpr3
	s_branch .LBB15_516
.LBB15_512:
	s_mov_b32 s22, -1
                                        ; implicit-def: $vgpr3
.LBB15_513:
	s_andn2_b32 vcc_lo, exec_lo, s22
	s_cbranch_vccnz .LBB15_515
; %bb.514:
	global_load_dword v3, v[1:2], off
.LBB15_515:
	s_mov_b32 s22, 0
.LBB15_516:
	s_andn2_b32 vcc_lo, exec_lo, s22
	s_cbranch_vccnz .LBB15_518
; %bb.517:
	global_load_ushort v3, v[1:2], off
	s_waitcnt vmcnt(0)
	v_cvt_f32_f16_e32 v3, v3
.LBB15_518:
	s_mov_b32 s22, 0
.LBB15_519:
	s_andn2_b32 vcc_lo, exec_lo, s22
	s_cbranch_vccnz .LBB15_539
; %bb.520:
	s_cmp_lt_i32 s0, 2
	s_cbranch_scc1 .LBB15_524
; %bb.521:
	s_cmp_lt_i32 s0, 3
	s_cbranch_scc1 .LBB15_525
; %bb.522:
	s_cmp_gt_i32 s0, 3
	s_cbranch_scc0 .LBB15_526
; %bb.523:
	global_load_dwordx2 v[3:4], v[1:2], off
	s_mov_b32 s22, 0
	s_waitcnt vmcnt(0)
	v_xor_b32_e32 v5, v3, v4
	v_ffbh_i32_e32 v6, v4
	v_ashrrev_i32_e32 v5, 31, v5
	v_add_nc_u32_e32 v6, -1, v6
	v_add_nc_u32_e32 v5, 32, v5
	v_min_u32_e32 v5, v6, v5
	v_lshlrev_b64 v[3:4], v5, v[3:4]
	v_min_u32_e32 v3, 1, v3
	v_or_b32_e32 v3, v4, v3
	v_sub_nc_u32_e32 v4, 32, v5
	v_cvt_f32_i32_e32 v3, v3
	v_ldexp_f32 v3, v3, v4
	s_branch .LBB15_527
.LBB15_524:
	s_mov_b32 s22, -1
                                        ; implicit-def: $vgpr3
	s_branch .LBB15_533
.LBB15_525:
	s_mov_b32 s22, -1
                                        ; implicit-def: $vgpr3
	s_branch .LBB15_530
.LBB15_526:
	s_mov_b32 s22, -1
                                        ; implicit-def: $vgpr3
.LBB15_527:
	s_andn2_b32 vcc_lo, exec_lo, s22
	s_cbranch_vccnz .LBB15_529
; %bb.528:
	global_load_dword v3, v[1:2], off
	s_waitcnt vmcnt(0)
	v_cvt_f32_i32_e32 v3, v3
.LBB15_529:
	s_mov_b32 s22, 0
.LBB15_530:
	s_andn2_b32 vcc_lo, exec_lo, s22
	s_cbranch_vccnz .LBB15_532
; %bb.531:
	global_load_sshort v3, v[1:2], off
	s_waitcnt vmcnt(0)
	v_cvt_f32_i32_e32 v3, v3
.LBB15_532:
	s_mov_b32 s22, 0
.LBB15_533:
	s_andn2_b32 vcc_lo, exec_lo, s22
	s_cbranch_vccnz .LBB15_539
; %bb.534:
	s_cmp_gt_i32 s0, 0
	s_mov_b32 s0, 0
	s_cbranch_scc0 .LBB15_536
; %bb.535:
	global_load_sbyte v3, v[1:2], off
	s_waitcnt vmcnt(0)
	v_cvt_f32_i32_e32 v3, v3
	s_branch .LBB15_537
.LBB15_536:
	s_mov_b32 s0, -1
                                        ; implicit-def: $vgpr3
.LBB15_537:
	s_andn2_b32 vcc_lo, exec_lo, s0
	s_cbranch_vccnz .LBB15_539
; %bb.538:
	global_load_ubyte v1, v[1:2], off
	s_waitcnt vmcnt(0)
	v_cvt_f32_ubyte0_e32 v3, v1
.LBB15_539:
	s_branch .LBB15_294
.LBB15_540:
	s_mov_b32 s22, 0
	s_mov_b32 s0, s36
.LBB15_541:
                                        ; implicit-def: $vgpr8
.LBB15_542:
	s_andn2_b32 s23, s36, exec_lo
	s_and_b32 s0, s0, exec_lo
	s_andn2_b32 s39, s37, exec_lo
	s_and_b32 s1, s1, exec_lo
	s_or_b32 s40, s23, s0
	s_or_b32 s39, s39, s1
	s_orn2_b32 s0, s22, exec_lo
.LBB15_543:
	s_or_b32 exec_lo, exec_lo, s41
	s_mov_b32 s1, 0
	s_mov_b32 s23, 0
	;; [unrolled: 1-line block ×3, first 2 shown]
                                        ; implicit-def: $vgpr1_vgpr2
                                        ; implicit-def: $vgpr0
                                        ; implicit-def: $vgpr4
	s_and_saveexec_b32 s41, s0
	s_cbranch_execz .LBB15_920
; %bb.544:
	s_mov_b32 s44, -1
	s_mov_b32 s22, s39
	s_mov_b32 s23, s40
	s_mov_b32 s42, exec_lo
	v_cmpx_gt_i32_e64 s33, v8
	s_cbranch_execz .LBB15_819
; %bb.545:
	s_andn2_b32 vcc_lo, exec_lo, s27
	s_cbranch_vccnz .LBB15_550
; %bb.546:
	s_andn2_b32 vcc_lo, exec_lo, s34
	s_cbranch_vccnz .LBB15_551
; %bb.547:
	s_add_i32 s44, s35, 1
	s_cmp_eq_u32 s25, 2
	s_cbranch_scc1 .LBB15_552
; %bb.548:
	v_mov_b32_e32 v2, 0
	v_mov_b32_e32 v0, 0
	;; [unrolled: 1-line block ×3, first 2 shown]
	s_and_b32 s43, s44, 28
	s_mov_b32 s45, 0
	s_mov_b64 s[0:1], s[2:3]
	s_mov_b64 s[22:23], s[20:21]
.LBB15_549:                             ; =>This Inner Loop Header: Depth=1
	s_clause 0x1
	s_load_dwordx8 s[48:55], s[0:1], 0x4
	s_load_dwordx4 s[64:67], s[0:1], 0x24
	s_load_dwordx8 s[56:63], s[22:23], 0x0
	s_add_u32 s0, s0, 48
	s_addc_u32 s1, s1, 0
	s_add_i32 s45, s45, 4
	s_add_u32 s22, s22, 32
	s_addc_u32 s23, s23, 0
	s_cmp_eq_u32 s43, s45
	s_waitcnt vmcnt(0) lgkmcnt(0)
	v_mul_hi_u32 v3, s49, v1
	v_add_nc_u32_e32 v3, v1, v3
	v_lshrrev_b32_e32 v3, s50, v3
	v_mul_hi_u32 v4, s52, v3
	v_mul_lo_u32 v6, v3, s48
	v_add_nc_u32_e32 v4, v3, v4
	v_sub_nc_u32_e32 v1, v1, v6
	v_lshrrev_b32_e32 v4, s53, v4
	v_mul_lo_u32 v6, v1, s56
	v_mul_lo_u32 v9, v1, s57
	v_mul_hi_u32 v5, s55, v4
	v_add_nc_u32_e32 v5, v4, v5
	v_lshrrev_b32_e32 v5, s64, v5
	v_mul_hi_u32 v7, s66, v5
	v_mul_lo_u32 v10, v5, s54
	v_add_nc_u32_e32 v1, v5, v7
	v_mul_lo_u32 v7, v4, s51
	v_sub_nc_u32_e32 v4, v4, v10
	v_lshrrev_b32_e32 v1, s67, v1
	v_mul_lo_u32 v10, v4, s60
	v_mul_lo_u32 v4, v4, s61
	v_sub_nc_u32_e32 v3, v3, v7
	v_mul_lo_u32 v11, v1, s65
	v_mul_lo_u32 v7, v3, s58
	v_mul_lo_u32 v3, v3, s59
	v_sub_nc_u32_e32 v5, v5, v11
	v_add3_u32 v0, v6, v0, v7
	v_mul_lo_u32 v11, v5, s62
	v_mul_lo_u32 v5, v5, s63
	v_add3_u32 v2, v9, v2, v3
	v_add3_u32 v0, v10, v0, v11
	;; [unrolled: 1-line block ×3, first 2 shown]
	s_cbranch_scc0 .LBB15_549
	s_branch .LBB15_553
.LBB15_550:
	s_mov_b32 s0, -1
                                        ; implicit-def: $vgpr0
                                        ; implicit-def: $vgpr2
	s_branch .LBB15_557
.LBB15_551:
	v_mov_b32_e32 v0, 0
	v_mov_b32_e32 v2, 0
	s_branch .LBB15_556
.LBB15_552:
	v_mov_b32_e32 v0, 0
	v_mov_b32_e32 v2, 0
	v_mov_b32_e32 v1, v8
	s_mov_b32 s43, 0
.LBB15_553:
	s_and_b32 s44, s44, 3
	s_cmp_eq_u32 s44, 0
	s_cbranch_scc1 .LBB15_556
; %bb.554:
	s_lshl_b32 s0, s43, 3
	s_mul_i32 s22, s43, 12
	s_add_u32 s0, s2, s0
	s_addc_u32 s1, s3, 0
	s_add_u32 s0, s0, 0xc4
	s_addc_u32 s1, s1, 0
	;; [unrolled: 2-line block ×3, first 2 shown]
	.p2align	6
.LBB15_555:                             ; =>This Inner Loop Header: Depth=1
	s_clause 0x1
	s_load_dwordx2 s[46:47], s[22:23], 0x4
	s_load_dword s43, s[22:23], 0xc
	s_load_dwordx2 s[48:49], s[0:1], 0x0
	s_add_u32 s22, s22, 12
	s_addc_u32 s23, s23, 0
	s_add_u32 s0, s0, 8
	s_addc_u32 s1, s1, 0
	s_add_i32 s44, s44, -1
	s_cmp_lg_u32 s44, 0
	s_waitcnt vmcnt(0) lgkmcnt(0)
	v_mul_hi_u32 v3, s47, v1
	v_add_nc_u32_e32 v3, v1, v3
	v_lshrrev_b32_e32 v4, s43, v3
	v_mul_lo_u32 v3, v4, s46
	v_sub_nc_u32_e32 v3, v1, v3
	v_mad_u64_u32 v[0:1], null, v3, s48, v[0:1]
	v_mad_u64_u32 v[2:3], null, v3, s49, v[2:3]
	v_mov_b32_e32 v1, v4
	s_cbranch_scc1 .LBB15_555
.LBB15_556:
	s_mov_b32 s0, 0
.LBB15_557:
	s_andn2_b32 vcc_lo, exec_lo, s0
	s_cbranch_vccnz .LBB15_560
; %bb.558:
	s_waitcnt lgkmcnt(0)
	v_mul_hi_u32 v0, s17, v8
	s_andn2_b32 vcc_lo, exec_lo, s31
	v_add_nc_u32_e32 v0, v8, v0
	v_lshrrev_b32_e32 v1, s18, v0
	v_mul_lo_u32 v0, v1, s16
	v_sub_nc_u32_e32 v2, v8, v0
	v_mul_lo_u32 v0, v2, s12
	v_mul_lo_u32 v2, v2, s13
	s_cbranch_vccnz .LBB15_560
; %bb.559:
	s_waitcnt vmcnt(0)
	v_mul_hi_u32 v3, s6, v1
	v_add_nc_u32_e32 v3, v1, v3
	v_lshrrev_b32_e32 v3, s7, v3
	v_mul_lo_u32 v3, v3, s19
	v_sub_nc_u32_e32 v3, v1, v3
	v_mad_u64_u32 v[0:1], null, v3, s14, v[0:1]
	v_mad_u64_u32 v[2:3], null, v3, s15, v[2:3]
.LBB15_560:
	s_waitcnt lgkmcnt(0)
	v_add_co_u32 v1, s0, s10, v2
	v_add_co_ci_u32_e64 v2, null, s11, 0, s0
	s_and_b32 s0, 0xffff, s30
	s_cmp_lt_i32 s0, 11
	s_cbranch_scc1 .LBB15_567
; %bb.561:
	s_cmp_gt_i32 s0, 25
	s_cbranch_scc0 .LBB15_568
; %bb.562:
	s_cmp_gt_i32 s0, 28
	s_cbranch_scc0 .LBB15_569
	;; [unrolled: 3-line block ×4, first 2 shown]
; %bb.565:
	s_cmp_eq_u32 s0, 46
	s_mov_b32 s23, 0
	s_cbranch_scc0 .LBB15_576
; %bb.566:
	global_load_dword v3, v[1:2], off
	s_mov_b32 s22, -1
	s_mov_b32 s1, 0
	s_waitcnt vmcnt(0)
	v_lshlrev_b32_e32 v3, 16, v3
	s_branch .LBB15_578
.LBB15_567:
	s_mov_b32 s23, -1
	s_mov_b32 s22, 0
	s_mov_b32 s1, s39
                                        ; implicit-def: $vgpr3
	s_branch .LBB15_643
.LBB15_568:
	s_mov_b32 s23, -1
	s_mov_b32 s22, 0
	s_mov_b32 s1, s39
                                        ; implicit-def: $vgpr3
	s_branch .LBB15_607
.LBB15_569:
	s_mov_b32 s23, -1
	s_mov_b32 s22, 0
	s_mov_b32 s1, s39
                                        ; implicit-def: $vgpr3
	s_branch .LBB15_588
.LBB15_570:
	s_mov_b32 s23, -1
	s_mov_b32 s22, 0
	s_mov_b32 s1, s39
                                        ; implicit-def: $vgpr3
	s_branch .LBB15_583
.LBB15_571:
	s_andn2_saveexec_b32 s42, s42
	s_cbranch_execz .LBB15_340
.LBB15_572:
	v_add_f32_e64 v3, 0x46000000, |v4|
	s_andn2_b32 s40, s40, exec_lo
	v_and_b32_e32 v3, 0xff, v3
	v_cmp_ne_u32_e32 vcc_lo, 0, v3
	s_and_b32 s43, vcc_lo, exec_lo
	s_or_b32 s40, s40, s43
	s_or_b32 exec_lo, exec_lo, s42
	v_mov_b32_e32 v5, 0
	s_and_saveexec_b32 s42, s40
	s_cbranch_execnz .LBB15_341
	s_branch .LBB15_342
.LBB15_573:
	s_mov_b32 s23, -1
	s_mov_b32 s22, 0
	s_mov_b32 s1, s39
	s_branch .LBB15_577
.LBB15_574:
	s_andn2_saveexec_b32 s42, s42
	s_cbranch_execz .LBB15_353
.LBB15_575:
	v_add_f32_e64 v3, 0x42800000, |v4|
	s_andn2_b32 s40, s40, exec_lo
	v_and_b32_e32 v3, 0xff, v3
	v_cmp_ne_u32_e32 vcc_lo, 0, v3
	s_and_b32 s43, vcc_lo, exec_lo
	s_or_b32 s40, s40, s43
	s_or_b32 exec_lo, exec_lo, s42
	v_mov_b32_e32 v5, 0
	s_and_saveexec_b32 s42, s40
	s_cbranch_execnz .LBB15_354
	s_branch .LBB15_355
.LBB15_576:
	s_mov_b32 s1, -1
	s_mov_b32 s22, 0
.LBB15_577:
                                        ; implicit-def: $vgpr3
.LBB15_578:
	s_and_b32 vcc_lo, exec_lo, s23
	s_cbranch_vccz .LBB15_582
; %bb.579:
	s_cmp_eq_u32 s0, 44
	s_cbranch_scc0 .LBB15_581
; %bb.580:
	global_load_ubyte v3, v[1:2], off
	s_mov_b32 s1, 0
	s_mov_b32 s22, -1
	s_waitcnt vmcnt(0)
	v_lshlrev_b32_e32 v4, 23, v3
	v_cmp_ne_u32_e32 vcc_lo, 0xff, v3
	v_cndmask_b32_e32 v4, 0x7f800001, v4, vcc_lo
	v_cmp_ne_u32_e32 vcc_lo, 0, v3
	v_cndmask_b32_e32 v3, 0x400000, v4, vcc_lo
	s_branch .LBB15_582
.LBB15_581:
	s_mov_b32 s1, -1
                                        ; implicit-def: $vgpr3
.LBB15_582:
	s_mov_b32 s23, 0
.LBB15_583:
	s_and_b32 vcc_lo, exec_lo, s23
	s_cbranch_vccz .LBB15_587
; %bb.584:
	s_cmp_eq_u32 s0, 29
	s_cbranch_scc0 .LBB15_586
; %bb.585:
	global_load_dwordx2 v[3:4], v[1:2], off
	s_mov_b32 s22, -1
	s_mov_b32 s1, 0
	s_mov_b32 s23, 0
	s_waitcnt vmcnt(0)
	v_ffbh_u32_e32 v5, v4
	v_min_u32_e32 v5, 32, v5
	v_lshlrev_b64 v[3:4], v5, v[3:4]
	v_min_u32_e32 v3, 1, v3
	v_or_b32_e32 v3, v4, v3
	v_sub_nc_u32_e32 v4, 32, v5
	v_cvt_f32_u32_e32 v3, v3
	v_ldexp_f32 v3, v3, v4
	s_branch .LBB15_588
.LBB15_586:
	s_mov_b32 s1, -1
                                        ; implicit-def: $vgpr3
.LBB15_587:
	s_mov_b32 s23, 0
.LBB15_588:
	s_and_b32 vcc_lo, exec_lo, s23
	s_cbranch_vccz .LBB15_606
; %bb.589:
	s_cmp_lt_i32 s0, 27
	s_cbranch_scc1 .LBB15_592
; %bb.590:
	s_cmp_gt_i32 s0, 27
	s_cbranch_scc0 .LBB15_593
; %bb.591:
	global_load_dword v3, v[1:2], off
	s_mov_b32 s22, 0
	s_waitcnt vmcnt(0)
	v_cvt_f32_u32_e32 v3, v3
	s_branch .LBB15_594
.LBB15_592:
	s_mov_b32 s22, -1
                                        ; implicit-def: $vgpr3
	s_branch .LBB15_597
.LBB15_593:
	s_mov_b32 s22, -1
                                        ; implicit-def: $vgpr3
.LBB15_594:
	s_andn2_b32 vcc_lo, exec_lo, s22
	s_cbranch_vccnz .LBB15_596
; %bb.595:
	global_load_ushort v3, v[1:2], off
	s_waitcnt vmcnt(0)
	v_cvt_f32_u32_e32 v3, v3
.LBB15_596:
	s_mov_b32 s22, 0
.LBB15_597:
	s_andn2_b32 vcc_lo, exec_lo, s22
	s_cbranch_vccnz .LBB15_605
; %bb.598:
	global_load_ubyte v4, v[1:2], off
	s_mov_b32 s22, 0
	s_mov_b32 s23, exec_lo
	s_waitcnt vmcnt(0)
	v_cmpx_lt_i16_e32 0x7f, v4
	s_xor_b32 s23, exec_lo, s23
	s_cbranch_execz .LBB15_619
; %bb.599:
	s_mov_b32 s22, -1
	s_mov_b32 s43, exec_lo
	v_cmpx_eq_u16_e32 0x80, v4
; %bb.600:
	s_xor_b32 s22, exec_lo, -1
; %bb.601:
	s_or_b32 exec_lo, exec_lo, s43
	s_and_b32 s22, s22, exec_lo
	s_or_saveexec_b32 s23, s23
	v_mov_b32_e32 v3, 0x7f800001
	s_xor_b32 exec_lo, exec_lo, s23
	s_cbranch_execnz .LBB15_620
.LBB15_602:
	s_or_b32 exec_lo, exec_lo, s23
	s_and_saveexec_b32 s23, s22
	s_cbranch_execz .LBB15_604
.LBB15_603:
	v_and_b32_e32 v3, 0xffff, v4
	v_lshlrev_b32_e32 v4, 24, v4
	v_and_b32_e32 v5, 7, v3
	v_bfe_u32 v9, v3, 3, 4
	v_and_b32_e32 v4, 0x80000000, v4
	v_ffbh_u32_e32 v6, v5
	v_cmp_eq_u32_e32 vcc_lo, 0, v9
	v_min_u32_e32 v6, 32, v6
	v_subrev_nc_u32_e32 v7, 28, v6
	v_sub_nc_u32_e32 v6, 29, v6
	v_lshlrev_b32_e32 v3, v7, v3
	v_cndmask_b32_e32 v6, v9, v6, vcc_lo
	v_and_b32_e32 v3, 7, v3
	v_cndmask_b32_e32 v3, v5, v3, vcc_lo
	v_lshl_add_u32 v5, v6, 23, 0x3b800000
	v_lshlrev_b32_e32 v3, 20, v3
	v_or3_b32 v3, v4, v5, v3
.LBB15_604:
	s_or_b32 exec_lo, exec_lo, s23
.LBB15_605:
	s_mov_b32 s22, -1
.LBB15_606:
	s_mov_b32 s23, 0
.LBB15_607:
	s_and_b32 vcc_lo, exec_lo, s23
	s_cbranch_vccz .LBB15_642
; %bb.608:
	s_cmp_gt_i32 s0, 22
	s_cbranch_scc0 .LBB15_618
; %bb.609:
	s_cmp_lt_i32 s0, 24
	s_cbranch_scc1 .LBB15_621
; %bb.610:
	s_cmp_gt_i32 s0, 24
	s_cbranch_scc0 .LBB15_622
; %bb.611:
	global_load_ubyte v4, v[1:2], off
	s_mov_b32 s22, 0
	s_mov_b32 s23, exec_lo
	s_waitcnt vmcnt(0)
	v_cmpx_lt_i16_e32 0x7f, v4
	s_xor_b32 s23, exec_lo, s23
	s_cbranch_execz .LBB15_634
; %bb.612:
	s_mov_b32 s22, -1
	s_mov_b32 s43, exec_lo
	v_cmpx_eq_u16_e32 0x80, v4
; %bb.613:
	s_xor_b32 s22, exec_lo, -1
; %bb.614:
	s_or_b32 exec_lo, exec_lo, s43
	s_and_b32 s22, s22, exec_lo
	s_or_saveexec_b32 s23, s23
	v_mov_b32_e32 v3, 0x7f800001
	s_xor_b32 exec_lo, exec_lo, s23
	s_cbranch_execnz .LBB15_635
.LBB15_615:
	s_or_b32 exec_lo, exec_lo, s23
	s_and_saveexec_b32 s23, s22
	s_cbranch_execz .LBB15_617
.LBB15_616:
	v_and_b32_e32 v3, 0xffff, v4
	v_lshlrev_b32_e32 v4, 24, v4
	v_and_b32_e32 v5, 3, v3
	v_bfe_u32 v9, v3, 2, 5
	v_and_b32_e32 v4, 0x80000000, v4
	v_ffbh_u32_e32 v6, v5
	v_cmp_eq_u32_e32 vcc_lo, 0, v9
	v_min_u32_e32 v6, 32, v6
	v_subrev_nc_u32_e32 v7, 29, v6
	v_sub_nc_u32_e32 v6, 30, v6
	v_lshlrev_b32_e32 v3, v7, v3
	v_cndmask_b32_e32 v6, v9, v6, vcc_lo
	v_and_b32_e32 v3, 3, v3
	v_cndmask_b32_e32 v3, v5, v3, vcc_lo
	v_lshl_add_u32 v5, v6, 23, 0x37800000
	v_lshlrev_b32_e32 v3, 21, v3
	v_or3_b32 v3, v4, v5, v3
.LBB15_617:
	s_or_b32 exec_lo, exec_lo, s23
	s_mov_b32 s22, 0
	s_branch .LBB15_623
.LBB15_618:
	s_mov_b32 s23, -1
                                        ; implicit-def: $vgpr3
	s_branch .LBB15_629
.LBB15_619:
	s_or_saveexec_b32 s23, s23
	v_mov_b32_e32 v3, 0x7f800001
	s_xor_b32 exec_lo, exec_lo, s23
	s_cbranch_execz .LBB15_602
.LBB15_620:
	v_cmp_ne_u16_e32 vcc_lo, 0, v4
	v_mov_b32_e32 v3, 0
	s_andn2_b32 s22, s22, exec_lo
	s_and_b32 s43, vcc_lo, exec_lo
	s_or_b32 s22, s22, s43
	s_or_b32 exec_lo, exec_lo, s23
	s_and_saveexec_b32 s23, s22
	s_cbranch_execnz .LBB15_603
	s_branch .LBB15_604
.LBB15_621:
	s_mov_b32 s22, -1
                                        ; implicit-def: $vgpr3
	s_branch .LBB15_626
.LBB15_622:
	s_mov_b32 s22, -1
                                        ; implicit-def: $vgpr3
.LBB15_623:
	s_and_b32 vcc_lo, exec_lo, s22
	s_cbranch_vccz .LBB15_625
; %bb.624:
	global_load_ubyte v3, v[1:2], off
	s_waitcnt vmcnt(0)
	v_lshlrev_b32_e32 v3, 24, v3
	v_and_b32_e32 v4, 0x7f000000, v3
	v_ffbh_u32_e32 v5, v4
	v_add_nc_u32_e32 v7, 0x1000000, v4
	v_cmp_ne_u32_e32 vcc_lo, 0, v4
	v_min_u32_e32 v5, 32, v5
	v_sub_nc_u32_e64 v5, v5, 4 clamp
	v_lshlrev_b32_e32 v6, v5, v4
	v_lshlrev_b32_e32 v5, 23, v5
	v_lshrrev_b32_e32 v6, 4, v6
	v_sub_nc_u32_e32 v5, v6, v5
	v_ashrrev_i32_e32 v6, 8, v7
	v_add_nc_u32_e32 v5, 0x3c000000, v5
	v_and_or_b32 v5, 0x7f800000, v6, v5
	v_cndmask_b32_e32 v4, 0, v5, vcc_lo
	v_and_or_b32 v3, 0x80000000, v3, v4
.LBB15_625:
	s_mov_b32 s22, 0
.LBB15_626:
	s_andn2_b32 vcc_lo, exec_lo, s22
	s_cbranch_vccnz .LBB15_628
; %bb.627:
	global_load_ubyte v3, v[1:2], off
	s_waitcnt vmcnt(0)
	v_lshlrev_b32_e32 v4, 25, v3
	v_lshlrev_b16 v3, 8, v3
	v_lshrrev_b32_e32 v5, 4, v4
	v_and_or_b32 v6, 0x7f00, v3, 0.5
	v_cmp_gt_u32_e32 vcc_lo, 0x8000000, v4
	v_bfe_i32 v3, v3, 0, 16
	v_or_b32_e32 v5, 0x70000000, v5
	v_add_f32_e32 v6, -0.5, v6
	v_mul_f32_e32 v5, 0x7800000, v5
	v_cndmask_b32_e32 v4, v5, v6, vcc_lo
	v_and_or_b32 v3, 0x80000000, v3, v4
.LBB15_628:
	s_mov_b32 s23, 0
	s_mov_b32 s22, -1
.LBB15_629:
	s_andn2_b32 vcc_lo, exec_lo, s23
	s_cbranch_vccnz .LBB15_642
; %bb.630:
	s_cmp_gt_i32 s0, 14
	s_cbranch_scc0 .LBB15_633
; %bb.631:
	s_cmp_eq_u32 s0, 15
	s_cbranch_scc0 .LBB15_636
; %bb.632:
	global_load_ushort v3, v[1:2], off
	s_mov_b32 s22, -1
	s_mov_b32 s1, 0
	s_waitcnt vmcnt(0)
	v_lshlrev_b32_e32 v3, 16, v3
	s_branch .LBB15_637
.LBB15_633:
	s_mov_b32 s23, -1
                                        ; implicit-def: $vgpr3
	s_branch .LBB15_638
.LBB15_634:
	s_or_saveexec_b32 s23, s23
	v_mov_b32_e32 v3, 0x7f800001
	s_xor_b32 exec_lo, exec_lo, s23
	s_cbranch_execz .LBB15_615
.LBB15_635:
	v_cmp_ne_u16_e32 vcc_lo, 0, v4
	v_mov_b32_e32 v3, 0
	s_andn2_b32 s22, s22, exec_lo
	s_and_b32 s43, vcc_lo, exec_lo
	s_or_b32 s22, s22, s43
	s_or_b32 exec_lo, exec_lo, s23
	s_and_saveexec_b32 s23, s22
	s_cbranch_execnz .LBB15_616
	s_branch .LBB15_617
.LBB15_636:
	s_mov_b32 s1, -1
                                        ; implicit-def: $vgpr3
.LBB15_637:
	s_mov_b32 s23, 0
.LBB15_638:
	s_and_b32 vcc_lo, exec_lo, s23
	s_cbranch_vccz .LBB15_642
; %bb.639:
	s_cmp_eq_u32 s0, 11
	s_cbranch_scc0 .LBB15_641
; %bb.640:
	global_load_ubyte v3, v[1:2], off
	s_mov_b32 s1, 0
	s_mov_b32 s22, -1
	s_waitcnt vmcnt(0)
	v_cmp_ne_u16_e32 vcc_lo, 0, v3
	v_cndmask_b32_e64 v3, 0, 1.0, vcc_lo
	s_branch .LBB15_642
.LBB15_641:
	s_mov_b32 s1, -1
                                        ; implicit-def: $vgpr3
.LBB15_642:
	s_mov_b32 s23, 0
.LBB15_643:
	s_and_b32 vcc_lo, exec_lo, s23
	s_cbranch_vccz .LBB15_692
; %bb.644:
	s_cmp_lt_i32 s0, 5
	s_cbranch_scc1 .LBB15_649
; %bb.645:
	s_cmp_lt_i32 s0, 8
	s_cbranch_scc1 .LBB15_650
	;; [unrolled: 3-line block ×3, first 2 shown]
; %bb.647:
	s_cmp_gt_i32 s0, 9
	s_cbranch_scc0 .LBB15_652
; %bb.648:
	global_load_dwordx2 v[3:4], v[1:2], off
	s_mov_b32 s22, 0
	s_waitcnt vmcnt(0)
	v_cvt_f32_f64_e32 v3, v[3:4]
	s_branch .LBB15_653
.LBB15_649:
	s_mov_b32 s22, -1
                                        ; implicit-def: $vgpr3
	s_branch .LBB15_671
.LBB15_650:
	s_mov_b32 s22, -1
                                        ; implicit-def: $vgpr3
	s_branch .LBB15_659
.LBB15_651:
	s_mov_b32 s22, -1
                                        ; implicit-def: $vgpr3
	s_branch .LBB15_656
.LBB15_652:
	s_mov_b32 s22, -1
                                        ; implicit-def: $vgpr3
.LBB15_653:
	s_andn2_b32 vcc_lo, exec_lo, s22
	s_cbranch_vccnz .LBB15_655
; %bb.654:
	global_load_dword v3, v[1:2], off
.LBB15_655:
	s_mov_b32 s22, 0
.LBB15_656:
	s_andn2_b32 vcc_lo, exec_lo, s22
	s_cbranch_vccnz .LBB15_658
; %bb.657:
	global_load_dword v3, v[1:2], off
	s_waitcnt vmcnt(0)
	v_cvt_f32_f16_e32 v3, v3
.LBB15_658:
	s_mov_b32 s22, 0
.LBB15_659:
	s_andn2_b32 vcc_lo, exec_lo, s22
	s_cbranch_vccnz .LBB15_670
; %bb.660:
	s_cmp_lt_i32 s0, 6
	s_cbranch_scc1 .LBB15_663
; %bb.661:
	s_cmp_gt_i32 s0, 6
	s_cbranch_scc0 .LBB15_664
; %bb.662:
	global_load_dwordx2 v[3:4], v[1:2], off
	s_mov_b32 s22, 0
	s_waitcnt vmcnt(0)
	v_cvt_f32_f64_e32 v3, v[3:4]
	s_branch .LBB15_665
.LBB15_663:
	s_mov_b32 s22, -1
                                        ; implicit-def: $vgpr3
	s_branch .LBB15_668
.LBB15_664:
	s_mov_b32 s22, -1
                                        ; implicit-def: $vgpr3
.LBB15_665:
	s_andn2_b32 vcc_lo, exec_lo, s22
	s_cbranch_vccnz .LBB15_667
; %bb.666:
	global_load_dword v3, v[1:2], off
.LBB15_667:
	s_mov_b32 s22, 0
.LBB15_668:
	s_andn2_b32 vcc_lo, exec_lo, s22
	s_cbranch_vccnz .LBB15_670
; %bb.669:
	global_load_ushort v3, v[1:2], off
	s_waitcnt vmcnt(0)
	v_cvt_f32_f16_e32 v3, v3
.LBB15_670:
	s_mov_b32 s22, 0
.LBB15_671:
	s_andn2_b32 vcc_lo, exec_lo, s22
	s_cbranch_vccnz .LBB15_691
; %bb.672:
	s_cmp_lt_i32 s0, 2
	s_cbranch_scc1 .LBB15_676
; %bb.673:
	s_cmp_lt_i32 s0, 3
	s_cbranch_scc1 .LBB15_677
; %bb.674:
	s_cmp_gt_i32 s0, 3
	s_cbranch_scc0 .LBB15_678
; %bb.675:
	global_load_dwordx2 v[3:4], v[1:2], off
	s_mov_b32 s22, 0
	s_waitcnt vmcnt(0)
	v_xor_b32_e32 v5, v3, v4
	v_ffbh_i32_e32 v6, v4
	v_ashrrev_i32_e32 v5, 31, v5
	v_add_nc_u32_e32 v6, -1, v6
	v_add_nc_u32_e32 v5, 32, v5
	v_min_u32_e32 v5, v6, v5
	v_lshlrev_b64 v[3:4], v5, v[3:4]
	v_min_u32_e32 v3, 1, v3
	v_or_b32_e32 v3, v4, v3
	v_sub_nc_u32_e32 v4, 32, v5
	v_cvt_f32_i32_e32 v3, v3
	v_ldexp_f32 v3, v3, v4
	s_branch .LBB15_679
.LBB15_676:
	s_mov_b32 s22, -1
                                        ; implicit-def: $vgpr3
	s_branch .LBB15_685
.LBB15_677:
	s_mov_b32 s22, -1
                                        ; implicit-def: $vgpr3
	s_branch .LBB15_682
.LBB15_678:
	s_mov_b32 s22, -1
                                        ; implicit-def: $vgpr3
.LBB15_679:
	s_andn2_b32 vcc_lo, exec_lo, s22
	s_cbranch_vccnz .LBB15_681
; %bb.680:
	global_load_dword v3, v[1:2], off
	s_waitcnt vmcnt(0)
	v_cvt_f32_i32_e32 v3, v3
.LBB15_681:
	s_mov_b32 s22, 0
.LBB15_682:
	s_andn2_b32 vcc_lo, exec_lo, s22
	s_cbranch_vccnz .LBB15_684
; %bb.683:
	global_load_sshort v3, v[1:2], off
	s_waitcnt vmcnt(0)
	v_cvt_f32_i32_e32 v3, v3
.LBB15_684:
	s_mov_b32 s22, 0
.LBB15_685:
	s_andn2_b32 vcc_lo, exec_lo, s22
	s_cbranch_vccnz .LBB15_691
; %bb.686:
	s_cmp_gt_i32 s0, 0
	s_mov_b32 s0, 0
	s_cbranch_scc0 .LBB15_688
; %bb.687:
	global_load_sbyte v3, v[1:2], off
	s_waitcnt vmcnt(0)
	v_cvt_f32_i32_e32 v3, v3
	s_branch .LBB15_689
.LBB15_688:
	s_mov_b32 s0, -1
                                        ; implicit-def: $vgpr3
.LBB15_689:
	s_andn2_b32 vcc_lo, exec_lo, s0
	s_cbranch_vccnz .LBB15_691
; %bb.690:
	global_load_ubyte v1, v[1:2], off
	s_waitcnt vmcnt(0)
	v_cvt_f32_ubyte0_e32 v3, v1
.LBB15_691:
	s_mov_b32 s22, -1
.LBB15_692:
	s_andn2_b32 vcc_lo, exec_lo, s22
	s_cbranch_vccnz .LBB15_700
; %bb.693:
	s_waitcnt vmcnt(0)
	v_rcp_f32_e64 v1, |v3|
	v_cmp_gt_f32_e64 vcc_lo, |v3|, 1.0
	s_mov_b32 s0, 0x3b2d2a58
	s_and_b32 s22, s29, 0xff
	s_cmp_lt_i32 s22, 11
	v_cndmask_b32_e64 v1, |v3|, v1, vcc_lo
	v_mul_f32_e32 v2, v1, v1
	v_fmaak_f32 v4, s0, v2, 0xbc7a590c
	v_add_co_u32 v0, s0, s8, v0
	v_fmaak_f32 v4, v2, v4, 0x3d29fb3f
	v_fmaak_f32 v4, v2, v4, 0xbd97d4d7
	;; [unrolled: 1-line block ×6, first 2 shown]
	v_mul_f32_e32 v2, v2, v4
	v_fmac_f32_e32 v1, v1, v2
	v_sub_f32_e32 v2, 0x3fc90fdb, v1
	v_cndmask_b32_e32 v4, v1, v2, vcc_lo
	v_add_co_ci_u32_e64 v1, null, s9, 0, s0
	v_bfi_b32 v2, 0x7fffffff, v4, v3
	s_cbranch_scc1 .LBB15_701
; %bb.694:
	s_and_b32 s23, 0xffff, s22
	s_cmp_gt_i32 s23, 25
	s_cbranch_scc0 .LBB15_702
; %bb.695:
	s_cmp_gt_i32 s23, 28
	s_cbranch_scc0 .LBB15_703
; %bb.696:
	;; [unrolled: 3-line block ×4, first 2 shown]
	s_mov_b32 s44, 0
	s_mov_b32 s0, -1
	s_cmp_eq_u32 s23, 46
	s_mov_b32 s43, 0
	s_cbranch_scc0 .LBB15_706
; %bb.699:
	v_bfe_u32 v3, v2, 16, 1
	v_cmp_o_f32_e32 vcc_lo, v2, v2
	v_mov_b32_e32 v5, 0x7fc0
	s_mov_b32 s43, -1
	s_mov_b32 s0, 0
	v_add3_u32 v3, v2, v3, 0x7fff
	v_cndmask_b32_sdwa v3, v5, v3, vcc_lo dst_sel:DWORD dst_unused:UNUSED_PAD src0_sel:DWORD src1_sel:WORD_1
	global_store_dword v[0:1], v3, off
	s_branch .LBB15_706
.LBB15_700:
	s_mov_b32 s43, 0
	s_mov_b32 s0, s40
	s_branch .LBB15_817
.LBB15_701:
	s_mov_b32 s23, -1
	s_mov_b32 s43, 0
	s_mov_b32 s0, s40
	s_branch .LBB15_775
.LBB15_702:
	s_mov_b32 s44, -1
	s_mov_b32 s43, 0
	s_mov_b32 s0, s40
	s_branch .LBB15_733
.LBB15_703:
	s_mov_b32 s44, -1
	s_mov_b32 s43, 0
	s_mov_b32 s0, s40
	s_branch .LBB15_716
.LBB15_704:
	s_mov_b32 s44, -1
	s_mov_b32 s43, 0
	s_mov_b32 s0, s40
	s_branch .LBB15_712
.LBB15_705:
	s_mov_b32 s44, -1
	s_mov_b32 s43, 0
	s_mov_b32 s0, s40
.LBB15_706:
	s_and_b32 vcc_lo, exec_lo, s44
	s_cbranch_vccz .LBB15_711
; %bb.707:
	s_cmp_eq_u32 s23, 44
	s_mov_b32 s0, -1
	s_cbranch_scc0 .LBB15_711
; %bb.708:
	v_bfe_u32 v5, v2, 23, 8
	v_mov_b32_e32 v3, 0xff
	s_mov_b32 s43, exec_lo
	v_cmpx_ne_u32_e32 0xff, v5
	s_cbranch_execz .LBB15_710
; %bb.709:
	v_and_b32_e32 v3, 0x400000, v2
	v_and_or_b32 v5, 0x3fffff, v2, v5
	v_cmp_ne_u32_e32 vcc_lo, 0, v3
	v_cmp_ne_u32_e64 s0, 0, v5
	v_lshrrev_b32_e32 v3, 23, v2
	s_and_b32 s0, vcc_lo, s0
	v_cndmask_b32_e64 v5, 0, 1, s0
	v_add_nc_u32_e32 v3, v3, v5
.LBB15_710:
	s_or_b32 exec_lo, exec_lo, s43
	s_mov_b32 s43, -1
	s_mov_b32 s0, 0
	global_store_byte v[0:1], v3, off
.LBB15_711:
	s_mov_b32 s44, 0
.LBB15_712:
	s_and_b32 vcc_lo, exec_lo, s44
	s_cbranch_vccz .LBB15_715
; %bb.713:
	s_cmp_eq_u32 s23, 29
	s_mov_b32 s0, -1
	s_cbranch_scc0 .LBB15_715
; %bb.714:
	v_trunc_f32_e32 v3, v2
	s_mov_b32 s43, -1
	s_mov_b32 s0, 0
	s_mov_b32 s44, 0
	v_mul_f32_e32 v5, 0x2f800000, v3
	v_floor_f32_e32 v5, v5
	v_fmamk_f32 v3, v5, 0xcf800000, v3
	v_cvt_u32_f32_e32 v6, v5
	v_cvt_u32_f32_e32 v5, v3
	global_store_dwordx2 v[0:1], v[5:6], off
	s_branch .LBB15_716
.LBB15_715:
	s_mov_b32 s44, 0
.LBB15_716:
	s_and_b32 vcc_lo, exec_lo, s44
	s_cbranch_vccz .LBB15_732
; %bb.717:
	s_cmp_lt_i32 s23, 27
	s_mov_b32 s43, -1
	s_cbranch_scc1 .LBB15_723
; %bb.718:
	v_cvt_u32_f32_e32 v3, v2
	s_cmp_gt_i32 s23, 27
	s_cbranch_scc0 .LBB15_720
; %bb.719:
	s_mov_b32 s43, 0
	global_store_dword v[0:1], v3, off
.LBB15_720:
	s_andn2_b32 vcc_lo, exec_lo, s43
	s_cbranch_vccnz .LBB15_722
; %bb.721:
	global_store_short v[0:1], v3, off
.LBB15_722:
	s_mov_b32 s43, 0
.LBB15_723:
	s_andn2_b32 vcc_lo, exec_lo, s43
	s_cbranch_vccnz .LBB15_731
; %bb.724:
	v_and_b32_e32 v3, 0x7fffffff, v4
	v_mov_b32_e32 v5, 0x80
	s_mov_b32 s43, exec_lo
	v_cmpx_gt_u32_e32 0x43800000, v3
	s_cbranch_execz .LBB15_730
; %bb.725:
	v_cmp_lt_u32_e32 vcc_lo, 0x3bffffff, v3
	s_mov_b32 s44, 0
                                        ; implicit-def: $vgpr3
	s_and_saveexec_b32 s45, vcc_lo
	s_xor_b32 s45, exec_lo, s45
	s_cbranch_execz .LBB15_847
; %bb.726:
	v_bfe_u32 v3, v2, 20, 1
	s_mov_b32 s44, exec_lo
	v_add3_u32 v3, v2, v3, 0x487ffff
	v_lshrrev_b32_e32 v3, 20, v3
	s_andn2_saveexec_b32 s45, s45
	s_cbranch_execnz .LBB15_848
.LBB15_727:
	s_or_b32 exec_lo, exec_lo, s45
	v_mov_b32_e32 v5, 0
	s_and_saveexec_b32 s45, s44
.LBB15_728:
	v_lshrrev_b32_e32 v5, 24, v2
	v_and_or_b32 v5, 0x80, v5, v3
.LBB15_729:
	s_or_b32 exec_lo, exec_lo, s45
.LBB15_730:
	s_or_b32 exec_lo, exec_lo, s43
	global_store_byte v[0:1], v5, off
.LBB15_731:
	s_mov_b32 s43, -1
.LBB15_732:
	s_mov_b32 s44, 0
.LBB15_733:
	s_and_b32 vcc_lo, exec_lo, s44
	s_cbranch_vccz .LBB15_774
; %bb.734:
	s_cmp_gt_i32 s23, 22
	s_mov_b32 s44, -1
	s_cbranch_scc0 .LBB15_766
; %bb.735:
	s_cmp_lt_i32 s23, 24
	s_mov_b32 s43, -1
	s_cbranch_scc1 .LBB15_755
; %bb.736:
	s_cmp_gt_i32 s23, 24
	s_cbranch_scc0 .LBB15_744
; %bb.737:
	v_and_b32_e32 v3, 0x7fffffff, v4
	v_mov_b32_e32 v5, 0x80
	s_mov_b32 s43, exec_lo
	v_cmpx_gt_u32_e32 0x47800000, v3
	s_cbranch_execz .LBB15_743
; %bb.738:
	v_cmp_lt_u32_e32 vcc_lo, 0x37ffffff, v3
	s_mov_b32 s44, 0
                                        ; implicit-def: $vgpr3
	s_and_saveexec_b32 s45, vcc_lo
	s_xor_b32 s45, exec_lo, s45
	s_cbranch_execz .LBB15_850
; %bb.739:
	v_bfe_u32 v3, v2, 21, 1
	s_mov_b32 s44, exec_lo
	v_add3_u32 v3, v2, v3, 0x88fffff
	v_lshrrev_b32_e32 v3, 21, v3
	s_andn2_saveexec_b32 s45, s45
	s_cbranch_execnz .LBB15_851
.LBB15_740:
	s_or_b32 exec_lo, exec_lo, s45
	v_mov_b32_e32 v5, 0
	s_and_saveexec_b32 s45, s44
.LBB15_741:
	v_lshrrev_b32_e32 v5, 24, v2
	v_and_or_b32 v5, 0x80, v5, v3
.LBB15_742:
	s_or_b32 exec_lo, exec_lo, s45
.LBB15_743:
	s_or_b32 exec_lo, exec_lo, s43
	s_mov_b32 s43, 0
	global_store_byte v[0:1], v5, off
.LBB15_744:
	s_and_b32 vcc_lo, exec_lo, s43
	s_cbranch_vccz .LBB15_754
; %bb.745:
	v_and_b32_e32 v5, 0x7fffffff, v4
	s_mov_b32 s43, exec_lo
                                        ; implicit-def: $vgpr3
	v_cmpx_gt_u32_e32 0x43f00000, v5
	s_xor_b32 s43, exec_lo, s43
	s_cbranch_execz .LBB15_751
; %bb.746:
	s_mov_b32 s44, exec_lo
                                        ; implicit-def: $vgpr3
	v_cmpx_lt_u32_e32 0x3c7fffff, v5
	s_xor_b32 s44, exec_lo, s44
; %bb.747:
	v_bfe_u32 v3, v2, 20, 1
	v_add3_u32 v3, v2, v3, 0x407ffff
	v_and_b32_e32 v5, 0xff00000, v3
	v_lshrrev_b32_e32 v3, 20, v3
	v_cmp_ne_u32_e32 vcc_lo, 0x7f00000, v5
	v_cndmask_b32_e32 v3, 0x7e, v3, vcc_lo
; %bb.748:
	s_andn2_saveexec_b32 s44, s44
; %bb.749:
	v_add_f32_e64 v3, 0x46800000, |v4|
; %bb.750:
	s_or_b32 exec_lo, exec_lo, s44
                                        ; implicit-def: $vgpr5
.LBB15_751:
	s_andn2_saveexec_b32 s43, s43
; %bb.752:
	v_mov_b32_e32 v3, 0x7f
	v_cmp_lt_u32_e32 vcc_lo, 0x7f800000, v5
	v_cndmask_b32_e32 v3, 0x7e, v3, vcc_lo
; %bb.753:
	s_or_b32 exec_lo, exec_lo, s43
	v_lshrrev_b32_e32 v5, 24, v2
	v_and_or_b32 v3, 0x80, v5, v3
	global_store_byte v[0:1], v3, off
.LBB15_754:
	s_mov_b32 s43, 0
.LBB15_755:
	s_andn2_b32 vcc_lo, exec_lo, s43
	s_cbranch_vccnz .LBB15_765
; %bb.756:
	v_and_b32_e32 v5, 0x7fffffff, v4
	s_mov_b32 s43, exec_lo
                                        ; implicit-def: $vgpr3
	v_cmpx_gt_u32_e32 0x47800000, v5
	s_xor_b32 s43, exec_lo, s43
	s_cbranch_execz .LBB15_762
; %bb.757:
	s_mov_b32 s44, exec_lo
                                        ; implicit-def: $vgpr3
	v_cmpx_lt_u32_e32 0x387fffff, v5
	s_xor_b32 s44, exec_lo, s44
; %bb.758:
	v_bfe_u32 v3, v2, 21, 1
                                        ; implicit-def: $vgpr4
	v_add3_u32 v3, v2, v3, 0x80fffff
	v_lshrrev_b32_e32 v3, 21, v3
; %bb.759:
	s_andn2_saveexec_b32 s44, s44
; %bb.760:
	v_add_f32_e64 v3, 0x43000000, |v4|
; %bb.761:
	s_or_b32 exec_lo, exec_lo, s44
                                        ; implicit-def: $vgpr5
.LBB15_762:
	s_andn2_saveexec_b32 s43, s43
; %bb.763:
	v_mov_b32_e32 v3, 0x7f
	v_cmp_lt_u32_e32 vcc_lo, 0x7f800000, v5
	v_cndmask_b32_e32 v3, 0x7c, v3, vcc_lo
; %bb.764:
	s_or_b32 exec_lo, exec_lo, s43
	v_lshrrev_b32_e32 v4, 24, v2
	v_and_or_b32 v3, 0x80, v4, v3
	global_store_byte v[0:1], v3, off
.LBB15_765:
	s_mov_b32 s44, 0
	s_mov_b32 s43, -1
.LBB15_766:
	s_andn2_b32 vcc_lo, exec_lo, s44
	s_cbranch_vccnz .LBB15_774
; %bb.767:
	s_cmp_gt_i32 s23, 14
	s_mov_b32 s44, -1
	s_cbranch_scc0 .LBB15_771
; %bb.768:
	s_cmp_eq_u32 s23, 15
	s_mov_b32 s0, -1
	s_cbranch_scc0 .LBB15_770
; %bb.769:
	v_bfe_u32 v3, v2, 16, 1
	v_cmp_o_f32_e32 vcc_lo, v2, v2
	v_mov_b32_e32 v4, 0x7fc0
	s_mov_b32 s43, -1
	s_mov_b32 s0, 0
	v_add3_u32 v3, v2, v3, 0x7fff
	v_cndmask_b32_sdwa v3, v4, v3, vcc_lo dst_sel:DWORD dst_unused:UNUSED_PAD src0_sel:DWORD src1_sel:WORD_1
	global_store_short v[0:1], v3, off
.LBB15_770:
	s_mov_b32 s44, 0
.LBB15_771:
	s_and_b32 vcc_lo, exec_lo, s44
	s_cbranch_vccz .LBB15_774
; %bb.772:
	s_cmp_eq_u32 s23, 11
	s_mov_b32 s0, -1
	s_cbranch_scc0 .LBB15_774
; %bb.773:
	v_cmp_neq_f32_e32 vcc_lo, 0, v2
	s_mov_b32 s0, 0
	s_mov_b32 s43, -1
	v_cndmask_b32_e64 v3, 0, 1, vcc_lo
	global_store_byte v[0:1], v3, off
.LBB15_774:
	s_mov_b32 s23, 0
.LBB15_775:
	s_and_b32 vcc_lo, exec_lo, s23
	s_cbranch_vccz .LBB15_814
; %bb.776:
	s_and_b32 s22, 0xffff, s22
	s_mov_b32 s23, -1
	s_cmp_lt_i32 s22, 5
	s_cbranch_scc1 .LBB15_797
; %bb.777:
	s_cmp_lt_i32 s22, 8
	s_cbranch_scc1 .LBB15_787
; %bb.778:
	;; [unrolled: 3-line block ×3, first 2 shown]
	s_cmp_gt_i32 s22, 9
	s_cbranch_scc0 .LBB15_781
; %bb.780:
	v_cvt_f64_f32_e32 v[3:4], v2
	v_mov_b32_e32 v5, 0
	s_mov_b32 s23, 0
	v_mov_b32_e32 v6, v5
	global_store_dwordx4 v[0:1], v[3:6], off
.LBB15_781:
	s_andn2_b32 vcc_lo, exec_lo, s23
	s_cbranch_vccnz .LBB15_783
; %bb.782:
	v_mov_b32_e32 v3, 0
	global_store_dwordx2 v[0:1], v[2:3], off
.LBB15_783:
	s_mov_b32 s23, 0
.LBB15_784:
	s_andn2_b32 vcc_lo, exec_lo, s23
	s_cbranch_vccnz .LBB15_786
; %bb.785:
	v_cvt_f16_f32_e32 v3, v2
	v_and_b32_e32 v3, 0xffff, v3
	global_store_dword v[0:1], v3, off
.LBB15_786:
	s_mov_b32 s23, 0
.LBB15_787:
	s_andn2_b32 vcc_lo, exec_lo, s23
	s_cbranch_vccnz .LBB15_796
; %bb.788:
	s_cmp_lt_i32 s22, 6
	s_mov_b32 s23, -1
	s_cbranch_scc1 .LBB15_794
; %bb.789:
	s_cmp_gt_i32 s22, 6
	s_cbranch_scc0 .LBB15_791
; %bb.790:
	v_cvt_f64_f32_e32 v[3:4], v2
	s_mov_b32 s23, 0
	global_store_dwordx2 v[0:1], v[3:4], off
.LBB15_791:
	s_andn2_b32 vcc_lo, exec_lo, s23
	s_cbranch_vccnz .LBB15_793
; %bb.792:
	global_store_dword v[0:1], v2, off
.LBB15_793:
	s_mov_b32 s23, 0
.LBB15_794:
	s_andn2_b32 vcc_lo, exec_lo, s23
	s_cbranch_vccnz .LBB15_796
; %bb.795:
	v_cvt_f16_f32_e32 v3, v2
	global_store_short v[0:1], v3, off
.LBB15_796:
	s_mov_b32 s23, 0
.LBB15_797:
	s_andn2_b32 vcc_lo, exec_lo, s23
	s_cbranch_vccnz .LBB15_813
; %bb.798:
	s_cmp_lt_i32 s22, 2
	s_mov_b32 s23, -1
	s_cbranch_scc1 .LBB15_808
; %bb.799:
	s_cmp_lt_i32 s22, 3
	s_cbranch_scc1 .LBB15_805
; %bb.800:
	s_cmp_gt_i32 s22, 3
	s_cbranch_scc0 .LBB15_802
; %bb.801:
	v_trunc_f32_e32 v3, v2
	s_mov_b32 s23, 0
	v_mul_f32_e64 v4, 0x2f800000, |v3|
	v_ashrrev_i32_e32 v6, 31, v3
	v_floor_f32_e32 v4, v4
	v_fma_f32 v5, 0xcf800000, v4, |v3|
	v_cvt_u32_f32_e32 v4, v4
	v_cvt_u32_f32_e32 v3, v5
	v_xor_b32_e32 v4, v4, v6
	v_xor_b32_e32 v3, v3, v6
	v_sub_co_u32 v3, vcc_lo, v3, v6
	v_sub_co_ci_u32_e64 v4, null, v4, v6, vcc_lo
	global_store_dwordx2 v[0:1], v[3:4], off
.LBB15_802:
	s_andn2_b32 vcc_lo, exec_lo, s23
	s_cbranch_vccnz .LBB15_804
; %bb.803:
	v_cvt_i32_f32_e32 v3, v2
	global_store_dword v[0:1], v3, off
.LBB15_804:
	s_mov_b32 s23, 0
.LBB15_805:
	s_andn2_b32 vcc_lo, exec_lo, s23
	s_cbranch_vccnz .LBB15_807
; %bb.806:
	v_cvt_i32_f32_e32 v3, v2
	global_store_short v[0:1], v3, off
.LBB15_807:
	s_mov_b32 s23, 0
.LBB15_808:
	s_andn2_b32 vcc_lo, exec_lo, s23
	s_cbranch_vccnz .LBB15_813
; %bb.809:
	s_cmp_gt_i32 s22, 0
	s_mov_b32 s22, -1
	s_cbranch_scc0 .LBB15_811
; %bb.810:
	v_cvt_i32_f32_e32 v3, v2
	s_mov_b32 s22, 0
	global_store_byte v[0:1], v3, off
.LBB15_811:
	s_andn2_b32 vcc_lo, exec_lo, s22
	s_cbranch_vccnz .LBB15_813
; %bb.812:
	v_trunc_f32_e32 v2, v2
	v_mul_f32_e64 v3, 0x2f800000, |v2|
	v_floor_f32_e32 v3, v3
	v_fma_f32 v3, 0xcf800000, v3, |v2|
	v_ashrrev_i32_e32 v2, 31, v2
	v_cvt_u32_f32_e32 v3, v3
	v_xor_b32_e32 v3, v3, v2
	v_sub_nc_u32_e32 v2, v3, v2
	global_store_byte v[0:1], v2, off
.LBB15_813:
	s_mov_b32 s43, -1
.LBB15_814:
	s_andn2_b32 vcc_lo, exec_lo, s43
	s_cbranch_vccnz .LBB15_816
; %bb.815:
	v_add_nc_u32_e32 v8, 0x80, v8
	s_mov_b32 s43, -1
	s_branch .LBB15_818
.LBB15_816:
	s_mov_b32 s43, 0
.LBB15_817:
                                        ; implicit-def: $vgpr8
.LBB15_818:
	s_andn2_b32 s22, s40, exec_lo
	s_and_b32 s0, s0, exec_lo
	s_andn2_b32 s44, s39, exec_lo
	s_and_b32 s1, s1, exec_lo
	s_or_b32 s23, s22, s0
	s_or_b32 s22, s44, s1
	s_orn2_b32 s44, s43, exec_lo
.LBB15_819:
	s_or_b32 exec_lo, exec_lo, s42
	s_mov_b32 s0, 0
	s_mov_b32 s1, 0
	;; [unrolled: 1-line block ×3, first 2 shown]
                                        ; implicit-def: $vgpr1_vgpr2
                                        ; implicit-def: $vgpr0
                                        ; implicit-def: $vgpr4
	s_and_saveexec_b32 s42, s44
	s_cbranch_execz .LBB15_919
; %bb.820:
	v_cmp_gt_i32_e32 vcc_lo, s33, v8
	s_mov_b32 s45, s22
	s_mov_b32 s44, 0
                                        ; implicit-def: $vgpr1_vgpr2
                                        ; implicit-def: $vgpr0
                                        ; implicit-def: $vgpr4
	s_and_saveexec_b32 s33, vcc_lo
	s_cbranch_execz .LBB15_918
; %bb.821:
	s_andn2_b32 vcc_lo, exec_lo, s27
	s_cbranch_vccnz .LBB15_826
; %bb.822:
	s_andn2_b32 vcc_lo, exec_lo, s34
	s_cbranch_vccnz .LBB15_827
; %bb.823:
	s_add_i32 s35, s35, 1
	s_cmp_eq_u32 s25, 2
	s_cbranch_scc1 .LBB15_828
; %bb.824:
	v_mov_b32_e32 v2, 0
	v_mov_b32_e32 v0, 0
	v_mov_b32_e32 v1, v8
	s_and_b32 s34, s35, 28
	s_mov_b64 s[0:1], s[2:3]
.LBB15_825:                             ; =>This Inner Loop Header: Depth=1
	s_clause 0x1
	s_load_dwordx8 s[44:51], s[0:1], 0x4
	s_load_dwordx4 s[60:63], s[0:1], 0x24
	s_load_dwordx8 s[52:59], s[20:21], 0x0
	s_add_u32 s0, s0, 48
	s_addc_u32 s1, s1, 0
	s_add_i32 s43, s43, 4
	s_add_u32 s20, s20, 32
	s_addc_u32 s21, s21, 0
	s_cmp_eq_u32 s34, s43
	s_waitcnt vmcnt(0) lgkmcnt(0)
	v_mul_hi_u32 v3, s45, v1
	v_add_nc_u32_e32 v3, v1, v3
	v_lshrrev_b32_e32 v3, s46, v3
	v_mul_hi_u32 v4, s48, v3
	v_mul_lo_u32 v6, v3, s44
	v_add_nc_u32_e32 v4, v3, v4
	v_sub_nc_u32_e32 v1, v1, v6
	v_lshrrev_b32_e32 v4, s49, v4
	v_mul_lo_u32 v6, v1, s52
	v_mul_lo_u32 v9, v1, s53
	v_mul_hi_u32 v5, s51, v4
	v_add_nc_u32_e32 v5, v4, v5
	v_lshrrev_b32_e32 v5, s60, v5
	v_mul_hi_u32 v7, s62, v5
	v_mul_lo_u32 v10, v5, s50
	v_add_nc_u32_e32 v1, v5, v7
	v_mul_lo_u32 v7, v4, s47
	v_sub_nc_u32_e32 v4, v4, v10
	v_lshrrev_b32_e32 v1, s63, v1
	v_mul_lo_u32 v10, v4, s56
	v_mul_lo_u32 v4, v4, s57
	v_sub_nc_u32_e32 v3, v3, v7
	v_mul_lo_u32 v11, v1, s61
	v_mul_lo_u32 v7, v3, s54
	;; [unrolled: 1-line block ×3, first 2 shown]
	v_sub_nc_u32_e32 v5, v5, v11
	v_add3_u32 v0, v6, v0, v7
	v_mul_lo_u32 v11, v5, s58
	v_mul_lo_u32 v5, v5, s59
	v_add3_u32 v2, v9, v2, v3
	v_add3_u32 v0, v10, v0, v11
	;; [unrolled: 1-line block ×3, first 2 shown]
	s_cbranch_scc0 .LBB15_825
	s_branch .LBB15_829
.LBB15_826:
	s_mov_b32 s0, -1
                                        ; implicit-def: $vgpr0
                                        ; implicit-def: $vgpr2
	s_branch .LBB15_833
.LBB15_827:
	v_mov_b32_e32 v0, 0
	v_mov_b32_e32 v2, 0
	s_branch .LBB15_832
.LBB15_828:
	v_mov_b32_e32 v0, 0
	v_mov_b32_e32 v2, 0
	;; [unrolled: 1-line block ×3, first 2 shown]
	s_mov_b32 s34, 0
.LBB15_829:
	s_and_b32 s35, s35, 3
	s_cmp_eq_u32 s35, 0
	s_cbranch_scc1 .LBB15_832
; %bb.830:
	s_lshl_b32 s0, s34, 3
	s_mul_i32 s20, s34, 12
	s_add_u32 s0, s2, s0
	s_addc_u32 s1, s3, 0
	s_add_u32 s0, s0, 0xc4
	s_addc_u32 s1, s1, 0
	;; [unrolled: 2-line block ×3, first 2 shown]
.LBB15_831:                             ; =>This Inner Loop Header: Depth=1
	s_clause 0x1
	s_load_dwordx2 s[44:45], s[20:21], 0x4
	s_load_dword s34, s[20:21], 0xc
	s_load_dwordx2 s[46:47], s[0:1], 0x0
	s_add_u32 s20, s20, 12
	s_addc_u32 s21, s21, 0
	s_add_u32 s0, s0, 8
	s_addc_u32 s1, s1, 0
	s_add_i32 s35, s35, -1
	s_cmp_lg_u32 s35, 0
	s_waitcnt vmcnt(0) lgkmcnt(0)
	v_mul_hi_u32 v3, s45, v1
	v_add_nc_u32_e32 v3, v1, v3
	v_lshrrev_b32_e32 v4, s34, v3
	v_mul_lo_u32 v3, v4, s44
	v_sub_nc_u32_e32 v3, v1, v3
	v_mad_u64_u32 v[0:1], null, v3, s46, v[0:1]
	v_mad_u64_u32 v[2:3], null, v3, s47, v[2:3]
	v_mov_b32_e32 v1, v4
	s_cbranch_scc1 .LBB15_831
.LBB15_832:
	s_mov_b32 s0, 0
.LBB15_833:
	s_andn2_b32 vcc_lo, exec_lo, s0
	s_cbranch_vccnz .LBB15_836
; %bb.834:
	s_waitcnt lgkmcnt(0)
	v_mul_hi_u32 v0, s17, v8
	s_andn2_b32 vcc_lo, exec_lo, s31
	v_add_nc_u32_e32 v0, v8, v0
	v_lshrrev_b32_e32 v1, s18, v0
	v_mul_lo_u32 v0, v1, s16
	v_sub_nc_u32_e32 v2, v8, v0
	v_mul_lo_u32 v0, v2, s12
	v_mul_lo_u32 v2, v2, s13
	s_cbranch_vccnz .LBB15_836
; %bb.835:
	s_waitcnt vmcnt(0)
	v_mul_hi_u32 v3, s6, v1
	v_add_nc_u32_e32 v3, v1, v3
	v_lshrrev_b32_e32 v3, s7, v3
	v_mul_lo_u32 v3, v3, s19
	v_sub_nc_u32_e32 v3, v1, v3
	v_mad_u64_u32 v[0:1], null, v3, s14, v[0:1]
	v_mad_u64_u32 v[2:3], null, v3, s15, v[2:3]
.LBB15_836:
	s_waitcnt lgkmcnt(0)
	v_add_co_u32 v1, s0, s10, v2
	v_add_co_ci_u32_e64 v2, null, s11, 0, s0
	s_and_b32 s0, 0xffff, s30
	s_cmp_lt_i32 s0, 11
	s_cbranch_scc1 .LBB15_843
; %bb.837:
	s_cmp_gt_i32 s0, 25
	s_mov_b32 s6, 0
	s_cbranch_scc0 .LBB15_844
; %bb.838:
	s_cmp_gt_i32 s0, 28
	s_cbranch_scc0 .LBB15_845
; %bb.839:
	s_cmp_gt_i32 s0, 43
	;; [unrolled: 3-line block ×3, first 2 shown]
	s_cbranch_scc0 .LBB15_849
; %bb.841:
	s_cmp_eq_u32 s0, 46
	s_mov_b32 s10, 0
	s_cbranch_scc0 .LBB15_852
; %bb.842:
	global_load_dword v3, v[1:2], off
	s_mov_b32 s1, 0
	s_mov_b32 s7, -1
	s_waitcnt vmcnt(0)
	v_lshlrev_b32_e32 v4, 16, v3
	s_branch .LBB15_854
.LBB15_843:
	s_mov_b32 s0, -1
	s_mov_b32 s7, 0
	s_mov_b32 s6, 0
	;; [unrolled: 1-line block ×3, first 2 shown]
                                        ; implicit-def: $vgpr4
	s_branch .LBB15_917
.LBB15_844:
	s_mov_b32 s10, -1
	s_mov_b32 s7, 0
	s_mov_b32 s1, s22
                                        ; implicit-def: $vgpr4
	s_branch .LBB15_883
.LBB15_845:
	s_mov_b32 s10, -1
	s_mov_b32 s7, 0
	s_mov_b32 s1, s22
                                        ; implicit-def: $vgpr4
	s_branch .LBB15_864
.LBB15_846:
	s_mov_b32 s10, -1
	s_mov_b32 s7, 0
	s_mov_b32 s1, s22
                                        ; implicit-def: $vgpr4
	s_branch .LBB15_859
.LBB15_847:
	s_andn2_saveexec_b32 s45, s45
	s_cbranch_execz .LBB15_727
.LBB15_848:
	v_add_f32_e64 v3, 0x46000000, |v4|
	s_andn2_b32 s44, s44, exec_lo
	v_and_b32_e32 v3, 0xff, v3
	v_cmp_ne_u32_e32 vcc_lo, 0, v3
	s_and_b32 s46, vcc_lo, exec_lo
	s_or_b32 s44, s44, s46
	s_or_b32 exec_lo, exec_lo, s45
	v_mov_b32_e32 v5, 0
	s_and_saveexec_b32 s45, s44
	s_cbranch_execnz .LBB15_728
	s_branch .LBB15_729
.LBB15_849:
	s_mov_b32 s10, -1
	s_mov_b32 s7, 0
	s_mov_b32 s1, s22
	s_branch .LBB15_853
.LBB15_850:
	s_andn2_saveexec_b32 s45, s45
	s_cbranch_execz .LBB15_740
.LBB15_851:
	v_add_f32_e64 v3, 0x42800000, |v4|
	s_andn2_b32 s44, s44, exec_lo
	v_and_b32_e32 v3, 0xff, v3
	v_cmp_ne_u32_e32 vcc_lo, 0, v3
	s_and_b32 s46, vcc_lo, exec_lo
	s_or_b32 s44, s44, s46
	s_or_b32 exec_lo, exec_lo, s45
	v_mov_b32_e32 v5, 0
	s_and_saveexec_b32 s45, s44
	s_cbranch_execnz .LBB15_741
	s_branch .LBB15_742
.LBB15_852:
	s_mov_b32 s1, -1
	s_mov_b32 s7, 0
.LBB15_853:
                                        ; implicit-def: $vgpr4
.LBB15_854:
	s_and_b32 vcc_lo, exec_lo, s10
	s_cbranch_vccz .LBB15_858
; %bb.855:
	s_cmp_eq_u32 s0, 44
	s_cbranch_scc0 .LBB15_857
; %bb.856:
	global_load_ubyte v3, v[1:2], off
	s_mov_b32 s1, 0
	s_mov_b32 s7, -1
	s_waitcnt vmcnt(0)
	v_lshlrev_b32_e32 v4, 23, v3
	v_cmp_ne_u32_e32 vcc_lo, 0xff, v3
	v_cndmask_b32_e32 v4, 0x7f800001, v4, vcc_lo
	v_cmp_ne_u32_e32 vcc_lo, 0, v3
	v_cndmask_b32_e32 v4, 0x400000, v4, vcc_lo
	s_branch .LBB15_858
.LBB15_857:
	s_mov_b32 s1, -1
                                        ; implicit-def: $vgpr4
.LBB15_858:
	s_mov_b32 s10, 0
.LBB15_859:
	s_and_b32 vcc_lo, exec_lo, s10
	s_cbranch_vccz .LBB15_863
; %bb.860:
	s_cmp_eq_u32 s0, 29
	s_cbranch_scc0 .LBB15_862
; %bb.861:
	global_load_dwordx2 v[3:4], v[1:2], off
	s_mov_b32 s1, 0
	s_mov_b32 s7, -1
	s_mov_b32 s10, 0
	s_waitcnt vmcnt(0)
	v_ffbh_u32_e32 v5, v4
	v_min_u32_e32 v5, 32, v5
	v_lshlrev_b64 v[3:4], v5, v[3:4]
	v_min_u32_e32 v3, 1, v3
	v_or_b32_e32 v3, v4, v3
	v_sub_nc_u32_e32 v4, 32, v5
	v_cvt_f32_u32_e32 v3, v3
	v_ldexp_f32 v4, v3, v4
	s_branch .LBB15_864
.LBB15_862:
	s_mov_b32 s1, -1
                                        ; implicit-def: $vgpr4
.LBB15_863:
	s_mov_b32 s10, 0
.LBB15_864:
	s_and_b32 vcc_lo, exec_lo, s10
	s_cbranch_vccz .LBB15_882
; %bb.865:
	s_cmp_lt_i32 s0, 27
	s_cbranch_scc1 .LBB15_868
; %bb.866:
	s_cmp_gt_i32 s0, 27
	s_cbranch_scc0 .LBB15_869
; %bb.867:
	global_load_dword v3, v[1:2], off
	s_mov_b32 s7, 0
	s_waitcnt vmcnt(0)
	v_cvt_f32_u32_e32 v4, v3
	s_branch .LBB15_870
.LBB15_868:
	s_mov_b32 s7, -1
                                        ; implicit-def: $vgpr4
	s_branch .LBB15_873
.LBB15_869:
	s_mov_b32 s7, -1
                                        ; implicit-def: $vgpr4
.LBB15_870:
	s_andn2_b32 vcc_lo, exec_lo, s7
	s_cbranch_vccnz .LBB15_872
; %bb.871:
	global_load_ushort v3, v[1:2], off
	s_waitcnt vmcnt(0)
	v_cvt_f32_u32_e32 v4, v3
.LBB15_872:
	s_mov_b32 s7, 0
.LBB15_873:
	s_andn2_b32 vcc_lo, exec_lo, s7
	s_cbranch_vccnz .LBB15_881
; %bb.874:
	global_load_ubyte v3, v[1:2], off
	s_mov_b32 s7, 0
	s_mov_b32 s10, exec_lo
	s_waitcnt vmcnt(0)
	v_cmpx_lt_i16_e32 0x7f, v3
	s_xor_b32 s10, exec_lo, s10
	s_cbranch_execz .LBB15_895
; %bb.875:
	s_mov_b32 s7, -1
	s_mov_b32 s11, exec_lo
	v_cmpx_eq_u16_e32 0x80, v3
; %bb.876:
	s_xor_b32 s7, exec_lo, -1
; %bb.877:
	s_or_b32 exec_lo, exec_lo, s11
	s_and_b32 s7, s7, exec_lo
	s_or_saveexec_b32 s10, s10
	v_mov_b32_e32 v4, 0x7f800001
	s_xor_b32 exec_lo, exec_lo, s10
	s_cbranch_execnz .LBB15_896
.LBB15_878:
	s_or_b32 exec_lo, exec_lo, s10
	s_and_saveexec_b32 s10, s7
	s_cbranch_execz .LBB15_880
.LBB15_879:
	v_and_b32_e32 v4, 0xffff, v3
	v_lshlrev_b32_e32 v3, 24, v3
	v_and_b32_e32 v5, 7, v4
	v_bfe_u32 v8, v4, 3, 4
	v_and_b32_e32 v3, 0x80000000, v3
	v_ffbh_u32_e32 v6, v5
	v_cmp_eq_u32_e32 vcc_lo, 0, v8
	v_min_u32_e32 v6, 32, v6
	v_subrev_nc_u32_e32 v7, 28, v6
	v_sub_nc_u32_e32 v6, 29, v6
	v_lshlrev_b32_e32 v4, v7, v4
	v_cndmask_b32_e32 v6, v8, v6, vcc_lo
	v_and_b32_e32 v4, 7, v4
	v_cndmask_b32_e32 v4, v5, v4, vcc_lo
	v_lshl_add_u32 v5, v6, 23, 0x3b800000
	v_lshlrev_b32_e32 v4, 20, v4
	v_or3_b32 v4, v3, v5, v4
.LBB15_880:
	s_or_b32 exec_lo, exec_lo, s10
.LBB15_881:
	s_mov_b32 s7, -1
.LBB15_882:
	s_mov_b32 s10, 0
.LBB15_883:
	s_and_b32 vcc_lo, exec_lo, s10
	s_cbranch_vccz .LBB15_916
; %bb.884:
	s_cmp_gt_i32 s0, 22
	s_cbranch_scc0 .LBB15_894
; %bb.885:
	s_cmp_lt_i32 s0, 24
	s_cbranch_scc1 .LBB15_897
; %bb.886:
	s_cmp_gt_i32 s0, 24
	s_cbranch_scc0 .LBB15_898
; %bb.887:
	global_load_ubyte v3, v[1:2], off
	s_mov_b32 s7, exec_lo
	s_waitcnt vmcnt(0)
	v_cmpx_lt_i16_e32 0x7f, v3
	s_xor_b32 s7, exec_lo, s7
	s_cbranch_execz .LBB15_910
; %bb.888:
	s_mov_b32 s6, -1
	s_mov_b32 s10, exec_lo
	v_cmpx_eq_u16_e32 0x80, v3
; %bb.889:
	s_xor_b32 s6, exec_lo, -1
; %bb.890:
	s_or_b32 exec_lo, exec_lo, s10
	s_and_b32 s6, s6, exec_lo
	s_or_saveexec_b32 s7, s7
	v_mov_b32_e32 v4, 0x7f800001
	s_xor_b32 exec_lo, exec_lo, s7
	s_cbranch_execnz .LBB15_911
.LBB15_891:
	s_or_b32 exec_lo, exec_lo, s7
	s_and_saveexec_b32 s7, s6
	s_cbranch_execz .LBB15_893
.LBB15_892:
	v_and_b32_e32 v4, 0xffff, v3
	v_lshlrev_b32_e32 v3, 24, v3
	v_and_b32_e32 v5, 3, v4
	v_bfe_u32 v8, v4, 2, 5
	v_and_b32_e32 v3, 0x80000000, v3
	v_ffbh_u32_e32 v6, v5
	v_cmp_eq_u32_e32 vcc_lo, 0, v8
	v_min_u32_e32 v6, 32, v6
	v_subrev_nc_u32_e32 v7, 29, v6
	v_sub_nc_u32_e32 v6, 30, v6
	v_lshlrev_b32_e32 v4, v7, v4
	v_cndmask_b32_e32 v6, v8, v6, vcc_lo
	v_and_b32_e32 v4, 3, v4
	v_cndmask_b32_e32 v4, v5, v4, vcc_lo
	v_lshl_add_u32 v5, v6, 23, 0x37800000
	v_lshlrev_b32_e32 v4, 21, v4
	v_or3_b32 v4, v3, v5, v4
.LBB15_893:
	s_or_b32 exec_lo, exec_lo, s7
	s_mov_b32 s6, 0
	s_branch .LBB15_899
.LBB15_894:
	s_mov_b32 s6, -1
                                        ; implicit-def: $vgpr4
	s_branch .LBB15_905
.LBB15_895:
	s_or_saveexec_b32 s10, s10
	v_mov_b32_e32 v4, 0x7f800001
	s_xor_b32 exec_lo, exec_lo, s10
	s_cbranch_execz .LBB15_878
.LBB15_896:
	v_cmp_ne_u16_e32 vcc_lo, 0, v3
	v_mov_b32_e32 v4, 0
	s_andn2_b32 s7, s7, exec_lo
	s_and_b32 s11, vcc_lo, exec_lo
	s_or_b32 s7, s7, s11
	s_or_b32 exec_lo, exec_lo, s10
	s_and_saveexec_b32 s10, s7
	s_cbranch_execnz .LBB15_879
	s_branch .LBB15_880
.LBB15_897:
	s_mov_b32 s6, -1
                                        ; implicit-def: $vgpr4
	s_branch .LBB15_902
.LBB15_898:
	s_mov_b32 s6, -1
                                        ; implicit-def: $vgpr4
.LBB15_899:
	s_and_b32 vcc_lo, exec_lo, s6
	s_cbranch_vccz .LBB15_901
; %bb.900:
	global_load_ubyte v3, v[1:2], off
	s_waitcnt vmcnt(0)
	v_lshlrev_b32_e32 v3, 24, v3
	v_and_b32_e32 v4, 0x7f000000, v3
	v_ffbh_u32_e32 v5, v4
	v_add_nc_u32_e32 v7, 0x1000000, v4
	v_cmp_ne_u32_e32 vcc_lo, 0, v4
	v_min_u32_e32 v5, 32, v5
	v_sub_nc_u32_e64 v5, v5, 4 clamp
	v_lshlrev_b32_e32 v6, v5, v4
	v_lshlrev_b32_e32 v5, 23, v5
	v_lshrrev_b32_e32 v6, 4, v6
	v_sub_nc_u32_e32 v5, v6, v5
	v_ashrrev_i32_e32 v6, 8, v7
	v_add_nc_u32_e32 v5, 0x3c000000, v5
	v_and_or_b32 v5, 0x7f800000, v6, v5
	v_cndmask_b32_e32 v4, 0, v5, vcc_lo
	v_and_or_b32 v4, 0x80000000, v3, v4
.LBB15_901:
	s_mov_b32 s6, 0
.LBB15_902:
	s_andn2_b32 vcc_lo, exec_lo, s6
	s_cbranch_vccnz .LBB15_904
; %bb.903:
	global_load_ubyte v3, v[1:2], off
	s_waitcnt vmcnt(0)
	v_lshlrev_b32_e32 v4, 25, v3
	v_lshlrev_b16 v3, 8, v3
	v_lshrrev_b32_e32 v5, 4, v4
	v_and_or_b32 v6, 0x7f00, v3, 0.5
	v_cmp_gt_u32_e32 vcc_lo, 0x8000000, v4
	v_bfe_i32 v3, v3, 0, 16
	v_or_b32_e32 v5, 0x70000000, v5
	v_add_f32_e32 v6, -0.5, v6
	v_mul_f32_e32 v5, 0x7800000, v5
	v_cndmask_b32_e32 v4, v5, v6, vcc_lo
	v_and_or_b32 v4, 0x80000000, v3, v4
.LBB15_904:
	s_mov_b32 s6, 0
	s_mov_b32 s7, -1
.LBB15_905:
	s_andn2_b32 vcc_lo, exec_lo, s6
	s_mov_b32 s6, 0
	s_cbranch_vccnz .LBB15_916
; %bb.906:
	s_cmp_gt_i32 s0, 14
	s_cbranch_scc0 .LBB15_909
; %bb.907:
	s_cmp_eq_u32 s0, 15
	s_cbranch_scc0 .LBB15_912
; %bb.908:
	global_load_ushort v3, v[1:2], off
	s_mov_b32 s1, 0
	s_mov_b32 s7, -1
	s_waitcnt vmcnt(0)
	v_lshlrev_b32_e32 v4, 16, v3
	s_branch .LBB15_914
.LBB15_909:
	s_mov_b32 s6, -1
	s_branch .LBB15_913
.LBB15_910:
	s_or_saveexec_b32 s7, s7
	v_mov_b32_e32 v4, 0x7f800001
	s_xor_b32 exec_lo, exec_lo, s7
	s_cbranch_execz .LBB15_891
.LBB15_911:
	v_cmp_ne_u16_e32 vcc_lo, 0, v3
	v_mov_b32_e32 v4, 0
	s_andn2_b32 s6, s6, exec_lo
	s_and_b32 s10, vcc_lo, exec_lo
	s_or_b32 s6, s6, s10
	s_or_b32 exec_lo, exec_lo, s7
	s_and_saveexec_b32 s7, s6
	s_cbranch_execnz .LBB15_892
	s_branch .LBB15_893
.LBB15_912:
	s_mov_b32 s1, -1
.LBB15_913:
                                        ; implicit-def: $vgpr4
.LBB15_914:
	s_and_b32 vcc_lo, exec_lo, s6
	s_mov_b32 s6, 0
	s_cbranch_vccz .LBB15_916
; %bb.915:
	s_cmp_lg_u32 s0, 11
	s_mov_b32 s6, -1
	s_cselect_b32 s0, -1, 0
	s_andn2_b32 s1, s1, exec_lo
	s_and_b32 s0, s0, exec_lo
	s_or_b32 s1, s1, s0
.LBB15_916:
	s_mov_b32 s0, 0
.LBB15_917:
	s_and_b32 s43, s7, exec_lo
	s_andn2_b32 s7, s22, exec_lo
	s_and_b32 s1, s1, exec_lo
	s_and_b32 s44, s0, exec_lo
	;; [unrolled: 1-line block ×3, first 2 shown]
	s_or_b32 s45, s7, s1
.LBB15_918:
	s_or_b32 exec_lo, exec_lo, s33
	s_waitcnt lgkmcnt(0)
	s_andn2_b32 s6, s22, exec_lo
	s_and_b32 s7, s45, exec_lo
	s_and_b32 s43, s43, exec_lo
	;; [unrolled: 1-line block ×4, first 2 shown]
	s_or_b32 s22, s6, s7
.LBB15_919:
	s_or_b32 exec_lo, exec_lo, s42
	s_waitcnt lgkmcnt(0)
	s_andn2_b32 s6, s40, exec_lo
	s_and_b32 s7, s23, exec_lo
	s_and_b32 s42, s43, exec_lo
	s_or_b32 s40, s6, s7
	s_andn2_b32 s6, s39, exec_lo
	s_and_b32 s7, s22, exec_lo
	s_and_b32 s23, s1, exec_lo
	;; [unrolled: 1-line block ×3, first 2 shown]
	s_or_b32 s39, s6, s7
.LBB15_920:
	s_or_b32 exec_lo, exec_lo, s41
	s_andn2_b32 s0, s36, exec_lo
	s_waitcnt lgkmcnt(0)
	s_and_b32 s6, s40, exec_lo
	s_and_b32 s7, s39, exec_lo
	s_or_b32 s36, s0, s6
	s_andn2_b32 s6, s37, exec_lo
	s_and_b32 s0, s42, exec_lo
	s_and_b32 s22, s23, exec_lo
	;; [unrolled: 1-line block ×3, first 2 shown]
	s_or_b32 s37, s6, s7
	s_or_b32 exec_lo, exec_lo, s38
	s_mov_b32 s1, 0
	s_and_saveexec_b32 s6, s37
	s_cbranch_execz .LBB15_274
.LBB15_921:
	s_mov_b32 s1, exec_lo
	s_andn2_b32 s39, s39, exec_lo
	s_trap 2
	s_or_b32 exec_lo, exec_lo, s6
	s_and_saveexec_b32 s6, s39
	s_xor_b32 s6, exec_lo, s6
	s_cbranch_execnz .LBB15_275
.LBB15_922:
	s_or_b32 exec_lo, exec_lo, s6
	s_and_saveexec_b32 s6, s22
	s_cbranch_execz .LBB15_968
.LBB15_923:
	s_sext_i32_i16 s7, s30
	s_cmp_lt_i32 s7, 5
	s_cbranch_scc1 .LBB15_928
; %bb.924:
	s_cmp_lt_i32 s7, 8
	s_cbranch_scc1 .LBB15_929
; %bb.925:
	;; [unrolled: 3-line block ×3, first 2 shown]
	s_cmp_gt_i32 s7, 9
	s_cbranch_scc0 .LBB15_931
; %bb.927:
	global_load_dwordx2 v[3:4], v[1:2], off
	s_mov_b32 s7, 0
	s_waitcnt vmcnt(0)
	v_cvt_f32_f64_e32 v4, v[3:4]
	s_branch .LBB15_932
.LBB15_928:
                                        ; implicit-def: $vgpr4
	s_branch .LBB15_949
.LBB15_929:
                                        ; implicit-def: $vgpr4
	s_branch .LBB15_938
.LBB15_930:
	s_mov_b32 s7, -1
                                        ; implicit-def: $vgpr4
	s_branch .LBB15_935
.LBB15_931:
	s_mov_b32 s7, -1
                                        ; implicit-def: $vgpr4
.LBB15_932:
	s_andn2_b32 vcc_lo, exec_lo, s7
	s_cbranch_vccnz .LBB15_934
; %bb.933:
	global_load_dword v4, v[1:2], off
.LBB15_934:
	s_mov_b32 s7, 0
.LBB15_935:
	s_andn2_b32 vcc_lo, exec_lo, s7
	s_cbranch_vccnz .LBB15_937
; %bb.936:
	global_load_dword v3, v[1:2], off
	s_waitcnt vmcnt(0)
	v_cvt_f32_f16_e32 v4, v3
.LBB15_937:
	s_cbranch_execnz .LBB15_948
.LBB15_938:
	s_sext_i32_i16 s7, s30
	s_cmp_lt_i32 s7, 6
	s_cbranch_scc1 .LBB15_941
; %bb.939:
	s_cmp_gt_i32 s7, 6
	s_cbranch_scc0 .LBB15_942
; %bb.940:
	global_load_dwordx2 v[3:4], v[1:2], off
	s_mov_b32 s7, 0
	s_waitcnt vmcnt(0)
	v_cvt_f32_f64_e32 v4, v[3:4]
	s_branch .LBB15_943
.LBB15_941:
	s_mov_b32 s7, -1
                                        ; implicit-def: $vgpr4
	s_branch .LBB15_946
.LBB15_942:
	s_mov_b32 s7, -1
                                        ; implicit-def: $vgpr4
.LBB15_943:
	s_andn2_b32 vcc_lo, exec_lo, s7
	s_cbranch_vccnz .LBB15_945
; %bb.944:
	global_load_dword v4, v[1:2], off
.LBB15_945:
	s_mov_b32 s7, 0
.LBB15_946:
	s_andn2_b32 vcc_lo, exec_lo, s7
	s_cbranch_vccnz .LBB15_948
; %bb.947:
	global_load_ushort v3, v[1:2], off
	s_waitcnt vmcnt(0)
	v_cvt_f32_f16_e32 v4, v3
.LBB15_948:
	s_cbranch_execnz .LBB15_967
.LBB15_949:
	s_sext_i32_i16 s7, s30
	s_cmp_lt_i32 s7, 2
	s_cbranch_scc1 .LBB15_953
; %bb.950:
	s_cmp_lt_i32 s7, 3
	s_cbranch_scc1 .LBB15_954
; %bb.951:
	s_cmp_gt_i32 s7, 3
	s_cbranch_scc0 .LBB15_955
; %bb.952:
	global_load_dwordx2 v[3:4], v[1:2], off
	s_mov_b32 s7, 0
	s_waitcnt vmcnt(0)
	v_xor_b32_e32 v5, v3, v4
	v_ffbh_i32_e32 v6, v4
	v_ashrrev_i32_e32 v5, 31, v5
	v_add_nc_u32_e32 v6, -1, v6
	v_add_nc_u32_e32 v5, 32, v5
	v_min_u32_e32 v5, v6, v5
	v_lshlrev_b64 v[3:4], v5, v[3:4]
	v_min_u32_e32 v3, 1, v3
	v_or_b32_e32 v3, v4, v3
	v_sub_nc_u32_e32 v4, 32, v5
	v_cvt_f32_i32_e32 v3, v3
	v_ldexp_f32 v4, v3, v4
	s_branch .LBB15_956
.LBB15_953:
                                        ; implicit-def: $vgpr4
	s_branch .LBB15_962
.LBB15_954:
	s_mov_b32 s7, -1
                                        ; implicit-def: $vgpr4
	s_branch .LBB15_959
.LBB15_955:
	s_mov_b32 s7, -1
                                        ; implicit-def: $vgpr4
.LBB15_956:
	s_andn2_b32 vcc_lo, exec_lo, s7
	s_cbranch_vccnz .LBB15_958
; %bb.957:
	global_load_dword v3, v[1:2], off
	s_waitcnt vmcnt(0)
	v_cvt_f32_i32_e32 v4, v3
.LBB15_958:
	s_mov_b32 s7, 0
.LBB15_959:
	s_andn2_b32 vcc_lo, exec_lo, s7
	s_cbranch_vccnz .LBB15_961
; %bb.960:
	global_load_sshort v3, v[1:2], off
	s_waitcnt vmcnt(0)
	v_cvt_f32_i32_e32 v4, v3
.LBB15_961:
	s_cbranch_execnz .LBB15_967
.LBB15_962:
	s_sext_i32_i16 s7, s30
	s_cmp_gt_i32 s7, 0
	s_mov_b32 s7, 0
	s_cbranch_scc0 .LBB15_964
; %bb.963:
	global_load_sbyte v3, v[1:2], off
	s_waitcnt vmcnt(0)
	v_cvt_f32_i32_e32 v4, v3
	s_branch .LBB15_965
.LBB15_964:
	s_mov_b32 s7, -1
                                        ; implicit-def: $vgpr4
.LBB15_965:
	s_andn2_b32 vcc_lo, exec_lo, s7
	s_cbranch_vccnz .LBB15_967
; %bb.966:
	global_load_ubyte v1, v[1:2], off
	s_waitcnt vmcnt(0)
	v_cvt_f32_ubyte0_e32 v4, v1
.LBB15_967:
	s_or_b32 s0, s0, exec_lo
.LBB15_968:
	s_or_b32 exec_lo, exec_lo, s6
	s_mov_b32 s11, 0
	s_mov_b32 s10, 0
                                        ; implicit-def: $sgpr6
                                        ; implicit-def: $vgpr1_vgpr2
                                        ; implicit-def: $vgpr3
	s_and_saveexec_b32 s7, s0
	s_cbranch_execz .LBB15_976
; %bb.969:
	s_waitcnt vmcnt(0)
	v_rcp_f32_e64 v1, |v4|
	v_cmp_gt_f32_e64 vcc_lo, |v4|, 1.0
	s_mov_b32 s0, 0x3b2d2a58
	s_and_b32 s6, s29, 0xff
	s_cmp_lt_i32 s6, 11
	v_cndmask_b32_e64 v1, |v4|, v1, vcc_lo
	v_mul_f32_e32 v2, v1, v1
	v_fmaak_f32 v3, s0, v2, 0xbc7a590c
	v_fmaak_f32 v3, v2, v3, 0x3d29fb3f
	;; [unrolled: 1-line block ×7, first 2 shown]
	v_mul_f32_e32 v2, v2, v3
	v_fmac_f32_e32 v1, v1, v2
	v_sub_f32_e32 v2, 0x3fc90fdb, v1
	v_cndmask_b32_e32 v5, v1, v2, vcc_lo
	v_add_co_u32 v1, s0, s8, v0
	v_add_co_ci_u32_e64 v2, null, s9, 0, s0
	v_bfi_b32 v3, 0x7fffffff, v5, v4
	s_cbranch_scc1 .LBB15_979
; %bb.970:
	s_and_b32 s8, 0xffff, s6
	s_mov_b32 s9, -1
	s_cmp_gt_i32 s8, 25
	s_mov_b32 s0, s36
	s_cbranch_scc0 .LBB15_1007
; %bb.971:
	s_cmp_gt_i32 s8, 28
	s_mov_b32 s0, s36
	s_cbranch_scc0 .LBB15_991
; %bb.972:
	;; [unrolled: 4-line block ×4, first 2 shown]
	s_cmp_eq_u32 s8, 46
	s_mov_b32 s0, -1
	s_cbranch_scc0 .LBB15_980
; %bb.975:
	v_bfe_u32 v0, v3, 16, 1
	v_cmp_o_f32_e32 vcc_lo, v3, v3
	v_mov_b32_e32 v4, 0x7fc0
	s_mov_b32 s0, 0
	s_mov_b32 s9, 0
	v_add3_u32 v0, v3, v0, 0x7fff
	v_cndmask_b32_sdwa v0, v4, v0, vcc_lo dst_sel:DWORD dst_unused:UNUSED_PAD src0_sel:DWORD src1_sel:WORD_1
	global_store_dword v[1:2], v0, off
	s_branch .LBB15_981
.LBB15_976:
	s_or_b32 exec_lo, exec_lo, s7
	s_and_saveexec_b32 s0, s36
	s_cbranch_execnz .LBB15_1049
.LBB15_977:
	s_or_b32 exec_lo, exec_lo, s0
	s_and_saveexec_b32 s0, s11
	s_xor_b32 s0, exec_lo, s0
	s_cbranch_execz .LBB15_1050
.LBB15_978:
	s_waitcnt vmcnt(0)
	v_cmp_neq_f32_e32 vcc_lo, 0, v3
	v_cndmask_b32_e64 v0, 0, 1, vcc_lo
	global_store_byte v[1:2], v0, off
	s_or_b32 exec_lo, exec_lo, s0
	s_and_saveexec_b32 s0, s10
	s_xor_b32 s0, exec_lo, s0
	s_cbranch_execz .LBB15_1088
	s_branch .LBB15_1051
.LBB15_979:
	s_mov_b32 s9, -1
	s_mov_b32 s0, s36
	s_branch .LBB15_1048
.LBB15_980:
	s_mov_b32 s9, 0
.LBB15_981:
	s_and_b32 vcc_lo, exec_lo, s9
	s_cbranch_vccz .LBB15_986
; %bb.982:
	s_cmp_eq_u32 s8, 44
	s_mov_b32 s0, -1
	s_cbranch_scc0 .LBB15_986
; %bb.983:
	v_bfe_u32 v4, v3, 23, 8
	v_mov_b32_e32 v0, 0xff
	s_mov_b32 s9, exec_lo
	v_cmpx_ne_u32_e32 0xff, v4
	s_cbranch_execz .LBB15_985
; %bb.984:
	v_and_b32_e32 v0, 0x400000, v3
	v_and_or_b32 v4, 0x3fffff, v3, v4
	v_cmp_ne_u32_e32 vcc_lo, 0, v0
	v_cmp_ne_u32_e64 s0, 0, v4
	v_lshrrev_b32_e32 v0, 23, v3
	s_and_b32 s0, vcc_lo, s0
	v_cndmask_b32_e64 v4, 0, 1, s0
	v_add_nc_u32_e32 v0, v0, v4
.LBB15_985:
	s_or_b32 exec_lo, exec_lo, s9
	s_mov_b32 s0, 0
	global_store_byte v[1:2], v0, off
.LBB15_986:
	s_mov_b32 s9, 0
.LBB15_987:
	s_and_b32 vcc_lo, exec_lo, s9
	s_cbranch_vccz .LBB15_990
; %bb.988:
	s_cmp_eq_u32 s8, 29
	s_mov_b32 s0, -1
	s_cbranch_scc0 .LBB15_990
; %bb.989:
	v_trunc_f32_e32 v0, v3
	s_mov_b32 s0, 0
	s_mov_b32 s9, 0
	v_mul_f32_e32 v4, 0x2f800000, v0
	v_floor_f32_e32 v4, v4
	v_fmamk_f32 v0, v4, 0xcf800000, v0
	v_cvt_u32_f32_e32 v7, v4
	v_cvt_u32_f32_e32 v6, v0
	global_store_dwordx2 v[1:2], v[6:7], off
	s_branch .LBB15_991
.LBB15_990:
	s_mov_b32 s9, 0
.LBB15_991:
	s_and_b32 vcc_lo, exec_lo, s9
	s_cbranch_vccz .LBB15_1006
; %bb.992:
	s_cmp_lt_i32 s8, 27
	s_mov_b32 s9, -1
	s_cbranch_scc1 .LBB15_998
; %bb.993:
	s_cmp_gt_i32 s8, 27
	s_cbranch_scc0 .LBB15_995
; %bb.994:
	v_cvt_u32_f32_e32 v0, v3
	s_mov_b32 s9, 0
	global_store_dword v[1:2], v0, off
.LBB15_995:
	s_andn2_b32 vcc_lo, exec_lo, s9
	s_cbranch_vccnz .LBB15_997
; %bb.996:
	v_cvt_u32_f32_e32 v0, v3
	global_store_short v[1:2], v0, off
.LBB15_997:
	s_mov_b32 s9, 0
.LBB15_998:
	s_andn2_b32 vcc_lo, exec_lo, s9
	s_cbranch_vccnz .LBB15_1006
; %bb.999:
	v_and_b32_e32 v0, 0x7fffffff, v5
	v_mov_b32_e32 v4, 0x80
	s_mov_b32 s9, exec_lo
	v_cmpx_gt_u32_e32 0x43800000, v0
	s_cbranch_execz .LBB15_1005
; %bb.1000:
	v_cmp_lt_u32_e32 vcc_lo, 0x3bffffff, v0
                                        ; implicit-def: $vgpr0
	s_and_saveexec_b32 s11, vcc_lo
	s_xor_b32 s11, exec_lo, s11
	s_cbranch_execz .LBB15_1159
; %bb.1001:
	v_bfe_u32 v0, v3, 20, 1
	s_mov_b32 s10, exec_lo
	v_add3_u32 v0, v3, v0, 0x487ffff
	v_lshrrev_b32_e32 v0, 20, v0
	s_andn2_saveexec_b32 s11, s11
	s_cbranch_execnz .LBB15_1160
.LBB15_1002:
	s_or_b32 exec_lo, exec_lo, s11
	v_mov_b32_e32 v4, 0
	s_and_saveexec_b32 s11, s10
.LBB15_1003:
	v_lshrrev_b32_e32 v4, 24, v3
	v_and_or_b32 v4, 0x80, v4, v0
.LBB15_1004:
	s_or_b32 exec_lo, exec_lo, s11
.LBB15_1005:
	s_or_b32 exec_lo, exec_lo, s9
	global_store_byte v[1:2], v4, off
.LBB15_1006:
	s_mov_b32 s9, 0
.LBB15_1007:
	s_and_b32 vcc_lo, exec_lo, s9
	s_mov_b32 s9, 0
	s_cbranch_vccz .LBB15_1047
; %bb.1008:
	s_cmp_gt_i32 s8, 22
	s_mov_b32 s10, -1
	s_cbranch_scc0 .LBB15_1040
; %bb.1009:
	s_cmp_lt_i32 s8, 24
	s_cbranch_scc1 .LBB15_1029
; %bb.1010:
	s_cmp_gt_i32 s8, 24
	s_cbranch_scc0 .LBB15_1018
; %bb.1011:
	v_and_b32_e32 v0, 0x7fffffff, v5
	v_mov_b32_e32 v4, 0x80
	s_mov_b32 s10, exec_lo
	v_cmpx_gt_u32_e32 0x47800000, v0
	s_cbranch_execz .LBB15_1017
; %bb.1012:
	v_cmp_lt_u32_e32 vcc_lo, 0x37ffffff, v0
	s_mov_b32 s11, 0
                                        ; implicit-def: $vgpr0
	s_and_saveexec_b32 s12, vcc_lo
	s_xor_b32 s12, exec_lo, s12
	s_cbranch_execz .LBB15_1285
; %bb.1013:
	v_bfe_u32 v0, v3, 21, 1
	s_mov_b32 s11, exec_lo
	v_add3_u32 v0, v3, v0, 0x88fffff
	v_lshrrev_b32_e32 v0, 21, v0
	s_andn2_saveexec_b32 s12, s12
	s_cbranch_execnz .LBB15_1286
.LBB15_1014:
	s_or_b32 exec_lo, exec_lo, s12
	v_mov_b32_e32 v4, 0
	s_and_saveexec_b32 s12, s11
.LBB15_1015:
	v_lshrrev_b32_e32 v4, 24, v3
	v_and_or_b32 v4, 0x80, v4, v0
.LBB15_1016:
	s_or_b32 exec_lo, exec_lo, s12
.LBB15_1017:
	s_or_b32 exec_lo, exec_lo, s10
	s_mov_b32 s10, 0
	global_store_byte v[1:2], v4, off
.LBB15_1018:
	s_and_b32 vcc_lo, exec_lo, s10
	s_cbranch_vccz .LBB15_1028
; %bb.1019:
	v_and_b32_e32 v4, 0x7fffffff, v5
	s_mov_b32 s10, exec_lo
                                        ; implicit-def: $vgpr0
	v_cmpx_gt_u32_e32 0x43f00000, v4
	s_xor_b32 s10, exec_lo, s10
	s_cbranch_execz .LBB15_1025
; %bb.1020:
	s_mov_b32 s11, exec_lo
                                        ; implicit-def: $vgpr0
	v_cmpx_lt_u32_e32 0x3c7fffff, v4
	s_xor_b32 s11, exec_lo, s11
; %bb.1021:
	v_bfe_u32 v0, v3, 20, 1
	v_add3_u32 v0, v3, v0, 0x407ffff
	v_and_b32_e32 v4, 0xff00000, v0
	v_lshrrev_b32_e32 v0, 20, v0
	v_cmp_ne_u32_e32 vcc_lo, 0x7f00000, v4
	v_cndmask_b32_e32 v0, 0x7e, v0, vcc_lo
; %bb.1022:
	s_andn2_saveexec_b32 s11, s11
; %bb.1023:
	v_add_f32_e64 v0, 0x46800000, |v5|
; %bb.1024:
	s_or_b32 exec_lo, exec_lo, s11
                                        ; implicit-def: $vgpr4
.LBB15_1025:
	s_andn2_saveexec_b32 s10, s10
; %bb.1026:
	v_mov_b32_e32 v0, 0x7f
	v_cmp_lt_u32_e32 vcc_lo, 0x7f800000, v4
	v_cndmask_b32_e32 v0, 0x7e, v0, vcc_lo
; %bb.1027:
	s_or_b32 exec_lo, exec_lo, s10
	v_lshrrev_b32_e32 v4, 24, v3
	v_and_or_b32 v0, 0x80, v4, v0
	global_store_byte v[1:2], v0, off
.LBB15_1028:
	s_mov_b32 s10, 0
.LBB15_1029:
	s_andn2_b32 vcc_lo, exec_lo, s10
	s_cbranch_vccnz .LBB15_1039
; %bb.1030:
	v_and_b32_e32 v4, 0x7fffffff, v5
	s_mov_b32 s10, exec_lo
                                        ; implicit-def: $vgpr0
	v_cmpx_gt_u32_e32 0x47800000, v4
	s_xor_b32 s10, exec_lo, s10
	s_cbranch_execz .LBB15_1036
; %bb.1031:
	s_mov_b32 s11, exec_lo
                                        ; implicit-def: $vgpr0
	v_cmpx_lt_u32_e32 0x387fffff, v4
	s_xor_b32 s11, exec_lo, s11
; %bb.1032:
	v_bfe_u32 v0, v3, 21, 1
                                        ; implicit-def: $vgpr5
	v_add3_u32 v0, v3, v0, 0x80fffff
	v_lshrrev_b32_e32 v0, 21, v0
; %bb.1033:
	s_andn2_saveexec_b32 s11, s11
; %bb.1034:
	v_add_f32_e64 v0, 0x43000000, |v5|
; %bb.1035:
	s_or_b32 exec_lo, exec_lo, s11
                                        ; implicit-def: $vgpr4
.LBB15_1036:
	s_andn2_saveexec_b32 s10, s10
; %bb.1037:
	v_mov_b32_e32 v0, 0x7f
	v_cmp_lt_u32_e32 vcc_lo, 0x7f800000, v4
	v_cndmask_b32_e32 v0, 0x7c, v0, vcc_lo
; %bb.1038:
	s_or_b32 exec_lo, exec_lo, s10
	v_lshrrev_b32_e32 v4, 24, v3
	v_and_or_b32 v0, 0x80, v4, v0
	global_store_byte v[1:2], v0, off
.LBB15_1039:
	s_mov_b32 s10, 0
.LBB15_1040:
	s_andn2_b32 vcc_lo, exec_lo, s10
	s_mov_b32 s11, 0
	s_cbranch_vccnz .LBB15_1048
; %bb.1041:
	s_cmp_gt_i32 s8, 14
	s_mov_b32 s10, -1
	s_cbranch_scc0 .LBB15_1045
; %bb.1042:
	s_cmp_eq_u32 s8, 15
	s_mov_b32 s0, -1
	s_cbranch_scc0 .LBB15_1044
; %bb.1043:
	v_bfe_u32 v0, v3, 16, 1
	v_cmp_o_f32_e32 vcc_lo, v3, v3
	v_mov_b32_e32 v4, 0x7fc0
	s_mov_b32 s0, 0
	v_add3_u32 v0, v3, v0, 0x7fff
	v_cndmask_b32_sdwa v0, v4, v0, vcc_lo dst_sel:DWORD dst_unused:UNUSED_PAD src0_sel:DWORD src1_sel:WORD_1
	global_store_short v[1:2], v0, off
.LBB15_1044:
	s_mov_b32 s10, 0
.LBB15_1045:
	s_and_b32 vcc_lo, exec_lo, s10
	s_cbranch_vccz .LBB15_1048
; %bb.1046:
	s_cmp_lg_u32 s8, 11
	s_mov_b32 s11, -1
	s_cselect_b32 s8, -1, 0
	s_andn2_b32 s0, s0, exec_lo
	s_and_b32 s8, s8, exec_lo
	s_or_b32 s0, s0, s8
	s_branch .LBB15_1048
.LBB15_1047:
	s_mov_b32 s11, 0
.LBB15_1048:
	s_andn2_b32 s8, s36, exec_lo
	s_and_b32 s0, s0, exec_lo
	s_and_b32 s10, s9, exec_lo
	;; [unrolled: 1-line block ×3, first 2 shown]
	s_or_b32 s36, s8, s0
	s_or_b32 exec_lo, exec_lo, s7
	s_and_saveexec_b32 s0, s36
	s_cbranch_execz .LBB15_977
.LBB15_1049:
	s_or_b32 s1, s1, exec_lo
	s_andn2_b32 s11, s11, exec_lo
	s_trap 2
	s_or_b32 exec_lo, exec_lo, s0
	s_and_saveexec_b32 s0, s11
	s_xor_b32 s0, exec_lo, s0
	s_cbranch_execnz .LBB15_978
.LBB15_1050:
	s_or_b32 exec_lo, exec_lo, s0
	s_and_saveexec_b32 s0, s10
	s_xor_b32 s0, exec_lo, s0
	s_cbranch_execz .LBB15_1088
.LBB15_1051:
	s_sext_i32_i16 s8, s6
	s_mov_b32 s7, -1
	s_cmp_lt_i32 s8, 5
	s_cbranch_scc1 .LBB15_1072
; %bb.1052:
	s_cmp_lt_i32 s8, 8
	s_cbranch_scc1 .LBB15_1062
; %bb.1053:
	;; [unrolled: 3-line block ×3, first 2 shown]
	s_cmp_gt_i32 s8, 9
	s_cbranch_scc0 .LBB15_1056
; %bb.1055:
	s_waitcnt vmcnt(0)
	v_cvt_f64_f32_e32 v[4:5], v3
	v_mov_b32_e32 v6, 0
	s_mov_b32 s7, 0
	v_mov_b32_e32 v7, v6
	global_store_dwordx4 v[1:2], v[4:7], off
.LBB15_1056:
	s_andn2_b32 vcc_lo, exec_lo, s7
	s_cbranch_vccnz .LBB15_1058
; %bb.1057:
	s_waitcnt vmcnt(0)
	v_mov_b32_e32 v4, 0
	global_store_dwordx2 v[1:2], v[3:4], off
.LBB15_1058:
	s_mov_b32 s7, 0
.LBB15_1059:
	s_andn2_b32 vcc_lo, exec_lo, s7
	s_cbranch_vccnz .LBB15_1061
; %bb.1060:
	s_waitcnt vmcnt(0)
	v_cvt_f16_f32_e32 v0, v3
	v_and_b32_e32 v0, 0xffff, v0
	global_store_dword v[1:2], v0, off
.LBB15_1061:
	s_mov_b32 s7, 0
.LBB15_1062:
	s_andn2_b32 vcc_lo, exec_lo, s7
	s_cbranch_vccnz .LBB15_1071
; %bb.1063:
	s_sext_i32_i16 s8, s6
	s_mov_b32 s7, -1
	s_cmp_lt_i32 s8, 6
	s_cbranch_scc1 .LBB15_1069
; %bb.1064:
	s_cmp_gt_i32 s8, 6
	s_cbranch_scc0 .LBB15_1066
; %bb.1065:
	s_waitcnt vmcnt(0)
	v_cvt_f64_f32_e32 v[4:5], v3
	s_mov_b32 s7, 0
	global_store_dwordx2 v[1:2], v[4:5], off
.LBB15_1066:
	s_andn2_b32 vcc_lo, exec_lo, s7
	s_cbranch_vccnz .LBB15_1068
; %bb.1067:
	s_waitcnt vmcnt(0)
	global_store_dword v[1:2], v3, off
.LBB15_1068:
	s_mov_b32 s7, 0
.LBB15_1069:
	s_andn2_b32 vcc_lo, exec_lo, s7
	s_cbranch_vccnz .LBB15_1071
; %bb.1070:
	s_waitcnt vmcnt(0)
	v_cvt_f16_f32_e32 v0, v3
	global_store_short v[1:2], v0, off
.LBB15_1071:
	s_mov_b32 s7, 0
.LBB15_1072:
	s_andn2_b32 vcc_lo, exec_lo, s7
	s_cbranch_vccnz .LBB15_1088
; %bb.1073:
	s_sext_i32_i16 s8, s6
	s_mov_b32 s7, -1
	s_cmp_lt_i32 s8, 2
	s_cbranch_scc1 .LBB15_1083
; %bb.1074:
	s_cmp_lt_i32 s8, 3
	s_cbranch_scc1 .LBB15_1080
; %bb.1075:
	s_cmp_gt_i32 s8, 3
	s_cbranch_scc0 .LBB15_1077
; %bb.1076:
	s_waitcnt vmcnt(0)
	v_trunc_f32_e32 v0, v3
	s_mov_b32 s7, 0
	v_mul_f32_e64 v4, 0x2f800000, |v0|
	v_floor_f32_e32 v4, v4
	v_fma_f32 v5, 0xcf800000, v4, |v0|
	v_ashrrev_i32_e32 v0, 31, v0
	v_cvt_u32_f32_e32 v4, v4
	v_cvt_u32_f32_e32 v5, v5
	v_xor_b32_e32 v6, v4, v0
	v_xor_b32_e32 v5, v5, v0
	v_sub_co_u32 v4, vcc_lo, v5, v0
	v_sub_co_ci_u32_e64 v5, null, v6, v0, vcc_lo
	global_store_dwordx2 v[1:2], v[4:5], off
.LBB15_1077:
	s_andn2_b32 vcc_lo, exec_lo, s7
	s_cbranch_vccnz .LBB15_1079
; %bb.1078:
	s_waitcnt vmcnt(0)
	v_cvt_i32_f32_e32 v0, v3
	global_store_dword v[1:2], v0, off
.LBB15_1079:
	s_mov_b32 s7, 0
.LBB15_1080:
	s_andn2_b32 vcc_lo, exec_lo, s7
	s_cbranch_vccnz .LBB15_1082
; %bb.1081:
	s_waitcnt vmcnt(0)
	v_cvt_i32_f32_e32 v0, v3
	global_store_short v[1:2], v0, off
.LBB15_1082:
	s_mov_b32 s7, 0
.LBB15_1083:
	s_andn2_b32 vcc_lo, exec_lo, s7
	s_cbranch_vccnz .LBB15_1088
; %bb.1084:
	s_sext_i32_i16 s6, s6
	s_cmp_gt_i32 s6, 0
	s_mov_b32 s6, -1
	s_cbranch_scc0 .LBB15_1086
; %bb.1085:
	s_waitcnt vmcnt(0)
	v_cvt_i32_f32_e32 v0, v3
	s_mov_b32 s6, 0
	global_store_byte v[1:2], v0, off
.LBB15_1086:
	s_andn2_b32 vcc_lo, exec_lo, s6
	s_cbranch_vccnz .LBB15_1088
; %bb.1087:
	s_waitcnt vmcnt(0)
	v_trunc_f32_e32 v0, v3
	v_mul_f32_e64 v3, 0x2f800000, |v0|
	v_floor_f32_e32 v3, v3
	v_fma_f32 v3, 0xcf800000, v3, |v0|
	v_ashrrev_i32_e32 v0, 31, v0
	v_cvt_u32_f32_e32 v3, v3
	v_xor_b32_e32 v3, v3, v0
	v_sub_nc_u32_e32 v0, v3, v0
	global_store_byte v[1:2], v0, off
.LBB15_1088:
	s_or_b32 exec_lo, exec_lo, s0
	s_and_b32 s12, s1, exec_lo
                                        ; implicit-def: $vgpr15
                                        ; implicit-def: $vgpr8
.LBB15_1089:
	s_or_saveexec_b32 s13, s28
	s_mov_b32 s0, 0
                                        ; implicit-def: $vgpr0_vgpr1
                                        ; implicit-def: $sgpr6
                                        ; implicit-def: $vgpr2
	s_xor_b32 exec_lo, exec_lo, s13
	s_cbranch_execz .LBB15_2097
; %bb.1090:
	v_cndmask_b32_e64 v0, 0, 1, s27
	s_andn2_b32 vcc_lo, exec_lo, s27
	s_cbranch_vccnz .LBB15_1096
; %bb.1091:
	s_cmp_lg_u32 s24, 0
	s_mov_b32 s8, 0
	s_cbranch_scc0 .LBB15_1097
; %bb.1092:
	s_min_u32 s10, s25, 15
	s_add_i32 s10, s10, 1
	s_cmp_eq_u32 s25, 2
	s_cbranch_scc1 .LBB15_1098
; %bb.1093:
	v_mov_b32_e32 v13, 0
	v_mov_b32_e32 v6, 0
	v_mov_b32_e32 v1, v8
	s_and_b32 s9, s10, 28
	s_add_u32 s0, s2, 0xc4
	s_addc_u32 s1, s3, 0
	s_mov_b32 s11, 0
	s_mov_b64 s[6:7], s[2:3]
.LBB15_1094:                            ; =>This Inner Loop Header: Depth=1
	s_clause 0x1
	s_load_dwordx8 s[16:23], s[6:7], 0x4
	s_load_dwordx4 s[28:31], s[6:7], 0x24
	s_load_dwordx8 s[36:43], s[0:1], 0x0
	s_add_u32 s6, s6, 48
	s_addc_u32 s7, s7, 0
	s_add_i32 s11, s11, 4
	s_add_u32 s0, s0, 32
	s_addc_u32 s1, s1, 0
	s_cmp_lg_u32 s9, s11
	s_waitcnt lgkmcnt(0)
	v_mul_hi_u32 v2, s17, v1
	v_add_nc_u32_e32 v2, v1, v2
	v_lshrrev_b32_e32 v2, s18, v2
	s_waitcnt vmcnt(0)
	v_mul_hi_u32 v3, s20, v2
	v_mul_lo_u32 v5, v2, s16
	v_add_nc_u32_e32 v3, v2, v3
	v_sub_nc_u32_e32 v1, v1, v5
	v_lshrrev_b32_e32 v3, s21, v3
	v_mul_lo_u32 v5, v1, s36
	v_mul_lo_u32 v9, v1, s37
	v_mul_hi_u32 v4, s23, v3
	v_add_nc_u32_e32 v4, v3, v4
	v_lshrrev_b32_e32 v4, s28, v4
	v_mul_hi_u32 v7, s30, v4
	v_mul_lo_u32 v10, v4, s22
	v_add_nc_u32_e32 v1, v4, v7
	v_mul_lo_u32 v7, v3, s19
	v_sub_nc_u32_e32 v3, v3, v10
	v_lshrrev_b32_e32 v1, s31, v1
	v_mul_lo_u32 v10, v3, s40
	v_mul_lo_u32 v3, v3, s41
	v_sub_nc_u32_e32 v2, v2, v7
	v_mul_lo_u32 v11, v1, s29
	v_mul_lo_u32 v7, v2, s38
	;; [unrolled: 1-line block ×3, first 2 shown]
	v_sub_nc_u32_e32 v4, v4, v11
	v_add3_u32 v5, v5, v6, v7
	v_mul_lo_u32 v11, v4, s42
	v_mul_lo_u32 v4, v4, s43
	v_add3_u32 v2, v9, v13, v2
	v_add3_u32 v6, v10, v5, v11
	;; [unrolled: 1-line block ×3, first 2 shown]
	s_cbranch_scc1 .LBB15_1094
; %bb.1095:
	s_and_b32 s10, s10, 3
	s_cmp_eq_u32 s10, 0
	s_cbranch_scc0 .LBB15_1099
	s_branch .LBB15_1101
.LBB15_1096:
	s_mov_b32 s8, -1
                                        ; implicit-def: $vgpr6
                                        ; implicit-def: $vgpr13
	s_branch .LBB15_1101
.LBB15_1097:
	v_mov_b32_e32 v6, 0
	v_mov_b32_e32 v13, 0
	s_branch .LBB15_1101
.LBB15_1098:
	v_mov_b32_e32 v6, 0
	v_mov_b32_e32 v13, 0
	v_mov_b32_e32 v1, v8
	s_mov_b32 s9, 0
	s_and_b32 s10, s10, 3
	s_cmp_eq_u32 s10, 0
	s_cbranch_scc1 .LBB15_1101
.LBB15_1099:
	s_lshl_b32 s0, s9, 3
	s_mul_i32 s6, s9, 12
	s_add_u32 s0, s2, s0
	s_addc_u32 s1, s3, 0
	s_add_u32 s0, s0, 0xc4
	s_addc_u32 s1, s1, 0
	;; [unrolled: 2-line block ×3, first 2 shown]
	.p2align	6
.LBB15_1100:                            ; =>This Inner Loop Header: Depth=1
	s_clause 0x1
	s_load_dwordx2 s[14:15], s[6:7], 0x4
	s_load_dword s9, s[6:7], 0xc
	s_load_dwordx2 s[16:17], s[0:1], 0x0
	s_add_u32 s6, s6, 12
	s_addc_u32 s7, s7, 0
	s_add_u32 s0, s0, 8
	s_addc_u32 s1, s1, 0
	s_add_i32 s10, s10, -1
	s_cmp_lg_u32 s10, 0
	s_waitcnt lgkmcnt(0)
	v_mul_hi_u32 v2, s15, v1
	v_add_nc_u32_e32 v2, v1, v2
	v_lshrrev_b32_e32 v2, s9, v2
	s_waitcnt vmcnt(0)
	v_mul_lo_u32 v3, v2, s14
	v_sub_nc_u32_e32 v1, v1, v3
	v_mad_u64_u32 v[6:7], null, v1, s16, v[6:7]
	v_mad_u64_u32 v[13:14], null, v1, s17, v[13:14]
	v_mov_b32_e32 v1, v2
	s_cbranch_scc1 .LBB15_1100
.LBB15_1101:
	s_andn2_b32 vcc_lo, exec_lo, s8
	s_cbranch_vccnz .LBB15_1104
; %bb.1102:
	s_clause 0x1
	s_load_dwordx4 s[8:11], s[2:3], 0x4
	s_load_dwordx2 s[0:1], s[2:3], 0xc4
	s_cmp_lt_u32 s24, 2
	s_waitcnt lgkmcnt(0)
	v_mul_hi_u32 v1, s9, v8
	v_add_nc_u32_e32 v1, v8, v1
	v_lshrrev_b32_e32 v1, s10, v1
	v_mul_lo_u32 v2, v1, s8
	v_sub_nc_u32_e32 v2, v8, v2
	v_mul_lo_u32 v6, v2, s0
	v_mul_lo_u32 v13, v2, s1
	s_cbranch_scc1 .LBB15_1104
; %bb.1103:
	s_clause 0x1
	s_load_dwordx4 s[8:11], s[2:3], 0x10
	s_load_dwordx2 s[0:1], s[2:3], 0xcc
	s_waitcnt lgkmcnt(0)
	v_mul_hi_u32 v2, s9, v1
	v_add_nc_u32_e32 v2, v1, v2
	v_lshrrev_b32_e32 v2, s10, v2
	v_mul_lo_u32 v2, v2, s8
	v_sub_nc_u32_e32 v1, v1, v2
	v_mad_u64_u32 v[6:7], null, v1, s0, v[6:7]
	v_mad_u64_u32 v[13:14], null, v1, s1, v[13:14]
.LBB15_1104:
	v_cmp_ne_u32_e32 vcc_lo, 1, v0
	v_add_nc_u32_e32 v1, 0x80, v8
	s_cbranch_vccnz .LBB15_1110
; %bb.1105:
	s_cmp_lg_u32 s24, 0
	s_mov_b32 s8, 0
	s_cbranch_scc0 .LBB15_1111
; %bb.1106:
	s_min_u32 s10, s25, 15
	s_add_i32 s10, s10, 1
	s_cmp_eq_u32 s25, 2
	s_cbranch_scc1 .LBB15_1112
; %bb.1107:
	v_mov_b32_e32 v11, 0
	s_waitcnt vmcnt(0)
	v_mov_b32_e32 v4, 0
	v_mov_b32_e32 v2, v1
	s_and_b32 s9, s10, 28
	s_add_u32 s0, s2, 0xc4
	s_addc_u32 s1, s3, 0
	s_mov_b32 s11, 0
	s_mov_b64 s[6:7], s[2:3]
.LBB15_1108:                            ; =>This Inner Loop Header: Depth=1
	s_clause 0x1
	s_load_dwordx8 s[16:23], s[6:7], 0x4
	s_load_dwordx4 s[28:31], s[6:7], 0x24
	s_load_dwordx8 s[36:43], s[0:1], 0x0
	s_add_u32 s6, s6, 48
	s_addc_u32 s7, s7, 0
	s_add_i32 s11, s11, 4
	s_add_u32 s0, s0, 32
	s_addc_u32 s1, s1, 0
	s_cmp_lg_u32 s9, s11
	s_waitcnt lgkmcnt(0)
	v_mul_hi_u32 v3, s17, v2
	v_add_nc_u32_e32 v3, v2, v3
	v_lshrrev_b32_e32 v3, s18, v3
	v_mul_hi_u32 v5, s20, v3
	v_mul_lo_u32 v9, v3, s16
	v_add_nc_u32_e32 v5, v3, v5
	v_sub_nc_u32_e32 v2, v2, v9
	v_lshrrev_b32_e32 v5, s21, v5
	v_mul_lo_u32 v9, v2, s36
	v_mul_lo_u32 v12, v2, s37
	v_mul_hi_u32 v7, s23, v5
	v_add_nc_u32_e32 v7, v5, v7
	v_lshrrev_b32_e32 v7, s28, v7
	v_mul_hi_u32 v10, s30, v7
	v_mul_lo_u32 v14, v7, s22
	v_add_nc_u32_e32 v2, v7, v10
	v_mul_lo_u32 v10, v5, s19
	v_sub_nc_u32_e32 v5, v5, v14
	v_lshrrev_b32_e32 v2, s31, v2
	v_mul_lo_u32 v14, v5, s40
	v_mul_lo_u32 v5, v5, s41
	v_sub_nc_u32_e32 v3, v3, v10
	v_mul_lo_u32 v16, v2, s29
	v_mul_lo_u32 v10, v3, s38
	;; [unrolled: 1-line block ×3, first 2 shown]
	v_sub_nc_u32_e32 v7, v7, v16
	v_add3_u32 v4, v9, v4, v10
	v_mul_lo_u32 v16, v7, s42
	v_mul_lo_u32 v7, v7, s43
	v_add3_u32 v3, v12, v11, v3
	v_add3_u32 v4, v14, v4, v16
	;; [unrolled: 1-line block ×3, first 2 shown]
	s_cbranch_scc1 .LBB15_1108
; %bb.1109:
	s_and_b32 s10, s10, 3
	s_cmp_eq_u32 s10, 0
	s_cbranch_scc0 .LBB15_1113
	s_branch .LBB15_1115
.LBB15_1110:
	s_mov_b32 s8, -1
                                        ; implicit-def: $vgpr4
                                        ; implicit-def: $vgpr11
	s_branch .LBB15_1115
.LBB15_1111:
	s_waitcnt vmcnt(0)
	v_mov_b32_e32 v4, 0
	v_mov_b32_e32 v11, 0
	s_branch .LBB15_1115
.LBB15_1112:
	s_waitcnt vmcnt(0)
	v_mov_b32_e32 v4, 0
	v_mov_b32_e32 v11, 0
	;; [unrolled: 1-line block ×3, first 2 shown]
	s_mov_b32 s9, 0
	s_and_b32 s10, s10, 3
	s_cmp_eq_u32 s10, 0
	s_cbranch_scc1 .LBB15_1115
.LBB15_1113:
	s_lshl_b32 s0, s9, 3
	s_mul_i32 s6, s9, 12
	s_add_u32 s0, s2, s0
	s_addc_u32 s1, s3, 0
	s_add_u32 s0, s0, 0xc4
	s_addc_u32 s1, s1, 0
	;; [unrolled: 2-line block ×3, first 2 shown]
	.p2align	6
.LBB15_1114:                            ; =>This Inner Loop Header: Depth=1
	s_clause 0x1
	s_load_dwordx2 s[14:15], s[6:7], 0x4
	s_load_dword s9, s[6:7], 0xc
	s_load_dwordx2 s[16:17], s[0:1], 0x0
	s_add_u32 s6, s6, 12
	s_addc_u32 s7, s7, 0
	s_add_u32 s0, s0, 8
	s_addc_u32 s1, s1, 0
	s_add_i32 s10, s10, -1
	s_cmp_lg_u32 s10, 0
	s_waitcnt lgkmcnt(0)
	v_mul_hi_u32 v3, s15, v2
	v_add_nc_u32_e32 v3, v2, v3
	v_lshrrev_b32_e32 v3, s9, v3
	v_mul_lo_u32 v5, v3, s14
	v_sub_nc_u32_e32 v2, v2, v5
	v_mad_u64_u32 v[4:5], null, v2, s16, v[4:5]
	v_mad_u64_u32 v[11:12], null, v2, s17, v[11:12]
	v_mov_b32_e32 v2, v3
	s_cbranch_scc1 .LBB15_1114
.LBB15_1115:
	s_andn2_b32 vcc_lo, exec_lo, s8
	s_cbranch_vccnz .LBB15_1118
; %bb.1116:
	s_clause 0x1
	s_load_dwordx4 s[8:11], s[2:3], 0x4
	s_load_dwordx2 s[0:1], s[2:3], 0xc4
	s_cmp_lt_u32 s24, 2
	s_waitcnt lgkmcnt(0)
	v_mul_hi_u32 v2, s9, v1
	v_add_nc_u32_e32 v2, v1, v2
	v_lshrrev_b32_e32 v2, s10, v2
	s_waitcnt vmcnt(0)
	v_mul_lo_u32 v3, v2, s8
	v_sub_nc_u32_e32 v1, v1, v3
	v_mul_lo_u32 v4, v1, s0
	v_mul_lo_u32 v11, v1, s1
	s_cbranch_scc1 .LBB15_1118
; %bb.1117:
	s_clause 0x1
	s_load_dwordx4 s[8:11], s[2:3], 0x10
	s_load_dwordx2 s[0:1], s[2:3], 0xcc
	s_waitcnt lgkmcnt(0)
	v_mul_hi_u32 v1, s9, v2
	v_add_nc_u32_e32 v1, v2, v1
	v_lshrrev_b32_e32 v1, s10, v1
	v_mul_lo_u32 v1, v1, s8
	v_sub_nc_u32_e32 v1, v2, v1
	v_mad_u64_u32 v[4:5], null, v1, s0, v[4:5]
	v_mad_u64_u32 v[11:12], null, v1, s1, v[11:12]
.LBB15_1118:
	v_cmp_ne_u32_e32 vcc_lo, 1, v0
	v_add_nc_u32_e32 v1, 0x100, v8
	s_cbranch_vccnz .LBB15_1124
; %bb.1119:
	s_cmp_lg_u32 s24, 0
	s_mov_b32 s8, 0
	s_cbranch_scc0 .LBB15_1125
; %bb.1120:
	s_min_u32 s10, s25, 15
	s_add_i32 s10, s10, 1
	s_cmp_eq_u32 s25, 2
	s_cbranch_scc1 .LBB15_1126
; %bb.1121:
	v_mov_b32_e32 v9, 0
	v_mov_b32_e32 v2, 0
	s_waitcnt vmcnt(0)
	v_mov_b32_e32 v3, v1
	s_and_b32 s9, s10, 28
	s_add_u32 s0, s2, 0xc4
	s_addc_u32 s1, s3, 0
	s_mov_b32 s11, 0
	s_mov_b64 s[6:7], s[2:3]
.LBB15_1122:                            ; =>This Inner Loop Header: Depth=1
	s_clause 0x1
	s_load_dwordx8 s[16:23], s[6:7], 0x4
	s_load_dwordx4 s[28:31], s[6:7], 0x24
	s_load_dwordx8 s[36:43], s[0:1], 0x0
	s_add_u32 s6, s6, 48
	s_addc_u32 s7, s7, 0
	s_add_i32 s11, s11, 4
	s_add_u32 s0, s0, 32
	s_addc_u32 s1, s1, 0
	s_cmp_lg_u32 s9, s11
	s_waitcnt lgkmcnt(0)
	v_mul_hi_u32 v5, s17, v3
	v_add_nc_u32_e32 v5, v3, v5
	v_lshrrev_b32_e32 v5, s18, v5
	v_mul_hi_u32 v7, s20, v5
	v_mul_lo_u32 v10, v5, s16
	v_add_nc_u32_e32 v7, v5, v7
	v_sub_nc_u32_e32 v3, v3, v10
	v_lshrrev_b32_e32 v7, s21, v7
	v_mul_lo_u32 v10, v3, s36
	v_mul_lo_u32 v14, v3, s37
	v_mul_hi_u32 v8, s23, v7
	v_add_nc_u32_e32 v8, v7, v8
	v_lshrrev_b32_e32 v8, s28, v8
	v_mul_hi_u32 v12, s30, v8
	v_mul_lo_u32 v16, v8, s22
	v_add_nc_u32_e32 v3, v8, v12
	v_mul_lo_u32 v12, v7, s19
	v_sub_nc_u32_e32 v7, v7, v16
	v_lshrrev_b32_e32 v3, s31, v3
	v_mul_lo_u32 v16, v7, s40
	v_mul_lo_u32 v7, v7, s41
	v_sub_nc_u32_e32 v5, v5, v12
	v_mul_lo_u32 v17, v3, s29
	v_mul_lo_u32 v12, v5, s38
	v_mul_lo_u32 v5, v5, s39
	v_sub_nc_u32_e32 v8, v8, v17
	v_add3_u32 v2, v10, v2, v12
	v_mul_lo_u32 v17, v8, s42
	v_mul_lo_u32 v8, v8, s43
	v_add3_u32 v5, v14, v9, v5
	v_add3_u32 v2, v16, v2, v17
	v_add3_u32 v9, v7, v5, v8
	s_cbranch_scc1 .LBB15_1122
; %bb.1123:
	s_and_b32 s10, s10, 3
	s_cmp_eq_u32 s10, 0
	s_cbranch_scc0 .LBB15_1127
	s_branch .LBB15_1129
.LBB15_1124:
	s_mov_b32 s8, -1
                                        ; implicit-def: $vgpr2
                                        ; implicit-def: $vgpr9
	s_branch .LBB15_1129
.LBB15_1125:
	v_mov_b32_e32 v2, 0
	v_mov_b32_e32 v9, 0
	s_branch .LBB15_1129
.LBB15_1126:
	v_mov_b32_e32 v2, 0
	v_mov_b32_e32 v9, 0
	s_waitcnt vmcnt(0)
	v_mov_b32_e32 v3, v1
	s_mov_b32 s9, 0
	s_and_b32 s10, s10, 3
	s_cmp_eq_u32 s10, 0
	s_cbranch_scc1 .LBB15_1129
.LBB15_1127:
	s_lshl_b32 s0, s9, 3
	s_mul_i32 s6, s9, 12
	s_add_u32 s0, s2, s0
	s_addc_u32 s1, s3, 0
	s_add_u32 s0, s0, 0xc4
	s_addc_u32 s1, s1, 0
	;; [unrolled: 2-line block ×3, first 2 shown]
	.p2align	6
.LBB15_1128:                            ; =>This Inner Loop Header: Depth=1
	s_clause 0x1
	s_load_dwordx2 s[14:15], s[6:7], 0x4
	s_load_dword s9, s[6:7], 0xc
	s_load_dwordx2 s[16:17], s[0:1], 0x0
	s_add_u32 s6, s6, 12
	s_addc_u32 s7, s7, 0
	s_add_u32 s0, s0, 8
	s_addc_u32 s1, s1, 0
	s_add_i32 s10, s10, -1
	s_cmp_lg_u32 s10, 0
	s_waitcnt lgkmcnt(0)
	v_mul_hi_u32 v5, s15, v3
	v_add_nc_u32_e32 v5, v3, v5
	v_lshrrev_b32_e32 v5, s9, v5
	v_mul_lo_u32 v7, v5, s14
	v_sub_nc_u32_e32 v7, v3, v7
	v_mad_u64_u32 v[2:3], null, v7, s16, v[2:3]
	v_mad_u64_u32 v[9:10], null, v7, s17, v[9:10]
	v_mov_b32_e32 v3, v5
	s_cbranch_scc1 .LBB15_1128
.LBB15_1129:
	s_andn2_b32 vcc_lo, exec_lo, s8
	s_cbranch_vccnz .LBB15_1132
; %bb.1130:
	s_clause 0x1
	s_load_dwordx4 s[8:11], s[2:3], 0x4
	s_load_dwordx2 s[0:1], s[2:3], 0xc4
	s_cmp_lt_u32 s24, 2
	s_waitcnt lgkmcnt(0)
	v_mul_hi_u32 v2, s9, v1
	v_add_nc_u32_e32 v2, v1, v2
	s_waitcnt vmcnt(0)
	v_lshrrev_b32_e32 v3, s10, v2
	v_mul_lo_u32 v2, v3, s8
	v_sub_nc_u32_e32 v1, v1, v2
	v_mul_lo_u32 v2, v1, s0
	v_mul_lo_u32 v9, v1, s1
	s_cbranch_scc1 .LBB15_1132
; %bb.1131:
	s_clause 0x1
	s_load_dwordx4 s[8:11], s[2:3], 0x10
	s_load_dwordx2 s[0:1], s[2:3], 0xcc
	s_waitcnt lgkmcnt(0)
	v_mul_hi_u32 v1, s9, v3
	v_add_nc_u32_e32 v1, v3, v1
	v_lshrrev_b32_e32 v1, s10, v1
	v_mul_lo_u32 v1, v1, s8
	v_sub_nc_u32_e32 v1, v3, v1
	v_mad_u64_u32 v[2:3], null, v1, s0, v[2:3]
	v_mad_u64_u32 v[9:10], null, v1, s1, v[9:10]
.LBB15_1132:
	v_cmp_ne_u32_e32 vcc_lo, 1, v0
	s_cbranch_vccnz .LBB15_1138
; %bb.1133:
	s_cmp_lg_u32 s24, 0
	s_mov_b32 s8, 0
	s_cbranch_scc0 .LBB15_1139
; %bb.1134:
	s_min_u32 s10, s25, 15
	s_add_i32 s10, s10, 1
	s_cmp_eq_u32 s25, 2
	s_cbranch_scc1 .LBB15_1140
; %bb.1135:
	v_mov_b32_e32 v7, 0
	v_mov_b32_e32 v0, 0
	;; [unrolled: 1-line block ×3, first 2 shown]
	s_and_b32 s9, s10, 28
	s_add_u32 s0, s2, 0xc4
	s_addc_u32 s1, s3, 0
	s_mov_b32 s11, 0
	s_mov_b64 s[6:7], s[2:3]
.LBB15_1136:                            ; =>This Inner Loop Header: Depth=1
	s_clause 0x1
	s_load_dwordx8 s[16:23], s[6:7], 0x4
	s_load_dwordx4 s[28:31], s[6:7], 0x24
	s_load_dwordx8 s[36:43], s[0:1], 0x0
	s_add_u32 s6, s6, 48
	s_addc_u32 s7, s7, 0
	s_add_i32 s11, s11, 4
	s_add_u32 s0, s0, 32
	s_addc_u32 s1, s1, 0
	s_cmp_lg_u32 s9, s11
	s_waitcnt vmcnt(0) lgkmcnt(0)
	v_mul_hi_u32 v3, s17, v1
	v_add_nc_u32_e32 v3, v1, v3
	v_lshrrev_b32_e32 v3, s18, v3
	v_mul_hi_u32 v5, s20, v3
	v_mul_lo_u32 v10, v3, s16
	v_add_nc_u32_e32 v5, v3, v5
	v_sub_nc_u32_e32 v1, v1, v10
	v_lshrrev_b32_e32 v5, s21, v5
	v_mul_lo_u32 v10, v1, s36
	v_mul_lo_u32 v14, v1, s37
	v_mul_hi_u32 v8, s23, v5
	v_add_nc_u32_e32 v8, v5, v8
	v_lshrrev_b32_e32 v8, s28, v8
	v_mul_hi_u32 v12, s30, v8
	v_mul_lo_u32 v16, v8, s22
	v_add_nc_u32_e32 v1, v8, v12
	v_mul_lo_u32 v12, v5, s19
	v_sub_nc_u32_e32 v5, v5, v16
	v_lshrrev_b32_e32 v1, s31, v1
	v_mul_lo_u32 v16, v5, s40
	v_mul_lo_u32 v5, v5, s41
	v_sub_nc_u32_e32 v3, v3, v12
	v_mul_lo_u32 v17, v1, s29
	v_mul_lo_u32 v12, v3, s38
	;; [unrolled: 1-line block ×3, first 2 shown]
	v_sub_nc_u32_e32 v8, v8, v17
	v_add3_u32 v0, v10, v0, v12
	v_mul_lo_u32 v17, v8, s42
	v_mul_lo_u32 v8, v8, s43
	v_add3_u32 v3, v14, v7, v3
	v_add3_u32 v0, v16, v0, v17
	v_add3_u32 v7, v5, v3, v8
	s_cbranch_scc1 .LBB15_1136
; %bb.1137:
	s_and_b32 s10, s10, 3
	s_cmp_eq_u32 s10, 0
	s_cbranch_scc0 .LBB15_1141
	s_branch .LBB15_1143
.LBB15_1138:
	s_mov_b32 s8, -1
                                        ; implicit-def: $vgpr0
                                        ; implicit-def: $vgpr7
	s_branch .LBB15_1143
.LBB15_1139:
	v_mov_b32_e32 v0, 0
	v_mov_b32_e32 v7, 0
	s_branch .LBB15_1143
.LBB15_1140:
	v_mov_b32_e32 v0, 0
	v_mov_b32_e32 v7, 0
	;; [unrolled: 1-line block ×3, first 2 shown]
	s_mov_b32 s9, 0
	s_and_b32 s10, s10, 3
	s_cmp_eq_u32 s10, 0
	s_cbranch_scc1 .LBB15_1143
.LBB15_1141:
	s_lshl_b32 s0, s9, 3
	s_mul_i32 s6, s9, 12
	s_add_u32 s0, s2, s0
	s_addc_u32 s1, s3, 0
	s_add_u32 s0, s0, 0xc4
	s_addc_u32 s1, s1, 0
	;; [unrolled: 2-line block ×3, first 2 shown]
	.p2align	6
.LBB15_1142:                            ; =>This Inner Loop Header: Depth=1
	s_clause 0x1
	s_load_dwordx2 s[14:15], s[6:7], 0x4
	s_load_dword s9, s[6:7], 0xc
	s_load_dwordx2 s[16:17], s[0:1], 0x0
	s_add_u32 s6, s6, 12
	s_addc_u32 s7, s7, 0
	s_add_u32 s0, s0, 8
	s_addc_u32 s1, s1, 0
	s_add_i32 s10, s10, -1
	s_cmp_lg_u32 s10, 0
	s_waitcnt vmcnt(0) lgkmcnt(0)
	v_mul_hi_u32 v3, s15, v1
	v_add_nc_u32_e32 v3, v1, v3
	v_lshrrev_b32_e32 v3, s9, v3
	v_mul_lo_u32 v5, v3, s14
	v_sub_nc_u32_e32 v5, v1, v5
	v_mad_u64_u32 v[0:1], null, v5, s16, v[0:1]
	v_mad_u64_u32 v[7:8], null, v5, s17, v[7:8]
	v_mov_b32_e32 v1, v3
	s_cbranch_scc1 .LBB15_1142
.LBB15_1143:
	s_andn2_b32 vcc_lo, exec_lo, s8
	s_cbranch_vccnz .LBB15_1146
; %bb.1144:
	s_clause 0x1
	s_load_dwordx4 s[8:11], s[2:3], 0x4
	s_load_dwordx2 s[0:1], s[2:3], 0xc4
	s_cmp_lt_u32 s24, 2
	s_waitcnt lgkmcnt(0)
	v_mul_hi_u32 v0, s9, v15
	v_add_nc_u32_e32 v0, v15, v0
	v_lshrrev_b32_e32 v1, s10, v0
	v_mul_lo_u32 v0, v1, s8
	s_waitcnt vmcnt(0)
	v_sub_nc_u32_e32 v3, v15, v0
	v_mul_lo_u32 v0, v3, s0
	v_mul_lo_u32 v7, v3, s1
	s_cbranch_scc1 .LBB15_1146
; %bb.1145:
	s_clause 0x1
	s_load_dwordx4 s[8:11], s[2:3], 0x10
	s_load_dwordx2 s[0:1], s[2:3], 0xcc
	s_waitcnt lgkmcnt(0)
	v_mul_hi_u32 v3, s9, v1
	v_add_nc_u32_e32 v3, v1, v3
	v_lshrrev_b32_e32 v3, s10, v3
	v_mul_lo_u32 v3, v3, s8
	v_sub_nc_u32_e32 v3, v1, v3
	v_mad_u64_u32 v[0:1], null, v3, s0, v[0:1]
	v_mad_u64_u32 v[7:8], null, v3, s1, v[7:8]
.LBB15_1146:
	s_clause 0x1
	s_load_dwordx4 s[8:11], s[2:3], 0x148
	s_load_dword s2, s[4:5], 0x160
	s_waitcnt lgkmcnt(0)
	v_add_co_u32 v12, s0, s10, v13
	v_add_co_ci_u32_e64 v13, null, s11, 0, s0
	s_bfe_u32 s0, s2, 0x80010
	s_cmp_lt_i32 s0, 11
	s_cbranch_scc1 .LBB15_1153
; %bb.1147:
	s_and_b32 s1, 0xffff, s0
	s_mov_b32 s4, 0
	s_cmp_gt_i32 s1, 25
	s_cbranch_scc0 .LBB15_1155
; %bb.1148:
	s_cmp_gt_i32 s1, 28
	s_cbranch_scc0 .LBB15_1156
; %bb.1149:
	;; [unrolled: 3-line block ×4, first 2 shown]
	s_cmp_eq_u32 s1, 46
	s_mov_b32 s6, 0
	s_cbranch_scc0 .LBB15_1161
; %bb.1152:
	global_load_dword v1, v[12:13], off
	s_mov_b32 s3, 0
	s_mov_b32 s5, -1
	s_waitcnt vmcnt(0)
	v_lshlrev_b32_e32 v5, 16, v1
	s_branch .LBB15_1163
.LBB15_1153:
	s_mov_b32 s5, 0
	s_mov_b32 s1, s12
                                        ; implicit-def: $vgpr5
	s_cbranch_execnz .LBB15_1226
.LBB15_1154:
	s_andn2_b32 vcc_lo, exec_lo, s5
	s_cbranch_vccz .LBB15_1271
	s_branch .LBB15_2095
.LBB15_1155:
	s_mov_b32 s5, 0
	s_mov_b32 s3, 0
                                        ; implicit-def: $vgpr5
	s_cbranch_execnz .LBB15_1191
	s_branch .LBB15_1222
.LBB15_1156:
	s_mov_b32 s6, -1
	s_mov_b32 s5, 0
	s_mov_b32 s3, 0
                                        ; implicit-def: $vgpr5
	s_branch .LBB15_1172
.LBB15_1157:
	s_mov_b32 s5, 0
	s_mov_b32 s3, 0
                                        ; implicit-def: $vgpr5
	s_cbranch_execnz .LBB15_1168
	s_branch .LBB15_1171
.LBB15_1158:
	s_mov_b32 s6, -1
	s_mov_b32 s5, 0
	s_mov_b32 s3, 0
	s_branch .LBB15_1162
.LBB15_1159:
	s_andn2_saveexec_b32 s11, s11
	s_cbranch_execz .LBB15_1002
.LBB15_1160:
	v_add_f32_e64 v0, 0x46000000, |v5|
	s_andn2_b32 s10, s10, exec_lo
	v_and_b32_e32 v0, 0xff, v0
	v_cmp_ne_u32_e32 vcc_lo, 0, v0
	s_and_b32 s12, vcc_lo, exec_lo
	s_or_b32 s10, s10, s12
	s_or_b32 exec_lo, exec_lo, s11
	v_mov_b32_e32 v4, 0
	s_and_saveexec_b32 s11, s10
	s_cbranch_execnz .LBB15_1003
	s_branch .LBB15_1004
.LBB15_1161:
	s_mov_b32 s3, -1
	s_mov_b32 s5, 0
.LBB15_1162:
                                        ; implicit-def: $vgpr5
.LBB15_1163:
	s_and_b32 vcc_lo, exec_lo, s6
	s_cbranch_vccz .LBB15_1166
; %bb.1164:
	s_cmp_eq_u32 s1, 44
	s_cbranch_scc0 .LBB15_1167
; %bb.1165:
	global_load_ubyte v1, v[12:13], off
	s_mov_b32 s3, 0
	s_mov_b32 s5, -1
	s_waitcnt vmcnt(0)
	v_lshlrev_b32_e32 v3, 23, v1
	v_cmp_ne_u32_e32 vcc_lo, 0xff, v1
	v_cndmask_b32_e32 v3, 0x7f800001, v3, vcc_lo
	v_cmp_ne_u32_e32 vcc_lo, 0, v1
	v_cndmask_b32_e32 v5, 0x400000, v3, vcc_lo
.LBB15_1166:
	s_branch .LBB15_1171
.LBB15_1167:
	s_mov_b32 s3, -1
                                        ; implicit-def: $vgpr5
	s_branch .LBB15_1171
.LBB15_1168:
	s_cmp_eq_u32 s1, 29
	s_cbranch_scc0 .LBB15_1170
; %bb.1169:
	global_load_dwordx2 v[14:15], v[12:13], off
	s_mov_b32 s3, 0
	s_mov_b32 s5, -1
	s_mov_b32 s6, 0
	s_waitcnt vmcnt(0)
	v_ffbh_u32_e32 v1, v15
	v_min_u32_e32 v1, 32, v1
	v_lshlrev_b64 v[14:15], v1, v[14:15]
	v_sub_nc_u32_e32 v1, 32, v1
	v_min_u32_e32 v3, 1, v14
	v_or_b32_e32 v3, v15, v3
	v_cvt_f32_u32_e32 v3, v3
	v_ldexp_f32 v5, v3, v1
	s_branch .LBB15_1172
.LBB15_1170:
	s_mov_b32 s3, -1
                                        ; implicit-def: $vgpr5
.LBB15_1171:
	s_mov_b32 s6, 0
.LBB15_1172:
	s_and_b32 vcc_lo, exec_lo, s6
	s_cbranch_vccz .LBB15_1190
; %bb.1173:
	s_cmp_lt_i32 s1, 27
	s_cbranch_scc1 .LBB15_1176
; %bb.1174:
	s_cmp_gt_i32 s1, 27
	s_cbranch_scc0 .LBB15_1177
; %bb.1175:
	global_load_dword v1, v[12:13], off
	s_mov_b32 s5, 0
	s_waitcnt vmcnt(0)
	v_cvt_f32_u32_e32 v5, v1
	s_branch .LBB15_1178
.LBB15_1176:
	s_mov_b32 s5, -1
                                        ; implicit-def: $vgpr5
	s_branch .LBB15_1181
.LBB15_1177:
	s_mov_b32 s5, -1
                                        ; implicit-def: $vgpr5
.LBB15_1178:
	s_andn2_b32 vcc_lo, exec_lo, s5
	s_cbranch_vccnz .LBB15_1180
; %bb.1179:
	global_load_ushort v1, v[12:13], off
	s_waitcnt vmcnt(0)
	v_cvt_f32_u32_e32 v5, v1
.LBB15_1180:
	s_mov_b32 s5, 0
.LBB15_1181:
	s_andn2_b32 vcc_lo, exec_lo, s5
	s_cbranch_vccnz .LBB15_1189
; %bb.1182:
	global_load_ubyte v1, v[12:13], off
	s_mov_b32 s5, 0
	s_mov_b32 s6, exec_lo
	s_waitcnt vmcnt(0)
	v_cmpx_lt_i16_e32 0x7f, v1
	s_xor_b32 s6, exec_lo, s6
	s_cbranch_execz .LBB15_1202
; %bb.1183:
	s_mov_b32 s5, -1
	s_mov_b32 s7, exec_lo
	v_cmpx_eq_u16_e32 0x80, v1
; %bb.1184:
	s_xor_b32 s5, exec_lo, -1
; %bb.1185:
	s_or_b32 exec_lo, exec_lo, s7
	s_and_b32 s5, s5, exec_lo
	s_or_saveexec_b32 s6, s6
	v_mov_b32_e32 v5, 0x7f800001
	s_xor_b32 exec_lo, exec_lo, s6
	s_cbranch_execnz .LBB15_1203
.LBB15_1186:
	s_or_b32 exec_lo, exec_lo, s6
	s_and_saveexec_b32 s6, s5
	s_cbranch_execz .LBB15_1188
.LBB15_1187:
	v_and_b32_e32 v3, 0xffff, v1
	v_lshlrev_b32_e32 v1, 24, v1
	v_and_b32_e32 v5, 7, v3
	v_bfe_u32 v14, v3, 3, 4
	v_and_b32_e32 v1, 0x80000000, v1
	v_ffbh_u32_e32 v8, v5
	v_cmp_eq_u32_e32 vcc_lo, 0, v14
	v_min_u32_e32 v8, 32, v8
	v_subrev_nc_u32_e32 v10, 28, v8
	v_sub_nc_u32_e32 v8, 29, v8
	v_lshlrev_b32_e32 v3, v10, v3
	v_cndmask_b32_e32 v8, v14, v8, vcc_lo
	v_and_b32_e32 v3, 7, v3
	v_cndmask_b32_e32 v3, v5, v3, vcc_lo
	v_lshl_add_u32 v5, v8, 23, 0x3b800000
	v_lshlrev_b32_e32 v3, 20, v3
	v_or3_b32 v5, v1, v5, v3
.LBB15_1188:
	s_or_b32 exec_lo, exec_lo, s6
.LBB15_1189:
	s_mov_b32 s5, -1
.LBB15_1190:
	s_branch .LBB15_1222
.LBB15_1191:
	s_cmp_gt_i32 s1, 22
	s_cbranch_scc0 .LBB15_1201
; %bb.1192:
	s_cmp_lt_i32 s1, 24
	s_cbranch_scc1 .LBB15_1204
; %bb.1193:
	s_cmp_gt_i32 s1, 24
	s_cbranch_scc0 .LBB15_1205
; %bb.1194:
	global_load_ubyte v1, v[12:13], off
	s_mov_b32 s5, exec_lo
	s_waitcnt vmcnt(0)
	v_cmpx_lt_i16_e32 0x7f, v1
	s_xor_b32 s5, exec_lo, s5
	s_cbranch_execz .LBB15_1216
; %bb.1195:
	s_mov_b32 s4, -1
	s_mov_b32 s6, exec_lo
	v_cmpx_eq_u16_e32 0x80, v1
; %bb.1196:
	s_xor_b32 s4, exec_lo, -1
; %bb.1197:
	s_or_b32 exec_lo, exec_lo, s6
	s_and_b32 s4, s4, exec_lo
	s_or_saveexec_b32 s5, s5
	v_mov_b32_e32 v5, 0x7f800001
	s_xor_b32 exec_lo, exec_lo, s5
	s_cbranch_execnz .LBB15_1217
.LBB15_1198:
	s_or_b32 exec_lo, exec_lo, s5
	s_and_saveexec_b32 s5, s4
	s_cbranch_execz .LBB15_1200
.LBB15_1199:
	v_and_b32_e32 v3, 0xffff, v1
	v_lshlrev_b32_e32 v1, 24, v1
	v_and_b32_e32 v5, 3, v3
	v_bfe_u32 v14, v3, 2, 5
	v_and_b32_e32 v1, 0x80000000, v1
	v_ffbh_u32_e32 v8, v5
	v_cmp_eq_u32_e32 vcc_lo, 0, v14
	v_min_u32_e32 v8, 32, v8
	v_subrev_nc_u32_e32 v10, 29, v8
	v_sub_nc_u32_e32 v8, 30, v8
	v_lshlrev_b32_e32 v3, v10, v3
	v_cndmask_b32_e32 v8, v14, v8, vcc_lo
	v_and_b32_e32 v3, 3, v3
	v_cndmask_b32_e32 v3, v5, v3, vcc_lo
	v_lshl_add_u32 v5, v8, 23, 0x37800000
	v_lshlrev_b32_e32 v3, 21, v3
	v_or3_b32 v5, v1, v5, v3
.LBB15_1200:
	s_or_b32 exec_lo, exec_lo, s5
	s_mov_b32 s4, 0
	s_branch .LBB15_1206
.LBB15_1201:
                                        ; implicit-def: $vgpr5
	s_mov_b32 s4, 0
	s_branch .LBB15_1212
.LBB15_1202:
	s_or_saveexec_b32 s6, s6
	v_mov_b32_e32 v5, 0x7f800001
	s_xor_b32 exec_lo, exec_lo, s6
	s_cbranch_execz .LBB15_1186
.LBB15_1203:
	v_cmp_ne_u16_e32 vcc_lo, 0, v1
	v_mov_b32_e32 v5, 0
	s_andn2_b32 s5, s5, exec_lo
	s_and_b32 s7, vcc_lo, exec_lo
	s_or_b32 s5, s5, s7
	s_or_b32 exec_lo, exec_lo, s6
	s_and_saveexec_b32 s6, s5
	s_cbranch_execnz .LBB15_1187
	s_branch .LBB15_1188
.LBB15_1204:
	s_mov_b32 s4, -1
                                        ; implicit-def: $vgpr5
	s_branch .LBB15_1209
.LBB15_1205:
	s_mov_b32 s4, -1
                                        ; implicit-def: $vgpr5
.LBB15_1206:
	s_and_b32 vcc_lo, exec_lo, s4
	s_cbranch_vccz .LBB15_1208
; %bb.1207:
	global_load_ubyte v1, v[12:13], off
	s_waitcnt vmcnt(0)
	v_lshlrev_b32_e32 v1, 24, v1
	v_and_b32_e32 v3, 0x7f000000, v1
	v_ffbh_u32_e32 v5, v3
	v_add_nc_u32_e32 v10, 0x1000000, v3
	v_cmp_ne_u32_e32 vcc_lo, 0, v3
	v_min_u32_e32 v5, 32, v5
	v_sub_nc_u32_e64 v5, v5, 4 clamp
	v_lshlrev_b32_e32 v8, v5, v3
	v_lshlrev_b32_e32 v5, 23, v5
	v_lshrrev_b32_e32 v8, 4, v8
	v_sub_nc_u32_e32 v5, v8, v5
	v_ashrrev_i32_e32 v8, 8, v10
	v_add_nc_u32_e32 v5, 0x3c000000, v5
	v_and_or_b32 v5, 0x7f800000, v8, v5
	v_cndmask_b32_e32 v3, 0, v5, vcc_lo
	v_and_or_b32 v5, 0x80000000, v1, v3
.LBB15_1208:
	s_mov_b32 s4, 0
.LBB15_1209:
	s_andn2_b32 vcc_lo, exec_lo, s4
	s_cbranch_vccnz .LBB15_1211
; %bb.1210:
	global_load_ubyte v1, v[12:13], off
	s_waitcnt vmcnt(0)
	v_lshlrev_b32_e32 v3, 25, v1
	v_lshlrev_b16 v1, 8, v1
	v_lshrrev_b32_e32 v5, 4, v3
	v_and_or_b32 v8, 0x7f00, v1, 0.5
	v_cmp_gt_u32_e32 vcc_lo, 0x8000000, v3
	v_bfe_i32 v1, v1, 0, 16
	v_or_b32_e32 v5, 0x70000000, v5
	v_add_f32_e32 v8, -0.5, v8
	v_mul_f32_e32 v5, 0x7800000, v5
	v_cndmask_b32_e32 v3, v5, v8, vcc_lo
	v_and_or_b32 v5, 0x80000000, v1, v3
.LBB15_1211:
	s_mov_b32 s5, -1
	s_mov_b32 s4, 0
	s_cbranch_execnz .LBB15_1222
.LBB15_1212:
	s_cmp_gt_i32 s1, 14
	s_cbranch_scc0 .LBB15_1215
; %bb.1213:
	s_cmp_eq_u32 s1, 15
	s_cbranch_scc0 .LBB15_1218
; %bb.1214:
	global_load_ushort v1, v[12:13], off
	s_mov_b32 s3, 0
	s_mov_b32 s5, -1
	s_waitcnt vmcnt(0)
	v_lshlrev_b32_e32 v5, 16, v1
	s_branch .LBB15_1220
.LBB15_1215:
	s_mov_b32 s4, -1
	s_branch .LBB15_1219
.LBB15_1216:
	s_or_saveexec_b32 s5, s5
	v_mov_b32_e32 v5, 0x7f800001
	s_xor_b32 exec_lo, exec_lo, s5
	s_cbranch_execz .LBB15_1198
.LBB15_1217:
	v_cmp_ne_u16_e32 vcc_lo, 0, v1
	v_mov_b32_e32 v5, 0
	s_andn2_b32 s4, s4, exec_lo
	s_and_b32 s6, vcc_lo, exec_lo
	s_or_b32 s4, s4, s6
	s_or_b32 exec_lo, exec_lo, s5
	s_and_saveexec_b32 s5, s4
	s_cbranch_execnz .LBB15_1199
	s_branch .LBB15_1200
.LBB15_1218:
	s_mov_b32 s3, -1
.LBB15_1219:
                                        ; implicit-def: $vgpr5
.LBB15_1220:
	s_and_b32 vcc_lo, exec_lo, s4
	s_mov_b32 s4, 0
	s_cbranch_vccz .LBB15_1222
; %bb.1221:
	s_cmp_lg_u32 s1, 11
	s_mov_b32 s4, -1
	s_cselect_b32 s3, -1, 0
.LBB15_1222:
	s_and_b32 vcc_lo, exec_lo, s3
	s_mov_b32 s1, s12
	s_cbranch_vccnz .LBB15_1283
; %bb.1223:
	s_andn2_b32 vcc_lo, exec_lo, s4
	s_cbranch_vccnz .LBB15_1225
.LBB15_1224:
	global_load_ubyte v1, v[12:13], off
	s_mov_b32 s5, -1
	s_waitcnt vmcnt(0)
	v_cmp_ne_u16_e32 vcc_lo, 0, v1
	v_cndmask_b32_e64 v5, 0, 1.0, vcc_lo
.LBB15_1225:
	s_branch .LBB15_1154
.LBB15_1226:
	s_and_b32 s0, 0xffff, s0
	s_cmp_lt_i32 s0, 5
	s_cbranch_scc1 .LBB15_1231
; %bb.1227:
	s_cmp_lt_i32 s0, 8
	s_cbranch_scc1 .LBB15_1232
; %bb.1228:
	s_cmp_lt_i32 s0, 9
	s_cbranch_scc1 .LBB15_1233
; %bb.1229:
	s_cmp_gt_i32 s0, 9
	s_cbranch_scc0 .LBB15_1234
; %bb.1230:
	global_load_dwordx2 v[14:15], v[12:13], off
	s_mov_b32 s3, 0
	s_waitcnt vmcnt(0)
	v_cvt_f32_f64_e32 v5, v[14:15]
	s_branch .LBB15_1235
.LBB15_1231:
                                        ; implicit-def: $vgpr5
	s_branch .LBB15_1252
.LBB15_1232:
                                        ; implicit-def: $vgpr5
	s_branch .LBB15_1241
.LBB15_1233:
	s_mov_b32 s3, -1
                                        ; implicit-def: $vgpr5
	s_branch .LBB15_1238
.LBB15_1234:
	s_mov_b32 s3, -1
                                        ; implicit-def: $vgpr5
.LBB15_1235:
	s_andn2_b32 vcc_lo, exec_lo, s3
	s_cbranch_vccnz .LBB15_1237
; %bb.1236:
	global_load_dword v5, v[12:13], off
.LBB15_1237:
	s_mov_b32 s3, 0
.LBB15_1238:
	s_andn2_b32 vcc_lo, exec_lo, s3
	s_cbranch_vccnz .LBB15_1240
; %bb.1239:
	global_load_dword v1, v[12:13], off
	s_waitcnt vmcnt(0)
	v_cvt_f32_f16_e32 v5, v1
.LBB15_1240:
	s_cbranch_execnz .LBB15_1251
.LBB15_1241:
	s_cmp_lt_i32 s0, 6
	s_cbranch_scc1 .LBB15_1244
; %bb.1242:
	s_cmp_gt_i32 s0, 6
	s_cbranch_scc0 .LBB15_1245
; %bb.1243:
	global_load_dwordx2 v[14:15], v[12:13], off
	s_mov_b32 s3, 0
	s_waitcnt vmcnt(0)
	v_cvt_f32_f64_e32 v5, v[14:15]
	s_branch .LBB15_1246
.LBB15_1244:
	s_mov_b32 s3, -1
                                        ; implicit-def: $vgpr5
	s_branch .LBB15_1249
.LBB15_1245:
	s_mov_b32 s3, -1
                                        ; implicit-def: $vgpr5
.LBB15_1246:
	s_andn2_b32 vcc_lo, exec_lo, s3
	s_cbranch_vccnz .LBB15_1248
; %bb.1247:
	global_load_dword v5, v[12:13], off
.LBB15_1248:
	s_mov_b32 s3, 0
.LBB15_1249:
	s_andn2_b32 vcc_lo, exec_lo, s3
	s_cbranch_vccnz .LBB15_1251
; %bb.1250:
	global_load_ushort v1, v[12:13], off
	s_waitcnt vmcnt(0)
	v_cvt_f32_f16_e32 v5, v1
.LBB15_1251:
	s_cbranch_execnz .LBB15_1270
.LBB15_1252:
	s_cmp_lt_i32 s0, 2
	s_cbranch_scc1 .LBB15_1256
; %bb.1253:
	s_cmp_lt_i32 s0, 3
	s_cbranch_scc1 .LBB15_1257
; %bb.1254:
	s_cmp_gt_i32 s0, 3
	s_cbranch_scc0 .LBB15_1258
; %bb.1255:
	global_load_dwordx2 v[14:15], v[12:13], off
	s_mov_b32 s3, 0
	s_waitcnt vmcnt(0)
	v_xor_b32_e32 v1, v14, v15
	v_ffbh_i32_e32 v3, v15
	v_ashrrev_i32_e32 v1, 31, v1
	v_add_nc_u32_e32 v3, -1, v3
	v_add_nc_u32_e32 v1, 32, v1
	v_min_u32_e32 v1, v3, v1
	v_lshlrev_b64 v[14:15], v1, v[14:15]
	v_sub_nc_u32_e32 v1, 32, v1
	v_min_u32_e32 v3, 1, v14
	v_or_b32_e32 v3, v15, v3
	v_cvt_f32_i32_e32 v3, v3
	v_ldexp_f32 v5, v3, v1
	s_branch .LBB15_1259
.LBB15_1256:
                                        ; implicit-def: $vgpr5
	s_branch .LBB15_1265
.LBB15_1257:
	s_mov_b32 s3, -1
                                        ; implicit-def: $vgpr5
	s_branch .LBB15_1262
.LBB15_1258:
	s_mov_b32 s3, -1
                                        ; implicit-def: $vgpr5
.LBB15_1259:
	s_andn2_b32 vcc_lo, exec_lo, s3
	s_cbranch_vccnz .LBB15_1261
; %bb.1260:
	global_load_dword v1, v[12:13], off
	s_waitcnt vmcnt(0)
	v_cvt_f32_i32_e32 v5, v1
.LBB15_1261:
	s_mov_b32 s3, 0
.LBB15_1262:
	s_andn2_b32 vcc_lo, exec_lo, s3
	s_cbranch_vccnz .LBB15_1264
; %bb.1263:
	global_load_sshort v1, v[12:13], off
	s_waitcnt vmcnt(0)
	v_cvt_f32_i32_e32 v5, v1
.LBB15_1264:
	s_cbranch_execnz .LBB15_1270
.LBB15_1265:
	s_cmp_gt_i32 s0, 0
	s_mov_b32 s0, 0
	s_cbranch_scc0 .LBB15_1267
; %bb.1266:
	global_load_sbyte v1, v[12:13], off
	s_waitcnt vmcnt(0)
	v_cvt_f32_i32_e32 v5, v1
	s_branch .LBB15_1268
.LBB15_1267:
	s_mov_b32 s0, -1
                                        ; implicit-def: $vgpr5
.LBB15_1268:
	s_andn2_b32 vcc_lo, exec_lo, s0
	s_cbranch_vccnz .LBB15_1270
; %bb.1269:
	global_load_ubyte v1, v[12:13], off
	s_waitcnt vmcnt(0)
	v_cvt_f32_ubyte0_e32 v5, v1
.LBB15_1270:
.LBB15_1271:
	v_add_co_u32 v10, s3, s10, v11
	s_lshr_b32 s0, s2, 16
	v_add_co_ci_u32_e64 v11, null, s11, 0, s3
	s_and_b32 s0, s0, 0xff
	s_cmp_lt_i32 s0, 11
	s_cbranch_scc1 .LBB15_1278
; %bb.1272:
	s_and_b32 s3, 0xffff, s0
	s_mov_b32 s5, 0
	s_cmp_gt_i32 s3, 25
	s_cbranch_scc0 .LBB15_1280
; %bb.1273:
	s_cmp_gt_i32 s3, 28
	s_cbranch_scc0 .LBB15_1281
; %bb.1274:
	;; [unrolled: 3-line block ×4, first 2 shown]
	s_cmp_eq_u32 s3, 46
	s_mov_b32 s7, 0
	s_cbranch_scc0 .LBB15_1287
; %bb.1277:
	global_load_dword v1, v[10:11], off
	s_mov_b32 s4, 0
	s_mov_b32 s6, -1
	s_waitcnt vmcnt(0)
	v_lshlrev_b32_e32 v3, 16, v1
	s_branch .LBB15_1289
.LBB15_1278:
	s_mov_b32 s6, 0
                                        ; implicit-def: $vgpr3
	s_cbranch_execnz .LBB15_1354
.LBB15_1279:
	s_andn2_b32 vcc_lo, exec_lo, s6
	s_cbranch_vccnz .LBB15_2095
	s_branch .LBB15_1401
.LBB15_1280:
	s_mov_b32 s6, 0
	s_mov_b32 s4, 0
                                        ; implicit-def: $vgpr3
	s_cbranch_execnz .LBB15_1318
	s_branch .LBB15_1350
.LBB15_1281:
	s_mov_b32 s7, -1
	s_mov_b32 s6, 0
	s_mov_b32 s4, 0
                                        ; implicit-def: $vgpr3
	s_branch .LBB15_1299
.LBB15_1282:
	s_mov_b32 s7, -1
	s_mov_b32 s6, 0
	s_mov_b32 s4, 0
                                        ; implicit-def: $vgpr3
	s_branch .LBB15_1294
.LBB15_1283:
	s_or_b32 s1, s12, exec_lo
	s_trap 2
	s_cbranch_execz .LBB15_1224
	s_branch .LBB15_1225
.LBB15_1284:
	s_mov_b32 s7, -1
	s_mov_b32 s6, 0
	s_mov_b32 s4, 0
	s_branch .LBB15_1288
.LBB15_1285:
	s_andn2_saveexec_b32 s12, s12
	s_cbranch_execz .LBB15_1014
.LBB15_1286:
	v_add_f32_e64 v0, 0x42800000, |v5|
	s_andn2_b32 s11, s11, exec_lo
	v_and_b32_e32 v0, 0xff, v0
	v_cmp_ne_u32_e32 vcc_lo, 0, v0
	s_and_b32 s13, vcc_lo, exec_lo
	s_or_b32 s11, s11, s13
	s_or_b32 exec_lo, exec_lo, s12
	v_mov_b32_e32 v4, 0
	s_and_saveexec_b32 s12, s11
	s_cbranch_execnz .LBB15_1015
	s_branch .LBB15_1016
.LBB15_1287:
	s_mov_b32 s4, -1
	s_mov_b32 s6, 0
.LBB15_1288:
                                        ; implicit-def: $vgpr3
.LBB15_1289:
	s_and_b32 vcc_lo, exec_lo, s7
	s_cbranch_vccz .LBB15_1293
; %bb.1290:
	s_cmp_eq_u32 s3, 44
	s_cbranch_scc0 .LBB15_1292
; %bb.1291:
	global_load_ubyte v1, v[10:11], off
	s_mov_b32 s4, 0
	s_mov_b32 s6, -1
	s_waitcnt vmcnt(0)
	v_lshlrev_b32_e32 v3, 23, v1
	v_cmp_ne_u32_e32 vcc_lo, 0xff, v1
	v_cndmask_b32_e32 v3, 0x7f800001, v3, vcc_lo
	v_cmp_ne_u32_e32 vcc_lo, 0, v1
	v_cndmask_b32_e32 v3, 0x400000, v3, vcc_lo
	s_branch .LBB15_1293
.LBB15_1292:
	s_mov_b32 s4, -1
                                        ; implicit-def: $vgpr3
.LBB15_1293:
	s_mov_b32 s7, 0
.LBB15_1294:
	s_and_b32 vcc_lo, exec_lo, s7
	s_cbranch_vccz .LBB15_1298
; %bb.1295:
	s_cmp_eq_u32 s3, 29
	s_cbranch_scc0 .LBB15_1297
; %bb.1296:
	global_load_dwordx2 v[12:13], v[10:11], off
	s_mov_b32 s4, 0
	s_mov_b32 s6, -1
	s_mov_b32 s7, 0
	s_waitcnt vmcnt(0)
	v_ffbh_u32_e32 v1, v13
	v_min_u32_e32 v1, 32, v1
	v_lshlrev_b64 v[12:13], v1, v[12:13]
	v_sub_nc_u32_e32 v1, 32, v1
	v_min_u32_e32 v3, 1, v12
	v_or_b32_e32 v3, v13, v3
	v_cvt_f32_u32_e32 v3, v3
	v_ldexp_f32 v3, v3, v1
	s_branch .LBB15_1299
.LBB15_1297:
	s_mov_b32 s4, -1
                                        ; implicit-def: $vgpr3
.LBB15_1298:
	s_mov_b32 s7, 0
.LBB15_1299:
	s_and_b32 vcc_lo, exec_lo, s7
	s_cbranch_vccz .LBB15_1317
; %bb.1300:
	s_cmp_lt_i32 s3, 27
	s_cbranch_scc1 .LBB15_1303
; %bb.1301:
	s_cmp_gt_i32 s3, 27
	s_cbranch_scc0 .LBB15_1304
; %bb.1302:
	global_load_dword v1, v[10:11], off
	s_mov_b32 s6, 0
	s_waitcnt vmcnt(0)
	v_cvt_f32_u32_e32 v3, v1
	s_branch .LBB15_1305
.LBB15_1303:
	s_mov_b32 s6, -1
                                        ; implicit-def: $vgpr3
	s_branch .LBB15_1308
.LBB15_1304:
	s_mov_b32 s6, -1
                                        ; implicit-def: $vgpr3
.LBB15_1305:
	s_andn2_b32 vcc_lo, exec_lo, s6
	s_cbranch_vccnz .LBB15_1307
; %bb.1306:
	global_load_ushort v1, v[10:11], off
	s_waitcnt vmcnt(0)
	v_cvt_f32_u32_e32 v3, v1
.LBB15_1307:
	s_mov_b32 s6, 0
.LBB15_1308:
	s_andn2_b32 vcc_lo, exec_lo, s6
	s_cbranch_vccnz .LBB15_1316
; %bb.1309:
	global_load_ubyte v1, v[10:11], off
	s_mov_b32 s6, 0
	s_mov_b32 s7, exec_lo
	s_waitcnt vmcnt(0)
	v_cmpx_lt_i16_e32 0x7f, v1
	s_xor_b32 s7, exec_lo, s7
	s_cbranch_execz .LBB15_1329
; %bb.1310:
	s_mov_b32 s6, -1
	s_mov_b32 s14, exec_lo
	v_cmpx_eq_u16_e32 0x80, v1
; %bb.1311:
	s_xor_b32 s6, exec_lo, -1
; %bb.1312:
	s_or_b32 exec_lo, exec_lo, s14
	s_and_b32 s6, s6, exec_lo
	s_or_saveexec_b32 s7, s7
	v_mov_b32_e32 v3, 0x7f800001
	s_xor_b32 exec_lo, exec_lo, s7
	s_cbranch_execnz .LBB15_1330
.LBB15_1313:
	s_or_b32 exec_lo, exec_lo, s7
	s_and_saveexec_b32 s7, s6
	s_cbranch_execz .LBB15_1315
.LBB15_1314:
	v_and_b32_e32 v3, 0xffff, v1
	v_lshlrev_b32_e32 v1, 24, v1
	v_and_b32_e32 v8, 7, v3
	v_bfe_u32 v14, v3, 3, 4
	v_and_b32_e32 v1, 0x80000000, v1
	v_ffbh_u32_e32 v12, v8
	v_cmp_eq_u32_e32 vcc_lo, 0, v14
	v_min_u32_e32 v12, 32, v12
	v_subrev_nc_u32_e32 v13, 28, v12
	v_sub_nc_u32_e32 v12, 29, v12
	v_lshlrev_b32_e32 v3, v13, v3
	v_cndmask_b32_e32 v12, v14, v12, vcc_lo
	v_and_b32_e32 v3, 7, v3
	v_cndmask_b32_e32 v3, v8, v3, vcc_lo
	v_lshl_add_u32 v8, v12, 23, 0x3b800000
	v_lshlrev_b32_e32 v3, 20, v3
	v_or3_b32 v3, v1, v8, v3
.LBB15_1315:
	s_or_b32 exec_lo, exec_lo, s7
.LBB15_1316:
	s_mov_b32 s6, -1
.LBB15_1317:
	s_branch .LBB15_1350
.LBB15_1318:
	s_cmp_gt_i32 s3, 22
	s_cbranch_scc0 .LBB15_1328
; %bb.1319:
	s_cmp_lt_i32 s3, 24
	s_cbranch_scc1 .LBB15_1331
; %bb.1320:
	s_cmp_gt_i32 s3, 24
	s_cbranch_scc0 .LBB15_1332
; %bb.1321:
	global_load_ubyte v1, v[10:11], off
	s_mov_b32 s6, exec_lo
	s_waitcnt vmcnt(0)
	v_cmpx_lt_i16_e32 0x7f, v1
	s_xor_b32 s6, exec_lo, s6
	s_cbranch_execz .LBB15_1344
; %bb.1322:
	s_mov_b32 s5, -1
	s_mov_b32 s7, exec_lo
	v_cmpx_eq_u16_e32 0x80, v1
; %bb.1323:
	s_xor_b32 s5, exec_lo, -1
; %bb.1324:
	s_or_b32 exec_lo, exec_lo, s7
	s_and_b32 s5, s5, exec_lo
	s_or_saveexec_b32 s6, s6
	v_mov_b32_e32 v3, 0x7f800001
	s_xor_b32 exec_lo, exec_lo, s6
	s_cbranch_execnz .LBB15_1345
.LBB15_1325:
	s_or_b32 exec_lo, exec_lo, s6
	s_and_saveexec_b32 s6, s5
	s_cbranch_execz .LBB15_1327
.LBB15_1326:
	v_and_b32_e32 v3, 0xffff, v1
	v_lshlrev_b32_e32 v1, 24, v1
	v_and_b32_e32 v8, 3, v3
	v_bfe_u32 v14, v3, 2, 5
	v_and_b32_e32 v1, 0x80000000, v1
	v_ffbh_u32_e32 v12, v8
	v_cmp_eq_u32_e32 vcc_lo, 0, v14
	v_min_u32_e32 v12, 32, v12
	v_subrev_nc_u32_e32 v13, 29, v12
	v_sub_nc_u32_e32 v12, 30, v12
	v_lshlrev_b32_e32 v3, v13, v3
	v_cndmask_b32_e32 v12, v14, v12, vcc_lo
	v_and_b32_e32 v3, 3, v3
	v_cndmask_b32_e32 v3, v8, v3, vcc_lo
	v_lshl_add_u32 v8, v12, 23, 0x37800000
	v_lshlrev_b32_e32 v3, 21, v3
	v_or3_b32 v3, v1, v8, v3
.LBB15_1327:
	s_or_b32 exec_lo, exec_lo, s6
	s_mov_b32 s5, 0
	s_branch .LBB15_1333
.LBB15_1328:
	s_mov_b32 s5, -1
                                        ; implicit-def: $vgpr3
	s_branch .LBB15_1339
.LBB15_1329:
	s_or_saveexec_b32 s7, s7
	v_mov_b32_e32 v3, 0x7f800001
	s_xor_b32 exec_lo, exec_lo, s7
	s_cbranch_execz .LBB15_1313
.LBB15_1330:
	v_cmp_ne_u16_e32 vcc_lo, 0, v1
	v_mov_b32_e32 v3, 0
	s_andn2_b32 s6, s6, exec_lo
	s_and_b32 s14, vcc_lo, exec_lo
	s_or_b32 s6, s6, s14
	s_or_b32 exec_lo, exec_lo, s7
	s_and_saveexec_b32 s7, s6
	s_cbranch_execnz .LBB15_1314
	s_branch .LBB15_1315
.LBB15_1331:
	s_mov_b32 s5, -1
                                        ; implicit-def: $vgpr3
	s_branch .LBB15_1336
.LBB15_1332:
	s_mov_b32 s5, -1
                                        ; implicit-def: $vgpr3
.LBB15_1333:
	s_and_b32 vcc_lo, exec_lo, s5
	s_cbranch_vccz .LBB15_1335
; %bb.1334:
	global_load_ubyte v1, v[10:11], off
	s_waitcnt vmcnt(0)
	v_lshlrev_b32_e32 v1, 24, v1
	v_and_b32_e32 v3, 0x7f000000, v1
	v_ffbh_u32_e32 v8, v3
	v_add_nc_u32_e32 v13, 0x1000000, v3
	v_cmp_ne_u32_e32 vcc_lo, 0, v3
	v_min_u32_e32 v8, 32, v8
	v_sub_nc_u32_e64 v8, v8, 4 clamp
	v_lshlrev_b32_e32 v12, v8, v3
	v_lshlrev_b32_e32 v8, 23, v8
	v_lshrrev_b32_e32 v12, 4, v12
	v_sub_nc_u32_e32 v8, v12, v8
	v_ashrrev_i32_e32 v12, 8, v13
	v_add_nc_u32_e32 v8, 0x3c000000, v8
	v_and_or_b32 v8, 0x7f800000, v12, v8
	v_cndmask_b32_e32 v3, 0, v8, vcc_lo
	v_and_or_b32 v3, 0x80000000, v1, v3
.LBB15_1335:
	s_mov_b32 s5, 0
.LBB15_1336:
	s_andn2_b32 vcc_lo, exec_lo, s5
	s_cbranch_vccnz .LBB15_1338
; %bb.1337:
	global_load_ubyte v1, v[10:11], off
	s_waitcnt vmcnt(0)
	v_lshlrev_b32_e32 v3, 25, v1
	v_lshlrev_b16 v1, 8, v1
	v_lshrrev_b32_e32 v8, 4, v3
	v_and_or_b32 v12, 0x7f00, v1, 0.5
	v_cmp_gt_u32_e32 vcc_lo, 0x8000000, v3
	v_bfe_i32 v1, v1, 0, 16
	v_or_b32_e32 v8, 0x70000000, v8
	v_add_f32_e32 v12, -0.5, v12
	v_mul_f32_e32 v8, 0x7800000, v8
	v_cndmask_b32_e32 v3, v8, v12, vcc_lo
	v_and_or_b32 v3, 0x80000000, v1, v3
.LBB15_1338:
	s_mov_b32 s5, 0
	s_mov_b32 s6, -1
.LBB15_1339:
	s_andn2_b32 vcc_lo, exec_lo, s5
	s_mov_b32 s5, 0
	s_cbranch_vccnz .LBB15_1350
; %bb.1340:
	s_cmp_gt_i32 s3, 14
	s_cbranch_scc0 .LBB15_1343
; %bb.1341:
	s_cmp_eq_u32 s3, 15
	s_cbranch_scc0 .LBB15_1346
; %bb.1342:
	global_load_ushort v1, v[10:11], off
	s_mov_b32 s4, 0
	s_mov_b32 s6, -1
	s_waitcnt vmcnt(0)
	v_lshlrev_b32_e32 v3, 16, v1
	s_branch .LBB15_1348
.LBB15_1343:
	s_mov_b32 s5, -1
	s_branch .LBB15_1347
.LBB15_1344:
	s_or_saveexec_b32 s6, s6
	v_mov_b32_e32 v3, 0x7f800001
	s_xor_b32 exec_lo, exec_lo, s6
	s_cbranch_execz .LBB15_1325
.LBB15_1345:
	v_cmp_ne_u16_e32 vcc_lo, 0, v1
	v_mov_b32_e32 v3, 0
	s_andn2_b32 s5, s5, exec_lo
	s_and_b32 s7, vcc_lo, exec_lo
	s_or_b32 s5, s5, s7
	s_or_b32 exec_lo, exec_lo, s6
	s_and_saveexec_b32 s6, s5
	s_cbranch_execnz .LBB15_1326
	s_branch .LBB15_1327
.LBB15_1346:
	s_mov_b32 s4, -1
.LBB15_1347:
                                        ; implicit-def: $vgpr3
.LBB15_1348:
	s_and_b32 vcc_lo, exec_lo, s5
	s_mov_b32 s5, 0
	s_cbranch_vccz .LBB15_1350
; %bb.1349:
	s_cmp_lg_u32 s3, 11
	s_mov_b32 s5, -1
	s_cselect_b32 s4, -1, 0
.LBB15_1350:
	s_and_b32 vcc_lo, exec_lo, s4
	s_cbranch_vccnz .LBB15_1413
; %bb.1351:
	s_andn2_b32 vcc_lo, exec_lo, s5
	s_cbranch_vccnz .LBB15_1353
.LBB15_1352:
	global_load_ubyte v1, v[10:11], off
	s_mov_b32 s6, -1
	s_waitcnt vmcnt(0)
	v_cmp_ne_u16_e32 vcc_lo, 0, v1
	v_cndmask_b32_e64 v3, 0, 1.0, vcc_lo
.LBB15_1353:
	s_branch .LBB15_1279
.LBB15_1354:
	s_and_b32 s3, 0xffff, s0
	s_cmp_lt_i32 s3, 5
	s_cbranch_scc1 .LBB15_1359
; %bb.1355:
	s_cmp_lt_i32 s3, 8
	s_cbranch_scc1 .LBB15_1360
; %bb.1356:
	s_cmp_lt_i32 s3, 9
	s_cbranch_scc1 .LBB15_1361
; %bb.1357:
	s_cmp_gt_i32 s3, 9
	s_cbranch_scc0 .LBB15_1362
; %bb.1358:
	global_load_dwordx2 v[12:13], v[10:11], off
	s_mov_b32 s4, 0
	s_waitcnt vmcnt(0)
	v_cvt_f32_f64_e32 v3, v[12:13]
	s_branch .LBB15_1363
.LBB15_1359:
                                        ; implicit-def: $vgpr3
	s_branch .LBB15_1381
.LBB15_1360:
	s_mov_b32 s4, -1
                                        ; implicit-def: $vgpr3
	s_branch .LBB15_1369
.LBB15_1361:
	s_mov_b32 s4, -1
                                        ; implicit-def: $vgpr3
	s_branch .LBB15_1366
.LBB15_1362:
	s_mov_b32 s4, -1
                                        ; implicit-def: $vgpr3
.LBB15_1363:
	s_andn2_b32 vcc_lo, exec_lo, s4
	s_cbranch_vccnz .LBB15_1365
; %bb.1364:
	global_load_dword v3, v[10:11], off
.LBB15_1365:
	s_mov_b32 s4, 0
.LBB15_1366:
	s_andn2_b32 vcc_lo, exec_lo, s4
	s_cbranch_vccnz .LBB15_1368
; %bb.1367:
	global_load_dword v1, v[10:11], off
	s_waitcnt vmcnt(0)
	v_cvt_f32_f16_e32 v3, v1
.LBB15_1368:
	s_mov_b32 s4, 0
.LBB15_1369:
	s_andn2_b32 vcc_lo, exec_lo, s4
	s_cbranch_vccnz .LBB15_1380
; %bb.1370:
	s_cmp_lt_i32 s3, 6
	s_cbranch_scc1 .LBB15_1373
; %bb.1371:
	s_cmp_gt_i32 s3, 6
	s_cbranch_scc0 .LBB15_1374
; %bb.1372:
	global_load_dwordx2 v[12:13], v[10:11], off
	s_mov_b32 s4, 0
	s_waitcnt vmcnt(0)
	v_cvt_f32_f64_e32 v3, v[12:13]
	s_branch .LBB15_1375
.LBB15_1373:
	s_mov_b32 s4, -1
                                        ; implicit-def: $vgpr3
	s_branch .LBB15_1378
.LBB15_1374:
	s_mov_b32 s4, -1
                                        ; implicit-def: $vgpr3
.LBB15_1375:
	s_andn2_b32 vcc_lo, exec_lo, s4
	s_cbranch_vccnz .LBB15_1377
; %bb.1376:
	global_load_dword v3, v[10:11], off
.LBB15_1377:
	s_mov_b32 s4, 0
.LBB15_1378:
	s_andn2_b32 vcc_lo, exec_lo, s4
	s_cbranch_vccnz .LBB15_1380
; %bb.1379:
	global_load_ushort v1, v[10:11], off
	s_waitcnt vmcnt(0)
	v_cvt_f32_f16_e32 v3, v1
.LBB15_1380:
	s_cbranch_execnz .LBB15_1400
.LBB15_1381:
	s_cmp_lt_i32 s3, 2
	s_cbranch_scc1 .LBB15_1385
; %bb.1382:
	s_cmp_lt_i32 s3, 3
	s_cbranch_scc1 .LBB15_1386
; %bb.1383:
	s_cmp_gt_i32 s3, 3
	s_cbranch_scc0 .LBB15_1387
; %bb.1384:
	global_load_dwordx2 v[12:13], v[10:11], off
	s_mov_b32 s4, 0
	s_waitcnt vmcnt(0)
	v_xor_b32_e32 v1, v12, v13
	v_ffbh_i32_e32 v3, v13
	v_ashrrev_i32_e32 v1, 31, v1
	v_add_nc_u32_e32 v3, -1, v3
	v_add_nc_u32_e32 v1, 32, v1
	v_min_u32_e32 v1, v3, v1
	v_lshlrev_b64 v[12:13], v1, v[12:13]
	v_sub_nc_u32_e32 v1, 32, v1
	v_min_u32_e32 v3, 1, v12
	v_or_b32_e32 v3, v13, v3
	v_cvt_f32_i32_e32 v3, v3
	v_ldexp_f32 v3, v3, v1
	s_branch .LBB15_1388
.LBB15_1385:
	s_mov_b32 s4, -1
                                        ; implicit-def: $vgpr3
	s_branch .LBB15_1394
.LBB15_1386:
	s_mov_b32 s4, -1
                                        ; implicit-def: $vgpr3
	s_branch .LBB15_1391
.LBB15_1387:
	s_mov_b32 s4, -1
                                        ; implicit-def: $vgpr3
.LBB15_1388:
	s_andn2_b32 vcc_lo, exec_lo, s4
	s_cbranch_vccnz .LBB15_1390
; %bb.1389:
	global_load_dword v1, v[10:11], off
	s_waitcnt vmcnt(0)
	v_cvt_f32_i32_e32 v3, v1
.LBB15_1390:
	s_mov_b32 s4, 0
.LBB15_1391:
	s_andn2_b32 vcc_lo, exec_lo, s4
	s_cbranch_vccnz .LBB15_1393
; %bb.1392:
	global_load_sshort v1, v[10:11], off
	s_waitcnt vmcnt(0)
	v_cvt_f32_i32_e32 v3, v1
.LBB15_1393:
	s_mov_b32 s4, 0
.LBB15_1394:
	s_andn2_b32 vcc_lo, exec_lo, s4
	s_cbranch_vccnz .LBB15_1400
; %bb.1395:
	s_cmp_gt_i32 s3, 0
	s_mov_b32 s3, 0
	s_cbranch_scc0 .LBB15_1397
; %bb.1396:
	global_load_sbyte v1, v[10:11], off
	s_waitcnt vmcnt(0)
	v_cvt_f32_i32_e32 v3, v1
	s_branch .LBB15_1398
.LBB15_1397:
	s_mov_b32 s3, -1
                                        ; implicit-def: $vgpr3
.LBB15_1398:
	s_andn2_b32 vcc_lo, exec_lo, s3
	s_cbranch_vccnz .LBB15_1400
; %bb.1399:
	global_load_ubyte v1, v[10:11], off
	s_waitcnt vmcnt(0)
	v_cvt_f32_ubyte0_e32 v3, v1
.LBB15_1400:
.LBB15_1401:
	v_add_co_u32 v8, s3, s10, v9
	v_add_co_ci_u32_e64 v9, null, s11, 0, s3
	s_cmp_lt_i32 s0, 11
	s_cbranch_scc1 .LBB15_1408
; %bb.1402:
	s_and_b32 s3, 0xffff, s0
	s_mov_b32 s5, 0
	s_cmp_gt_i32 s3, 25
	s_cbranch_scc0 .LBB15_1410
; %bb.1403:
	s_cmp_gt_i32 s3, 28
	s_cbranch_scc0 .LBB15_1411
; %bb.1404:
	;; [unrolled: 3-line block ×4, first 2 shown]
	s_cmp_eq_u32 s3, 46
	s_mov_b32 s7, 0
	s_cbranch_scc0 .LBB15_1415
; %bb.1407:
	global_load_dword v1, v[8:9], off
	s_mov_b32 s4, 0
	s_mov_b32 s6, -1
	s_waitcnt vmcnt(0)
	v_lshlrev_b32_e32 v1, 16, v1
	s_branch .LBB15_1417
.LBB15_1408:
	s_mov_b32 s6, 0
                                        ; implicit-def: $vgpr1
	s_cbranch_execnz .LBB15_1483
.LBB15_1409:
	s_andn2_b32 vcc_lo, exec_lo, s6
	s_cbranch_vccnz .LBB15_2095
	s_branch .LBB15_1531
.LBB15_1410:
	s_mov_b32 s7, -1
	s_mov_b32 s6, 0
	s_mov_b32 s4, 0
                                        ; implicit-def: $vgpr1
	s_branch .LBB15_1446
.LBB15_1411:
	s_mov_b32 s7, -1
	s_mov_b32 s6, 0
	s_mov_b32 s4, 0
                                        ; implicit-def: $vgpr1
	s_branch .LBB15_1427
.LBB15_1412:
	s_mov_b32 s7, -1
	s_mov_b32 s6, 0
	s_mov_b32 s4, 0
                                        ; implicit-def: $vgpr1
	s_branch .LBB15_1422
.LBB15_1413:
	s_or_b32 s1, s1, exec_lo
	s_trap 2
	s_cbranch_execz .LBB15_1352
	s_branch .LBB15_1353
.LBB15_1414:
	s_mov_b32 s7, -1
	s_mov_b32 s6, 0
	s_mov_b32 s4, 0
	s_branch .LBB15_1416
.LBB15_1415:
	s_mov_b32 s4, -1
	s_mov_b32 s6, 0
.LBB15_1416:
                                        ; implicit-def: $vgpr1
.LBB15_1417:
	s_and_b32 vcc_lo, exec_lo, s7
	s_cbranch_vccz .LBB15_1421
; %bb.1418:
	s_cmp_eq_u32 s3, 44
	s_cbranch_scc0 .LBB15_1420
; %bb.1419:
	global_load_ubyte v1, v[8:9], off
	s_mov_b32 s4, 0
	s_mov_b32 s6, -1
	s_waitcnt vmcnt(0)
	v_lshlrev_b32_e32 v10, 23, v1
	v_cmp_ne_u32_e32 vcc_lo, 0xff, v1
	v_cndmask_b32_e32 v10, 0x7f800001, v10, vcc_lo
	v_cmp_ne_u32_e32 vcc_lo, 0, v1
	v_cndmask_b32_e32 v1, 0x400000, v10, vcc_lo
	s_branch .LBB15_1421
.LBB15_1420:
	s_mov_b32 s4, -1
                                        ; implicit-def: $vgpr1
.LBB15_1421:
	s_mov_b32 s7, 0
.LBB15_1422:
	s_and_b32 vcc_lo, exec_lo, s7
	s_cbranch_vccz .LBB15_1426
; %bb.1423:
	s_cmp_eq_u32 s3, 29
	s_cbranch_scc0 .LBB15_1425
; %bb.1424:
	global_load_dwordx2 v[10:11], v[8:9], off
	s_mov_b32 s4, 0
	s_mov_b32 s6, -1
	s_mov_b32 s7, 0
	s_waitcnt vmcnt(0)
	v_ffbh_u32_e32 v1, v11
	v_min_u32_e32 v1, 32, v1
	v_lshlrev_b64 v[10:11], v1, v[10:11]
	v_sub_nc_u32_e32 v1, 32, v1
	v_min_u32_e32 v10, 1, v10
	v_or_b32_e32 v10, v11, v10
	v_cvt_f32_u32_e32 v10, v10
	v_ldexp_f32 v1, v10, v1
	s_branch .LBB15_1427
.LBB15_1425:
	s_mov_b32 s4, -1
                                        ; implicit-def: $vgpr1
.LBB15_1426:
	s_mov_b32 s7, 0
.LBB15_1427:
	s_and_b32 vcc_lo, exec_lo, s7
	s_cbranch_vccz .LBB15_1445
; %bb.1428:
	s_cmp_lt_i32 s3, 27
	s_cbranch_scc1 .LBB15_1431
; %bb.1429:
	s_cmp_gt_i32 s3, 27
	s_cbranch_scc0 .LBB15_1432
; %bb.1430:
	global_load_dword v1, v[8:9], off
	s_mov_b32 s6, 0
	s_waitcnt vmcnt(0)
	v_cvt_f32_u32_e32 v1, v1
	s_branch .LBB15_1433
.LBB15_1431:
	s_mov_b32 s6, -1
                                        ; implicit-def: $vgpr1
	s_branch .LBB15_1436
.LBB15_1432:
	s_mov_b32 s6, -1
                                        ; implicit-def: $vgpr1
.LBB15_1433:
	s_andn2_b32 vcc_lo, exec_lo, s6
	s_cbranch_vccnz .LBB15_1435
; %bb.1434:
	global_load_ushort v1, v[8:9], off
	s_waitcnt vmcnt(0)
	v_cvt_f32_u32_e32 v1, v1
.LBB15_1435:
	s_mov_b32 s6, 0
.LBB15_1436:
	s_andn2_b32 vcc_lo, exec_lo, s6
	s_cbranch_vccnz .LBB15_1444
; %bb.1437:
	global_load_ubyte v10, v[8:9], off
	s_mov_b32 s6, 0
	s_mov_b32 s7, exec_lo
	s_waitcnt vmcnt(0)
	v_cmpx_lt_i16_e32 0x7f, v10
	s_xor_b32 s7, exec_lo, s7
	s_cbranch_execz .LBB15_1458
; %bb.1438:
	s_mov_b32 s6, -1
	s_mov_b32 s14, exec_lo
	v_cmpx_eq_u16_e32 0x80, v10
; %bb.1439:
	s_xor_b32 s6, exec_lo, -1
; %bb.1440:
	s_or_b32 exec_lo, exec_lo, s14
	s_and_b32 s6, s6, exec_lo
	s_or_saveexec_b32 s7, s7
	v_mov_b32_e32 v1, 0x7f800001
	s_xor_b32 exec_lo, exec_lo, s7
	s_cbranch_execnz .LBB15_1459
.LBB15_1441:
	s_or_b32 exec_lo, exec_lo, s7
	s_and_saveexec_b32 s7, s6
	s_cbranch_execz .LBB15_1443
.LBB15_1442:
	v_and_b32_e32 v1, 0xffff, v10
	v_lshlrev_b32_e32 v10, 24, v10
	v_and_b32_e32 v11, 7, v1
	v_bfe_u32 v14, v1, 3, 4
	v_and_b32_e32 v10, 0x80000000, v10
	v_ffbh_u32_e32 v12, v11
	v_cmp_eq_u32_e32 vcc_lo, 0, v14
	v_min_u32_e32 v12, 32, v12
	v_subrev_nc_u32_e32 v13, 28, v12
	v_sub_nc_u32_e32 v12, 29, v12
	v_lshlrev_b32_e32 v1, v13, v1
	v_cndmask_b32_e32 v12, v14, v12, vcc_lo
	v_and_b32_e32 v1, 7, v1
	v_cndmask_b32_e32 v1, v11, v1, vcc_lo
	v_lshl_add_u32 v11, v12, 23, 0x3b800000
	v_lshlrev_b32_e32 v1, 20, v1
	v_or3_b32 v1, v10, v11, v1
.LBB15_1443:
	s_or_b32 exec_lo, exec_lo, s7
.LBB15_1444:
	s_mov_b32 s6, -1
.LBB15_1445:
	s_mov_b32 s7, 0
.LBB15_1446:
	s_and_b32 vcc_lo, exec_lo, s7
	s_cbranch_vccz .LBB15_1479
; %bb.1447:
	s_cmp_gt_i32 s3, 22
	s_cbranch_scc0 .LBB15_1457
; %bb.1448:
	s_cmp_lt_i32 s3, 24
	s_cbranch_scc1 .LBB15_1460
; %bb.1449:
	s_cmp_gt_i32 s3, 24
	s_cbranch_scc0 .LBB15_1461
; %bb.1450:
	global_load_ubyte v10, v[8:9], off
	s_mov_b32 s6, exec_lo
	s_waitcnt vmcnt(0)
	v_cmpx_lt_i16_e32 0x7f, v10
	s_xor_b32 s6, exec_lo, s6
	s_cbranch_execz .LBB15_1473
; %bb.1451:
	s_mov_b32 s5, -1
	s_mov_b32 s7, exec_lo
	v_cmpx_eq_u16_e32 0x80, v10
; %bb.1452:
	s_xor_b32 s5, exec_lo, -1
; %bb.1453:
	s_or_b32 exec_lo, exec_lo, s7
	s_and_b32 s5, s5, exec_lo
	s_or_saveexec_b32 s6, s6
	v_mov_b32_e32 v1, 0x7f800001
	s_xor_b32 exec_lo, exec_lo, s6
	s_cbranch_execnz .LBB15_1474
.LBB15_1454:
	s_or_b32 exec_lo, exec_lo, s6
	s_and_saveexec_b32 s6, s5
	s_cbranch_execz .LBB15_1456
.LBB15_1455:
	v_and_b32_e32 v1, 0xffff, v10
	v_lshlrev_b32_e32 v10, 24, v10
	v_and_b32_e32 v11, 3, v1
	v_bfe_u32 v14, v1, 2, 5
	v_and_b32_e32 v10, 0x80000000, v10
	v_ffbh_u32_e32 v12, v11
	v_cmp_eq_u32_e32 vcc_lo, 0, v14
	v_min_u32_e32 v12, 32, v12
	v_subrev_nc_u32_e32 v13, 29, v12
	v_sub_nc_u32_e32 v12, 30, v12
	v_lshlrev_b32_e32 v1, v13, v1
	v_cndmask_b32_e32 v12, v14, v12, vcc_lo
	v_and_b32_e32 v1, 3, v1
	v_cndmask_b32_e32 v1, v11, v1, vcc_lo
	v_lshl_add_u32 v11, v12, 23, 0x37800000
	v_lshlrev_b32_e32 v1, 21, v1
	v_or3_b32 v1, v10, v11, v1
.LBB15_1456:
	s_or_b32 exec_lo, exec_lo, s6
	s_mov_b32 s5, 0
	s_branch .LBB15_1462
.LBB15_1457:
	s_mov_b32 s5, -1
                                        ; implicit-def: $vgpr1
	s_branch .LBB15_1468
.LBB15_1458:
	s_or_saveexec_b32 s7, s7
	v_mov_b32_e32 v1, 0x7f800001
	s_xor_b32 exec_lo, exec_lo, s7
	s_cbranch_execz .LBB15_1441
.LBB15_1459:
	v_cmp_ne_u16_e32 vcc_lo, 0, v10
	v_mov_b32_e32 v1, 0
	s_andn2_b32 s6, s6, exec_lo
	s_and_b32 s14, vcc_lo, exec_lo
	s_or_b32 s6, s6, s14
	s_or_b32 exec_lo, exec_lo, s7
	s_and_saveexec_b32 s7, s6
	s_cbranch_execnz .LBB15_1442
	s_branch .LBB15_1443
.LBB15_1460:
	s_mov_b32 s5, -1
                                        ; implicit-def: $vgpr1
	s_branch .LBB15_1465
.LBB15_1461:
	s_mov_b32 s5, -1
                                        ; implicit-def: $vgpr1
.LBB15_1462:
	s_and_b32 vcc_lo, exec_lo, s5
	s_cbranch_vccz .LBB15_1464
; %bb.1463:
	global_load_ubyte v1, v[8:9], off
	s_waitcnt vmcnt(0)
	v_lshlrev_b32_e32 v1, 24, v1
	v_and_b32_e32 v10, 0x7f000000, v1
	v_ffbh_u32_e32 v11, v10
	v_add_nc_u32_e32 v13, 0x1000000, v10
	v_cmp_ne_u32_e32 vcc_lo, 0, v10
	v_min_u32_e32 v11, 32, v11
	v_sub_nc_u32_e64 v11, v11, 4 clamp
	v_lshlrev_b32_e32 v12, v11, v10
	v_lshlrev_b32_e32 v11, 23, v11
	v_lshrrev_b32_e32 v12, 4, v12
	v_sub_nc_u32_e32 v11, v12, v11
	v_ashrrev_i32_e32 v12, 8, v13
	v_add_nc_u32_e32 v11, 0x3c000000, v11
	v_and_or_b32 v11, 0x7f800000, v12, v11
	v_cndmask_b32_e32 v10, 0, v11, vcc_lo
	v_and_or_b32 v1, 0x80000000, v1, v10
.LBB15_1464:
	s_mov_b32 s5, 0
.LBB15_1465:
	s_andn2_b32 vcc_lo, exec_lo, s5
	s_cbranch_vccnz .LBB15_1467
; %bb.1466:
	global_load_ubyte v1, v[8:9], off
	s_waitcnt vmcnt(0)
	v_lshlrev_b32_e32 v10, 25, v1
	v_lshlrev_b16 v1, 8, v1
	v_lshrrev_b32_e32 v11, 4, v10
	v_and_or_b32 v12, 0x7f00, v1, 0.5
	v_cmp_gt_u32_e32 vcc_lo, 0x8000000, v10
	v_bfe_i32 v1, v1, 0, 16
	v_or_b32_e32 v11, 0x70000000, v11
	v_add_f32_e32 v12, -0.5, v12
	v_mul_f32_e32 v11, 0x7800000, v11
	v_cndmask_b32_e32 v10, v11, v12, vcc_lo
	v_and_or_b32 v1, 0x80000000, v1, v10
.LBB15_1467:
	s_mov_b32 s5, 0
	s_mov_b32 s6, -1
.LBB15_1468:
	s_andn2_b32 vcc_lo, exec_lo, s5
	s_mov_b32 s5, 0
	s_cbranch_vccnz .LBB15_1479
; %bb.1469:
	s_cmp_gt_i32 s3, 14
	s_cbranch_scc0 .LBB15_1472
; %bb.1470:
	s_cmp_eq_u32 s3, 15
	s_cbranch_scc0 .LBB15_1475
; %bb.1471:
	global_load_ushort v1, v[8:9], off
	s_mov_b32 s4, 0
	s_mov_b32 s6, -1
	s_waitcnt vmcnt(0)
	v_lshlrev_b32_e32 v1, 16, v1
	s_branch .LBB15_1477
.LBB15_1472:
	s_mov_b32 s5, -1
	s_branch .LBB15_1476
.LBB15_1473:
	s_or_saveexec_b32 s6, s6
	v_mov_b32_e32 v1, 0x7f800001
	s_xor_b32 exec_lo, exec_lo, s6
	s_cbranch_execz .LBB15_1454
.LBB15_1474:
	v_cmp_ne_u16_e32 vcc_lo, 0, v10
	v_mov_b32_e32 v1, 0
	s_andn2_b32 s5, s5, exec_lo
	s_and_b32 s7, vcc_lo, exec_lo
	s_or_b32 s5, s5, s7
	s_or_b32 exec_lo, exec_lo, s6
	s_and_saveexec_b32 s6, s5
	s_cbranch_execnz .LBB15_1455
	s_branch .LBB15_1456
.LBB15_1475:
	s_mov_b32 s4, -1
.LBB15_1476:
                                        ; implicit-def: $vgpr1
.LBB15_1477:
	s_and_b32 vcc_lo, exec_lo, s5
	s_mov_b32 s5, 0
	s_cbranch_vccz .LBB15_1479
; %bb.1478:
	s_cmp_lg_u32 s3, 11
	s_mov_b32 s5, -1
	s_cselect_b32 s4, -1, 0
.LBB15_1479:
	s_and_b32 vcc_lo, exec_lo, s4
	s_cbranch_vccnz .LBB15_1542
; %bb.1480:
	s_andn2_b32 vcc_lo, exec_lo, s5
	s_cbranch_vccnz .LBB15_1482
.LBB15_1481:
	global_load_ubyte v1, v[8:9], off
	s_mov_b32 s6, -1
	s_waitcnt vmcnt(0)
	v_cmp_ne_u16_e32 vcc_lo, 0, v1
	v_cndmask_b32_e64 v1, 0, 1.0, vcc_lo
.LBB15_1482:
	s_branch .LBB15_1409
.LBB15_1483:
	s_and_b32 s3, 0xffff, s0
	s_cmp_lt_i32 s3, 5
	s_cbranch_scc1 .LBB15_1488
; %bb.1484:
	s_cmp_lt_i32 s3, 8
	s_cbranch_scc1 .LBB15_1489
; %bb.1485:
	;; [unrolled: 3-line block ×3, first 2 shown]
	s_cmp_gt_i32 s3, 9
	s_cbranch_scc0 .LBB15_1491
; %bb.1487:
	global_load_dwordx2 v[10:11], v[8:9], off
	s_mov_b32 s4, 0
	s_waitcnt vmcnt(0)
	v_cvt_f32_f64_e32 v1, v[10:11]
	s_branch .LBB15_1492
.LBB15_1488:
	s_mov_b32 s4, -1
                                        ; implicit-def: $vgpr1
	s_branch .LBB15_1510
.LBB15_1489:
	s_mov_b32 s4, -1
                                        ; implicit-def: $vgpr1
	s_branch .LBB15_1498
.LBB15_1490:
	s_mov_b32 s4, -1
                                        ; implicit-def: $vgpr1
	s_branch .LBB15_1495
.LBB15_1491:
	s_mov_b32 s4, -1
                                        ; implicit-def: $vgpr1
.LBB15_1492:
	s_andn2_b32 vcc_lo, exec_lo, s4
	s_cbranch_vccnz .LBB15_1494
; %bb.1493:
	global_load_dword v1, v[8:9], off
.LBB15_1494:
	s_mov_b32 s4, 0
.LBB15_1495:
	s_andn2_b32 vcc_lo, exec_lo, s4
	s_cbranch_vccnz .LBB15_1497
; %bb.1496:
	global_load_dword v1, v[8:9], off
	s_waitcnt vmcnt(0)
	v_cvt_f32_f16_e32 v1, v1
.LBB15_1497:
	s_mov_b32 s4, 0
.LBB15_1498:
	s_andn2_b32 vcc_lo, exec_lo, s4
	s_cbranch_vccnz .LBB15_1509
; %bb.1499:
	s_cmp_lt_i32 s3, 6
	s_cbranch_scc1 .LBB15_1502
; %bb.1500:
	s_cmp_gt_i32 s3, 6
	s_cbranch_scc0 .LBB15_1503
; %bb.1501:
	global_load_dwordx2 v[10:11], v[8:9], off
	s_mov_b32 s4, 0
	s_waitcnt vmcnt(0)
	v_cvt_f32_f64_e32 v1, v[10:11]
	s_branch .LBB15_1504
.LBB15_1502:
	s_mov_b32 s4, -1
                                        ; implicit-def: $vgpr1
	s_branch .LBB15_1507
.LBB15_1503:
	s_mov_b32 s4, -1
                                        ; implicit-def: $vgpr1
.LBB15_1504:
	s_andn2_b32 vcc_lo, exec_lo, s4
	s_cbranch_vccnz .LBB15_1506
; %bb.1505:
	global_load_dword v1, v[8:9], off
.LBB15_1506:
	s_mov_b32 s4, 0
.LBB15_1507:
	s_andn2_b32 vcc_lo, exec_lo, s4
	s_cbranch_vccnz .LBB15_1509
; %bb.1508:
	global_load_ushort v1, v[8:9], off
	s_waitcnt vmcnt(0)
	v_cvt_f32_f16_e32 v1, v1
.LBB15_1509:
	s_mov_b32 s4, 0
.LBB15_1510:
	s_andn2_b32 vcc_lo, exec_lo, s4
	s_cbranch_vccnz .LBB15_1530
; %bb.1511:
	s_cmp_lt_i32 s3, 2
	s_cbranch_scc1 .LBB15_1515
; %bb.1512:
	s_cmp_lt_i32 s3, 3
	s_cbranch_scc1 .LBB15_1516
; %bb.1513:
	s_cmp_gt_i32 s3, 3
	s_cbranch_scc0 .LBB15_1517
; %bb.1514:
	global_load_dwordx2 v[10:11], v[8:9], off
	s_mov_b32 s4, 0
	s_waitcnt vmcnt(0)
	v_xor_b32_e32 v1, v10, v11
	v_ffbh_i32_e32 v12, v11
	v_ashrrev_i32_e32 v1, 31, v1
	v_add_nc_u32_e32 v12, -1, v12
	v_add_nc_u32_e32 v1, 32, v1
	v_min_u32_e32 v1, v12, v1
	v_lshlrev_b64 v[10:11], v1, v[10:11]
	v_sub_nc_u32_e32 v1, 32, v1
	v_min_u32_e32 v10, 1, v10
	v_or_b32_e32 v10, v11, v10
	v_cvt_f32_i32_e32 v10, v10
	v_ldexp_f32 v1, v10, v1
	s_branch .LBB15_1518
.LBB15_1515:
	s_mov_b32 s4, -1
                                        ; implicit-def: $vgpr1
	s_branch .LBB15_1524
.LBB15_1516:
	s_mov_b32 s4, -1
                                        ; implicit-def: $vgpr1
	s_branch .LBB15_1521
.LBB15_1517:
	s_mov_b32 s4, -1
                                        ; implicit-def: $vgpr1
.LBB15_1518:
	s_andn2_b32 vcc_lo, exec_lo, s4
	s_cbranch_vccnz .LBB15_1520
; %bb.1519:
	global_load_dword v1, v[8:9], off
	s_waitcnt vmcnt(0)
	v_cvt_f32_i32_e32 v1, v1
.LBB15_1520:
	s_mov_b32 s4, 0
.LBB15_1521:
	s_andn2_b32 vcc_lo, exec_lo, s4
	s_cbranch_vccnz .LBB15_1523
; %bb.1522:
	global_load_sshort v1, v[8:9], off
	s_waitcnt vmcnt(0)
	v_cvt_f32_i32_e32 v1, v1
.LBB15_1523:
	s_mov_b32 s4, 0
.LBB15_1524:
	s_andn2_b32 vcc_lo, exec_lo, s4
	s_cbranch_vccnz .LBB15_1530
; %bb.1525:
	s_cmp_gt_i32 s3, 0
	s_mov_b32 s3, 0
	s_cbranch_scc0 .LBB15_1527
; %bb.1526:
	global_load_sbyte v1, v[8:9], off
	s_waitcnt vmcnt(0)
	v_cvt_f32_i32_e32 v1, v1
	s_branch .LBB15_1528
.LBB15_1527:
	s_mov_b32 s3, -1
                                        ; implicit-def: $vgpr1
.LBB15_1528:
	s_andn2_b32 vcc_lo, exec_lo, s3
	s_cbranch_vccnz .LBB15_1530
; %bb.1529:
	global_load_ubyte v1, v[8:9], off
	s_waitcnt vmcnt(0)
	v_cvt_f32_ubyte0_e32 v1, v1
.LBB15_1530:
.LBB15_1531:
	v_add_co_u32 v7, s3, s10, v7
	v_add_co_ci_u32_e64 v8, null, s11, 0, s3
	s_cmp_lt_i32 s0, 11
	s_cbranch_scc1 .LBB15_1538
; %bb.1532:
	s_and_b32 s3, 0xffff, s0
	s_mov_b32 s5, 0
	s_cmp_gt_i32 s3, 25
	s_cbranch_scc0 .LBB15_1539
; %bb.1533:
	s_cmp_gt_i32 s3, 28
	s_cbranch_scc0 .LBB15_1540
; %bb.1534:
	;; [unrolled: 3-line block ×4, first 2 shown]
	s_cmp_eq_u32 s3, 46
	s_mov_b32 s7, 0
	s_cbranch_scc0 .LBB15_1544
; %bb.1537:
	global_load_dword v9, v[7:8], off
	s_mov_b32 s4, 0
	s_mov_b32 s6, -1
	s_waitcnt vmcnt(0)
	v_lshlrev_b32_e32 v9, 16, v9
	s_branch .LBB15_1546
.LBB15_1538:
	s_mov_b32 s3, -1
	s_mov_b32 s6, 0
                                        ; implicit-def: $vgpr9
	s_branch .LBB15_1612
.LBB15_1539:
	s_mov_b32 s7, -1
	s_mov_b32 s6, 0
	s_mov_b32 s4, 0
                                        ; implicit-def: $vgpr9
	s_branch .LBB15_1575
.LBB15_1540:
	s_mov_b32 s7, -1
	s_mov_b32 s6, 0
	s_mov_b32 s4, 0
                                        ; implicit-def: $vgpr9
	s_branch .LBB15_1556
.LBB15_1541:
	s_mov_b32 s7, -1
	s_mov_b32 s6, 0
	s_mov_b32 s4, 0
                                        ; implicit-def: $vgpr9
	s_branch .LBB15_1551
.LBB15_1542:
	s_or_b32 s1, s1, exec_lo
	s_trap 2
	s_cbranch_execz .LBB15_1481
	s_branch .LBB15_1482
.LBB15_1543:
	s_mov_b32 s7, -1
	s_mov_b32 s6, 0
	s_mov_b32 s4, 0
	s_branch .LBB15_1545
.LBB15_1544:
	s_mov_b32 s4, -1
	s_mov_b32 s6, 0
.LBB15_1545:
                                        ; implicit-def: $vgpr9
.LBB15_1546:
	s_and_b32 vcc_lo, exec_lo, s7
	s_cbranch_vccz .LBB15_1550
; %bb.1547:
	s_cmp_eq_u32 s3, 44
	s_cbranch_scc0 .LBB15_1549
; %bb.1548:
	global_load_ubyte v9, v[7:8], off
	s_mov_b32 s4, 0
	s_mov_b32 s6, -1
	s_waitcnt vmcnt(0)
	v_lshlrev_b32_e32 v10, 23, v9
	v_cmp_ne_u32_e32 vcc_lo, 0xff, v9
	v_cndmask_b32_e32 v10, 0x7f800001, v10, vcc_lo
	v_cmp_ne_u32_e32 vcc_lo, 0, v9
	v_cndmask_b32_e32 v9, 0x400000, v10, vcc_lo
	s_branch .LBB15_1550
.LBB15_1549:
	s_mov_b32 s4, -1
                                        ; implicit-def: $vgpr9
.LBB15_1550:
	s_mov_b32 s7, 0
.LBB15_1551:
	s_and_b32 vcc_lo, exec_lo, s7
	s_cbranch_vccz .LBB15_1555
; %bb.1552:
	s_cmp_eq_u32 s3, 29
	s_cbranch_scc0 .LBB15_1554
; %bb.1553:
	global_load_dwordx2 v[9:10], v[7:8], off
	s_mov_b32 s4, 0
	s_mov_b32 s6, -1
	s_mov_b32 s7, 0
	s_waitcnt vmcnt(0)
	v_ffbh_u32_e32 v11, v10
	v_min_u32_e32 v11, 32, v11
	v_lshlrev_b64 v[9:10], v11, v[9:10]
	v_min_u32_e32 v9, 1, v9
	v_or_b32_e32 v9, v10, v9
	v_sub_nc_u32_e32 v10, 32, v11
	v_cvt_f32_u32_e32 v9, v9
	v_ldexp_f32 v9, v9, v10
	s_branch .LBB15_1556
.LBB15_1554:
	s_mov_b32 s4, -1
                                        ; implicit-def: $vgpr9
.LBB15_1555:
	s_mov_b32 s7, 0
.LBB15_1556:
	s_and_b32 vcc_lo, exec_lo, s7
	s_cbranch_vccz .LBB15_1574
; %bb.1557:
	s_cmp_lt_i32 s3, 27
	s_cbranch_scc1 .LBB15_1560
; %bb.1558:
	s_cmp_gt_i32 s3, 27
	s_cbranch_scc0 .LBB15_1561
; %bb.1559:
	global_load_dword v9, v[7:8], off
	s_mov_b32 s6, 0
	s_waitcnt vmcnt(0)
	v_cvt_f32_u32_e32 v9, v9
	s_branch .LBB15_1562
.LBB15_1560:
	s_mov_b32 s6, -1
                                        ; implicit-def: $vgpr9
	s_branch .LBB15_1565
.LBB15_1561:
	s_mov_b32 s6, -1
                                        ; implicit-def: $vgpr9
.LBB15_1562:
	s_andn2_b32 vcc_lo, exec_lo, s6
	s_cbranch_vccnz .LBB15_1564
; %bb.1563:
	global_load_ushort v9, v[7:8], off
	s_waitcnt vmcnt(0)
	v_cvt_f32_u32_e32 v9, v9
.LBB15_1564:
	s_mov_b32 s6, 0
.LBB15_1565:
	s_andn2_b32 vcc_lo, exec_lo, s6
	s_cbranch_vccnz .LBB15_1573
; %bb.1566:
	global_load_ubyte v10, v[7:8], off
	s_mov_b32 s6, 0
	s_mov_b32 s7, exec_lo
	s_waitcnt vmcnt(0)
	v_cmpx_lt_i16_e32 0x7f, v10
	s_xor_b32 s7, exec_lo, s7
	s_cbranch_execz .LBB15_1587
; %bb.1567:
	s_mov_b32 s6, -1
	s_mov_b32 s10, exec_lo
	v_cmpx_eq_u16_e32 0x80, v10
; %bb.1568:
	s_xor_b32 s6, exec_lo, -1
; %bb.1569:
	s_or_b32 exec_lo, exec_lo, s10
	s_and_b32 s6, s6, exec_lo
	s_or_saveexec_b32 s7, s7
	v_mov_b32_e32 v9, 0x7f800001
	s_xor_b32 exec_lo, exec_lo, s7
	s_cbranch_execnz .LBB15_1588
.LBB15_1570:
	s_or_b32 exec_lo, exec_lo, s7
	s_and_saveexec_b32 s7, s6
	s_cbranch_execz .LBB15_1572
.LBB15_1571:
	v_and_b32_e32 v9, 0xffff, v10
	v_lshlrev_b32_e32 v10, 24, v10
	v_and_b32_e32 v11, 7, v9
	v_bfe_u32 v14, v9, 3, 4
	v_and_b32_e32 v10, 0x80000000, v10
	v_ffbh_u32_e32 v12, v11
	v_cmp_eq_u32_e32 vcc_lo, 0, v14
	v_min_u32_e32 v12, 32, v12
	v_subrev_nc_u32_e32 v13, 28, v12
	v_sub_nc_u32_e32 v12, 29, v12
	v_lshlrev_b32_e32 v9, v13, v9
	v_cndmask_b32_e32 v12, v14, v12, vcc_lo
	v_and_b32_e32 v9, 7, v9
	v_cndmask_b32_e32 v9, v11, v9, vcc_lo
	v_lshl_add_u32 v11, v12, 23, 0x3b800000
	v_lshlrev_b32_e32 v9, 20, v9
	v_or3_b32 v9, v10, v11, v9
.LBB15_1572:
	s_or_b32 exec_lo, exec_lo, s7
.LBB15_1573:
	s_mov_b32 s6, -1
.LBB15_1574:
	s_mov_b32 s7, 0
.LBB15_1575:
	s_and_b32 vcc_lo, exec_lo, s7
	s_cbranch_vccz .LBB15_1608
; %bb.1576:
	s_cmp_gt_i32 s3, 22
	s_cbranch_scc0 .LBB15_1586
; %bb.1577:
	s_cmp_lt_i32 s3, 24
	s_cbranch_scc1 .LBB15_1589
; %bb.1578:
	s_cmp_gt_i32 s3, 24
	s_cbranch_scc0 .LBB15_1590
; %bb.1579:
	global_load_ubyte v10, v[7:8], off
	s_mov_b32 s6, exec_lo
	s_waitcnt vmcnt(0)
	v_cmpx_lt_i16_e32 0x7f, v10
	s_xor_b32 s6, exec_lo, s6
	s_cbranch_execz .LBB15_1602
; %bb.1580:
	s_mov_b32 s5, -1
	s_mov_b32 s7, exec_lo
	v_cmpx_eq_u16_e32 0x80, v10
; %bb.1581:
	s_xor_b32 s5, exec_lo, -1
; %bb.1582:
	s_or_b32 exec_lo, exec_lo, s7
	s_and_b32 s5, s5, exec_lo
	s_or_saveexec_b32 s6, s6
	v_mov_b32_e32 v9, 0x7f800001
	s_xor_b32 exec_lo, exec_lo, s6
	s_cbranch_execnz .LBB15_1603
.LBB15_1583:
	s_or_b32 exec_lo, exec_lo, s6
	s_and_saveexec_b32 s6, s5
	s_cbranch_execz .LBB15_1585
.LBB15_1584:
	v_and_b32_e32 v9, 0xffff, v10
	v_lshlrev_b32_e32 v10, 24, v10
	v_and_b32_e32 v11, 3, v9
	v_bfe_u32 v14, v9, 2, 5
	v_and_b32_e32 v10, 0x80000000, v10
	v_ffbh_u32_e32 v12, v11
	v_cmp_eq_u32_e32 vcc_lo, 0, v14
	v_min_u32_e32 v12, 32, v12
	v_subrev_nc_u32_e32 v13, 29, v12
	v_sub_nc_u32_e32 v12, 30, v12
	v_lshlrev_b32_e32 v9, v13, v9
	v_cndmask_b32_e32 v12, v14, v12, vcc_lo
	v_and_b32_e32 v9, 3, v9
	v_cndmask_b32_e32 v9, v11, v9, vcc_lo
	v_lshl_add_u32 v11, v12, 23, 0x37800000
	v_lshlrev_b32_e32 v9, 21, v9
	v_or3_b32 v9, v10, v11, v9
.LBB15_1585:
	s_or_b32 exec_lo, exec_lo, s6
	s_mov_b32 s5, 0
	s_branch .LBB15_1591
.LBB15_1586:
	s_mov_b32 s5, -1
                                        ; implicit-def: $vgpr9
	s_branch .LBB15_1597
.LBB15_1587:
	s_or_saveexec_b32 s7, s7
	v_mov_b32_e32 v9, 0x7f800001
	s_xor_b32 exec_lo, exec_lo, s7
	s_cbranch_execz .LBB15_1570
.LBB15_1588:
	v_cmp_ne_u16_e32 vcc_lo, 0, v10
	v_mov_b32_e32 v9, 0
	s_andn2_b32 s6, s6, exec_lo
	s_and_b32 s10, vcc_lo, exec_lo
	s_or_b32 s6, s6, s10
	s_or_b32 exec_lo, exec_lo, s7
	s_and_saveexec_b32 s7, s6
	s_cbranch_execnz .LBB15_1571
	s_branch .LBB15_1572
.LBB15_1589:
	s_mov_b32 s5, -1
                                        ; implicit-def: $vgpr9
	s_branch .LBB15_1594
.LBB15_1590:
	s_mov_b32 s5, -1
                                        ; implicit-def: $vgpr9
.LBB15_1591:
	s_and_b32 vcc_lo, exec_lo, s5
	s_cbranch_vccz .LBB15_1593
; %bb.1592:
	global_load_ubyte v9, v[7:8], off
	s_waitcnt vmcnt(0)
	v_lshlrev_b32_e32 v9, 24, v9
	v_and_b32_e32 v10, 0x7f000000, v9
	v_ffbh_u32_e32 v11, v10
	v_add_nc_u32_e32 v13, 0x1000000, v10
	v_cmp_ne_u32_e32 vcc_lo, 0, v10
	v_min_u32_e32 v11, 32, v11
	v_sub_nc_u32_e64 v11, v11, 4 clamp
	v_lshlrev_b32_e32 v12, v11, v10
	v_lshlrev_b32_e32 v11, 23, v11
	v_lshrrev_b32_e32 v12, 4, v12
	v_sub_nc_u32_e32 v11, v12, v11
	v_ashrrev_i32_e32 v12, 8, v13
	v_add_nc_u32_e32 v11, 0x3c000000, v11
	v_and_or_b32 v11, 0x7f800000, v12, v11
	v_cndmask_b32_e32 v10, 0, v11, vcc_lo
	v_and_or_b32 v9, 0x80000000, v9, v10
.LBB15_1593:
	s_mov_b32 s5, 0
.LBB15_1594:
	s_andn2_b32 vcc_lo, exec_lo, s5
	s_cbranch_vccnz .LBB15_1596
; %bb.1595:
	global_load_ubyte v9, v[7:8], off
	s_waitcnt vmcnt(0)
	v_lshlrev_b32_e32 v10, 25, v9
	v_lshlrev_b16 v9, 8, v9
	v_lshrrev_b32_e32 v11, 4, v10
	v_and_or_b32 v12, 0x7f00, v9, 0.5
	v_cmp_gt_u32_e32 vcc_lo, 0x8000000, v10
	v_bfe_i32 v9, v9, 0, 16
	v_or_b32_e32 v11, 0x70000000, v11
	v_add_f32_e32 v12, -0.5, v12
	v_mul_f32_e32 v11, 0x7800000, v11
	v_cndmask_b32_e32 v10, v11, v12, vcc_lo
	v_and_or_b32 v9, 0x80000000, v9, v10
.LBB15_1596:
	s_mov_b32 s5, 0
	s_mov_b32 s6, -1
.LBB15_1597:
	s_andn2_b32 vcc_lo, exec_lo, s5
	s_mov_b32 s5, 0
	s_cbranch_vccnz .LBB15_1608
; %bb.1598:
	s_cmp_gt_i32 s3, 14
	s_cbranch_scc0 .LBB15_1601
; %bb.1599:
	s_cmp_eq_u32 s3, 15
	s_cbranch_scc0 .LBB15_1604
; %bb.1600:
	global_load_ushort v9, v[7:8], off
	s_mov_b32 s4, 0
	s_mov_b32 s6, -1
	s_waitcnt vmcnt(0)
	v_lshlrev_b32_e32 v9, 16, v9
	s_branch .LBB15_1606
.LBB15_1601:
	s_mov_b32 s5, -1
	s_branch .LBB15_1605
.LBB15_1602:
	s_or_saveexec_b32 s6, s6
	v_mov_b32_e32 v9, 0x7f800001
	s_xor_b32 exec_lo, exec_lo, s6
	s_cbranch_execz .LBB15_1583
.LBB15_1603:
	v_cmp_ne_u16_e32 vcc_lo, 0, v10
	v_mov_b32_e32 v9, 0
	s_andn2_b32 s5, s5, exec_lo
	s_and_b32 s7, vcc_lo, exec_lo
	s_or_b32 s5, s5, s7
	s_or_b32 exec_lo, exec_lo, s6
	s_and_saveexec_b32 s6, s5
	s_cbranch_execnz .LBB15_1584
	s_branch .LBB15_1585
.LBB15_1604:
	s_mov_b32 s4, -1
.LBB15_1605:
                                        ; implicit-def: $vgpr9
.LBB15_1606:
	s_and_b32 vcc_lo, exec_lo, s5
	s_mov_b32 s5, 0
	s_cbranch_vccz .LBB15_1608
; %bb.1607:
	s_cmp_lg_u32 s3, 11
	s_mov_b32 s5, -1
	s_cselect_b32 s4, -1, 0
.LBB15_1608:
	s_and_b32 vcc_lo, exec_lo, s4
	s_cbranch_vccnz .LBB15_2141
; %bb.1609:
	s_andn2_b32 vcc_lo, exec_lo, s5
	s_cbranch_vccnz .LBB15_1611
.LBB15_1610:
	global_load_ubyte v9, v[7:8], off
	s_mov_b32 s6, -1
	s_waitcnt vmcnt(0)
	v_cmp_ne_u16_e32 vcc_lo, 0, v9
	v_cndmask_b32_e64 v9, 0, 1.0, vcc_lo
.LBB15_1611:
	s_mov_b32 s3, 0
.LBB15_1612:
	s_and_b32 vcc_lo, exec_lo, s3
	s_cbranch_vccz .LBB15_1661
; %bb.1613:
	s_and_b32 s0, 0xffff, s0
	s_cmp_lt_i32 s0, 5
	s_cbranch_scc1 .LBB15_1618
; %bb.1614:
	s_cmp_lt_i32 s0, 8
	s_cbranch_scc1 .LBB15_1619
; %bb.1615:
	;; [unrolled: 3-line block ×3, first 2 shown]
	s_cmp_gt_i32 s0, 9
	s_cbranch_scc0 .LBB15_1621
; %bb.1617:
	global_load_dwordx2 v[9:10], v[7:8], off
	s_mov_b32 s3, 0
	s_waitcnt vmcnt(0)
	v_cvt_f32_f64_e32 v9, v[9:10]
	s_branch .LBB15_1622
.LBB15_1618:
	s_mov_b32 s3, -1
                                        ; implicit-def: $vgpr9
	s_branch .LBB15_1640
.LBB15_1619:
	s_mov_b32 s3, -1
                                        ; implicit-def: $vgpr9
	s_branch .LBB15_1628
.LBB15_1620:
	s_mov_b32 s3, -1
                                        ; implicit-def: $vgpr9
	s_branch .LBB15_1625
.LBB15_1621:
	s_mov_b32 s3, -1
                                        ; implicit-def: $vgpr9
.LBB15_1622:
	s_andn2_b32 vcc_lo, exec_lo, s3
	s_cbranch_vccnz .LBB15_1624
; %bb.1623:
	global_load_dword v9, v[7:8], off
.LBB15_1624:
	s_mov_b32 s3, 0
.LBB15_1625:
	s_andn2_b32 vcc_lo, exec_lo, s3
	s_cbranch_vccnz .LBB15_1627
; %bb.1626:
	global_load_dword v9, v[7:8], off
	s_waitcnt vmcnt(0)
	v_cvt_f32_f16_e32 v9, v9
.LBB15_1627:
	s_mov_b32 s3, 0
.LBB15_1628:
	s_andn2_b32 vcc_lo, exec_lo, s3
	s_cbranch_vccnz .LBB15_1639
; %bb.1629:
	s_cmp_lt_i32 s0, 6
	s_cbranch_scc1 .LBB15_1632
; %bb.1630:
	s_cmp_gt_i32 s0, 6
	s_cbranch_scc0 .LBB15_1633
; %bb.1631:
	global_load_dwordx2 v[9:10], v[7:8], off
	s_mov_b32 s3, 0
	s_waitcnt vmcnt(0)
	v_cvt_f32_f64_e32 v9, v[9:10]
	s_branch .LBB15_1634
.LBB15_1632:
	s_mov_b32 s3, -1
                                        ; implicit-def: $vgpr9
	s_branch .LBB15_1637
.LBB15_1633:
	s_mov_b32 s3, -1
                                        ; implicit-def: $vgpr9
.LBB15_1634:
	s_andn2_b32 vcc_lo, exec_lo, s3
	s_cbranch_vccnz .LBB15_1636
; %bb.1635:
	global_load_dword v9, v[7:8], off
.LBB15_1636:
	s_mov_b32 s3, 0
.LBB15_1637:
	s_andn2_b32 vcc_lo, exec_lo, s3
	s_cbranch_vccnz .LBB15_1639
; %bb.1638:
	global_load_ushort v9, v[7:8], off
	s_waitcnt vmcnt(0)
	v_cvt_f32_f16_e32 v9, v9
.LBB15_1639:
	s_mov_b32 s3, 0
.LBB15_1640:
	s_andn2_b32 vcc_lo, exec_lo, s3
	s_cbranch_vccnz .LBB15_1660
; %bb.1641:
	s_cmp_lt_i32 s0, 2
	s_cbranch_scc1 .LBB15_1645
; %bb.1642:
	s_cmp_lt_i32 s0, 3
	s_cbranch_scc1 .LBB15_1646
; %bb.1643:
	s_cmp_gt_i32 s0, 3
	s_cbranch_scc0 .LBB15_1647
; %bb.1644:
	global_load_dwordx2 v[9:10], v[7:8], off
	s_mov_b32 s3, 0
	s_waitcnt vmcnt(0)
	v_xor_b32_e32 v11, v9, v10
	v_ffbh_i32_e32 v12, v10
	v_ashrrev_i32_e32 v11, 31, v11
	v_add_nc_u32_e32 v12, -1, v12
	v_add_nc_u32_e32 v11, 32, v11
	v_min_u32_e32 v11, v12, v11
	v_lshlrev_b64 v[9:10], v11, v[9:10]
	v_min_u32_e32 v9, 1, v9
	v_or_b32_e32 v9, v10, v9
	v_sub_nc_u32_e32 v10, 32, v11
	v_cvt_f32_i32_e32 v9, v9
	v_ldexp_f32 v9, v9, v10
	s_branch .LBB15_1648
.LBB15_1645:
	s_mov_b32 s3, -1
                                        ; implicit-def: $vgpr9
	s_branch .LBB15_1654
.LBB15_1646:
	s_mov_b32 s3, -1
                                        ; implicit-def: $vgpr9
	s_branch .LBB15_1651
.LBB15_1647:
	s_mov_b32 s3, -1
                                        ; implicit-def: $vgpr9
.LBB15_1648:
	s_andn2_b32 vcc_lo, exec_lo, s3
	s_cbranch_vccnz .LBB15_1650
; %bb.1649:
	global_load_dword v9, v[7:8], off
	s_waitcnt vmcnt(0)
	v_cvt_f32_i32_e32 v9, v9
.LBB15_1650:
	s_mov_b32 s3, 0
.LBB15_1651:
	s_andn2_b32 vcc_lo, exec_lo, s3
	s_cbranch_vccnz .LBB15_1653
; %bb.1652:
	global_load_sshort v9, v[7:8], off
	s_waitcnt vmcnt(0)
	v_cvt_f32_i32_e32 v9, v9
.LBB15_1653:
	s_mov_b32 s3, 0
.LBB15_1654:
	s_andn2_b32 vcc_lo, exec_lo, s3
	s_cbranch_vccnz .LBB15_1660
; %bb.1655:
	s_cmp_gt_i32 s0, 0
	s_mov_b32 s0, 0
	s_cbranch_scc0 .LBB15_1657
; %bb.1656:
	global_load_sbyte v9, v[7:8], off
	s_waitcnt vmcnt(0)
	v_cvt_f32_i32_e32 v9, v9
	s_branch .LBB15_1658
.LBB15_1657:
	s_mov_b32 s0, -1
                                        ; implicit-def: $vgpr9
.LBB15_1658:
	s_andn2_b32 vcc_lo, exec_lo, s0
	s_cbranch_vccnz .LBB15_1660
; %bb.1659:
	global_load_ubyte v7, v[7:8], off
	s_waitcnt vmcnt(0)
	v_cvt_f32_ubyte0_e32 v9, v7
.LBB15_1660:
	s_mov_b32 s6, -1
.LBB15_1661:
	s_andn2_b32 vcc_lo, exec_lo, s6
	s_cbranch_vccnz .LBB15_2095
; %bb.1662:
	s_waitcnt vmcnt(0)
	v_rcp_f32_e64 v7, |v5|
	v_cmp_gt_f32_e64 vcc_lo, |v5|, 1.0
	s_mov_b32 s0, 0x3b2d2a58
	s_bfe_u32 s3, s2, 0x80008
	s_cmp_lt_i32 s3, 11
	v_cndmask_b32_e64 v7, |v5|, v7, vcc_lo
	v_mul_f32_e32 v8, v7, v7
	v_fmaak_f32 v10, s0, v8, 0xbc7a590c
	v_fmaak_f32 v10, v8, v10, 0x3d29fb3f
	;; [unrolled: 1-line block ×7, first 2 shown]
	v_mul_f32_e32 v8, v8, v10
	v_fmac_f32_e32 v7, v7, v8
	v_sub_f32_e32 v8, 0x3fc90fdb, v7
	v_cndmask_b32_e32 v8, v7, v8, vcc_lo
	v_bfi_b32 v7, 0x7fffffff, v8, v5
	v_add_co_u32 v5, s0, s8, v6
	v_add_co_ci_u32_e64 v6, null, s9, 0, s0
	s_cbranch_scc1 .LBB15_1740
; %bb.1663:
	s_and_b32 s4, 0xffff, s3
	s_mov_b32 s7, -1
	s_mov_b32 s5, 0
	s_cmp_gt_i32 s4, 25
	s_mov_b32 s6, 0
	s_mov_b32 s0, 0
	s_cbranch_scc0 .LBB15_1696
; %bb.1664:
	s_cmp_gt_i32 s4, 28
	s_cbranch_scc0 .LBB15_1679
; %bb.1665:
	s_cmp_gt_i32 s4, 43
	;; [unrolled: 3-line block ×3, first 2 shown]
	s_cbranch_scc0 .LBB15_1669
; %bb.1667:
	s_mov_b32 s0, -1
	s_mov_b32 s7, 0
	s_cmp_eq_u32 s4, 46
	s_cbranch_scc0 .LBB15_1669
; %bb.1668:
	v_bfe_u32 v10, v7, 16, 1
	v_cmp_o_f32_e32 vcc_lo, v7, v7
	v_mov_b32_e32 v11, 0x7fc0
	s_mov_b32 s0, 0
	s_mov_b32 s6, -1
	v_add3_u32 v10, v7, v10, 0x7fff
	v_cndmask_b32_sdwa v10, v11, v10, vcc_lo dst_sel:DWORD dst_unused:UNUSED_PAD src0_sel:DWORD src1_sel:WORD_1
	global_store_dword v[5:6], v10, off
.LBB15_1669:
	s_and_b32 vcc_lo, exec_lo, s7
	s_cbranch_vccz .LBB15_1674
; %bb.1670:
	s_cmp_eq_u32 s4, 44
	s_mov_b32 s0, -1
	s_cbranch_scc0 .LBB15_1674
; %bb.1671:
	v_bfe_u32 v11, v7, 23, 8
	v_mov_b32_e32 v10, 0xff
	s_mov_b32 s6, exec_lo
	v_cmpx_ne_u32_e32 0xff, v11
	s_cbranch_execz .LBB15_1673
; %bb.1672:
	v_and_b32_e32 v10, 0x400000, v7
	v_and_or_b32 v11, 0x3fffff, v7, v11
	v_cmp_ne_u32_e32 vcc_lo, 0, v10
	v_cmp_ne_u32_e64 s0, 0, v11
	v_lshrrev_b32_e32 v10, 23, v7
	s_and_b32 s0, vcc_lo, s0
	v_cndmask_b32_e64 v11, 0, 1, s0
	v_add_nc_u32_e32 v10, v10, v11
.LBB15_1673:
	s_or_b32 exec_lo, exec_lo, s6
	s_mov_b32 s0, 0
	s_mov_b32 s6, -1
	global_store_byte v[5:6], v10, off
.LBB15_1674:
	s_mov_b32 s7, 0
.LBB15_1675:
	s_and_b32 vcc_lo, exec_lo, s7
	s_cbranch_vccz .LBB15_1678
; %bb.1676:
	s_cmp_eq_u32 s4, 29
	s_mov_b32 s0, -1
	s_cbranch_scc0 .LBB15_1678
; %bb.1677:
	v_trunc_f32_e32 v10, v7
	s_mov_b32 s0, 0
	s_mov_b32 s6, -1
	v_mul_f32_e32 v11, 0x2f800000, v10
	v_floor_f32_e32 v11, v11
	v_fmamk_f32 v10, v11, 0xcf800000, v10
	v_cvt_u32_f32_e32 v11, v11
	v_cvt_u32_f32_e32 v10, v10
	global_store_dwordx2 v[5:6], v[10:11], off
.LBB15_1678:
	s_mov_b32 s7, 0
.LBB15_1679:
	s_and_b32 vcc_lo, exec_lo, s7
	s_cbranch_vccz .LBB15_1695
; %bb.1680:
	s_cmp_lt_i32 s4, 27
	s_mov_b32 s6, -1
	s_cbranch_scc1 .LBB15_1686
; %bb.1681:
	v_cvt_u32_f32_e32 v10, v7
	s_cmp_gt_i32 s4, 27
	s_cbranch_scc0 .LBB15_1683
; %bb.1682:
	s_mov_b32 s6, 0
	global_store_dword v[5:6], v10, off
.LBB15_1683:
	s_andn2_b32 vcc_lo, exec_lo, s6
	s_cbranch_vccnz .LBB15_1685
; %bb.1684:
	global_store_short v[5:6], v10, off
.LBB15_1685:
	s_mov_b32 s6, 0
.LBB15_1686:
	s_andn2_b32 vcc_lo, exec_lo, s6
	s_cbranch_vccnz .LBB15_1694
; %bb.1687:
	v_and_b32_e32 v10, 0x7fffffff, v8
	v_mov_b32_e32 v11, 0x80
	s_mov_b32 s6, exec_lo
	v_cmpx_gt_u32_e32 0x43800000, v10
	s_cbranch_execz .LBB15_1693
; %bb.1688:
	v_cmp_lt_u32_e32 vcc_lo, 0x3bffffff, v10
	s_mov_b32 s7, 0
                                        ; implicit-def: $vgpr10
	s_and_saveexec_b32 s10, vcc_lo
	s_xor_b32 s10, exec_lo, s10
	s_cbranch_execz .LBB15_2142
; %bb.1689:
	v_bfe_u32 v10, v7, 20, 1
	s_mov_b32 s7, exec_lo
	v_add3_u32 v10, v7, v10, 0x487ffff
	v_lshrrev_b32_e32 v10, 20, v10
	s_andn2_saveexec_b32 s10, s10
	s_cbranch_execnz .LBB15_2143
.LBB15_1690:
	s_or_b32 exec_lo, exec_lo, s10
	v_mov_b32_e32 v11, 0
	s_and_saveexec_b32 s10, s7
.LBB15_1691:
	v_lshrrev_b32_e32 v11, 24, v7
	v_and_or_b32 v11, 0x80, v11, v10
.LBB15_1692:
	s_or_b32 exec_lo, exec_lo, s10
.LBB15_1693:
	s_or_b32 exec_lo, exec_lo, s6
	global_store_byte v[5:6], v11, off
.LBB15_1694:
	s_mov_b32 s6, -1
.LBB15_1695:
	s_mov_b32 s7, 0
.LBB15_1696:
	s_and_b32 vcc_lo, exec_lo, s7
	s_cbranch_vccz .LBB15_1736
; %bb.1697:
	s_cmp_gt_i32 s4, 22
	s_mov_b32 s5, -1
	s_cbranch_scc0 .LBB15_1729
; %bb.1698:
	s_cmp_lt_i32 s4, 24
	s_cbranch_scc1 .LBB15_1718
; %bb.1699:
	s_cmp_gt_i32 s4, 24
	s_cbranch_scc0 .LBB15_1707
; %bb.1700:
	v_and_b32_e32 v10, 0x7fffffff, v8
	v_mov_b32_e32 v11, 0x80
	s_mov_b32 s5, exec_lo
	v_cmpx_gt_u32_e32 0x47800000, v10
	s_cbranch_execz .LBB15_1706
; %bb.1701:
	v_cmp_lt_u32_e32 vcc_lo, 0x37ffffff, v10
	s_mov_b32 s6, 0
                                        ; implicit-def: $vgpr10
	s_and_saveexec_b32 s7, vcc_lo
	s_xor_b32 s7, exec_lo, s7
	s_cbranch_execz .LBB15_2145
; %bb.1702:
	v_bfe_u32 v10, v7, 21, 1
	s_mov_b32 s6, exec_lo
	v_add3_u32 v10, v7, v10, 0x88fffff
	v_lshrrev_b32_e32 v10, 21, v10
	s_andn2_saveexec_b32 s7, s7
	s_cbranch_execnz .LBB15_2146
.LBB15_1703:
	s_or_b32 exec_lo, exec_lo, s7
	v_mov_b32_e32 v11, 0
	s_and_saveexec_b32 s7, s6
.LBB15_1704:
	v_lshrrev_b32_e32 v11, 24, v7
	v_and_or_b32 v11, 0x80, v11, v10
.LBB15_1705:
	s_or_b32 exec_lo, exec_lo, s7
.LBB15_1706:
	s_or_b32 exec_lo, exec_lo, s5
	s_mov_b32 s5, 0
	global_store_byte v[5:6], v11, off
.LBB15_1707:
	s_and_b32 vcc_lo, exec_lo, s5
	s_cbranch_vccz .LBB15_1717
; %bb.1708:
	v_and_b32_e32 v11, 0x7fffffff, v8
	s_mov_b32 s5, exec_lo
                                        ; implicit-def: $vgpr10
	v_cmpx_gt_u32_e32 0x43f00000, v11
	s_xor_b32 s5, exec_lo, s5
	s_cbranch_execz .LBB15_1714
; %bb.1709:
	s_mov_b32 s6, exec_lo
                                        ; implicit-def: $vgpr10
	v_cmpx_lt_u32_e32 0x3c7fffff, v11
	s_xor_b32 s6, exec_lo, s6
; %bb.1710:
	v_bfe_u32 v10, v7, 20, 1
	v_add3_u32 v10, v7, v10, 0x407ffff
	v_and_b32_e32 v11, 0xff00000, v10
	v_lshrrev_b32_e32 v10, 20, v10
	v_cmp_ne_u32_e32 vcc_lo, 0x7f00000, v11
	v_cndmask_b32_e32 v10, 0x7e, v10, vcc_lo
; %bb.1711:
	s_andn2_saveexec_b32 s6, s6
; %bb.1712:
	v_add_f32_e64 v10, 0x46800000, |v8|
; %bb.1713:
	s_or_b32 exec_lo, exec_lo, s6
                                        ; implicit-def: $vgpr11
.LBB15_1714:
	s_andn2_saveexec_b32 s5, s5
; %bb.1715:
	v_mov_b32_e32 v10, 0x7f
	v_cmp_lt_u32_e32 vcc_lo, 0x7f800000, v11
	v_cndmask_b32_e32 v10, 0x7e, v10, vcc_lo
; %bb.1716:
	s_or_b32 exec_lo, exec_lo, s5
	v_lshrrev_b32_e32 v11, 24, v7
	v_and_or_b32 v10, 0x80, v11, v10
	global_store_byte v[5:6], v10, off
.LBB15_1717:
	s_mov_b32 s5, 0
.LBB15_1718:
	s_andn2_b32 vcc_lo, exec_lo, s5
	s_cbranch_vccnz .LBB15_1728
; %bb.1719:
	v_and_b32_e32 v11, 0x7fffffff, v8
	s_mov_b32 s5, exec_lo
                                        ; implicit-def: $vgpr10
	v_cmpx_gt_u32_e32 0x47800000, v11
	s_xor_b32 s5, exec_lo, s5
	s_cbranch_execz .LBB15_1725
; %bb.1720:
	s_mov_b32 s6, exec_lo
                                        ; implicit-def: $vgpr10
	v_cmpx_lt_u32_e32 0x387fffff, v11
	s_xor_b32 s6, exec_lo, s6
; %bb.1721:
	v_bfe_u32 v8, v7, 21, 1
	v_add3_u32 v8, v7, v8, 0x80fffff
	v_lshrrev_b32_e32 v10, 21, v8
                                        ; implicit-def: $vgpr8
; %bb.1722:
	s_andn2_saveexec_b32 s6, s6
; %bb.1723:
	v_add_f32_e64 v10, 0x43000000, |v8|
; %bb.1724:
	s_or_b32 exec_lo, exec_lo, s6
                                        ; implicit-def: $vgpr11
.LBB15_1725:
	s_andn2_saveexec_b32 s5, s5
; %bb.1726:
	v_mov_b32_e32 v8, 0x7f
	v_cmp_lt_u32_e32 vcc_lo, 0x7f800000, v11
	v_cndmask_b32_e32 v10, 0x7c, v8, vcc_lo
; %bb.1727:
	s_or_b32 exec_lo, exec_lo, s5
	v_lshrrev_b32_e32 v8, 24, v7
	v_and_or_b32 v8, 0x80, v8, v10
	global_store_byte v[5:6], v8, off
.LBB15_1728:
	s_mov_b32 s5, 0
	s_mov_b32 s6, -1
.LBB15_1729:
	s_andn2_b32 vcc_lo, exec_lo, s5
	s_mov_b32 s5, 0
	s_cbranch_vccnz .LBB15_1736
; %bb.1730:
	s_cmp_gt_i32 s4, 14
	s_mov_b32 s5, -1
	s_cbranch_scc0 .LBB15_1734
; %bb.1731:
	s_cmp_eq_u32 s4, 15
	s_mov_b32 s0, -1
	s_cbranch_scc0 .LBB15_1733
; %bb.1732:
	v_bfe_u32 v8, v7, 16, 1
	v_cmp_o_f32_e32 vcc_lo, v7, v7
	v_mov_b32_e32 v10, 0x7fc0
	s_mov_b32 s0, 0
	s_mov_b32 s6, -1
	v_add3_u32 v8, v7, v8, 0x7fff
	v_cndmask_b32_sdwa v8, v10, v8, vcc_lo dst_sel:DWORD dst_unused:UNUSED_PAD src0_sel:DWORD src1_sel:WORD_1
	global_store_short v[5:6], v8, off
.LBB15_1733:
	s_mov_b32 s5, 0
.LBB15_1734:
	s_and_b32 vcc_lo, exec_lo, s5
	s_mov_b32 s5, 0
	s_cbranch_vccz .LBB15_1736
; %bb.1735:
	s_cmp_lg_u32 s4, 11
	s_mov_b32 s5, -1
	s_cselect_b32 s0, -1, 0
.LBB15_1736:
	s_and_b32 vcc_lo, exec_lo, s0
	s_cbranch_vccnz .LBB15_2144
; %bb.1737:
	s_andn2_b32 vcc_lo, exec_lo, s5
	s_cbranch_vccnz .LBB15_1739
.LBB15_1738:
	v_cmp_neq_f32_e32 vcc_lo, 0, v7
	s_mov_b32 s6, -1
	v_cndmask_b32_e64 v8, 0, 1, vcc_lo
	global_store_byte v[5:6], v8, off
.LBB15_1739:
	s_mov_b32 s0, 0
	s_branch .LBB15_1741
.LBB15_1740:
	s_mov_b32 s0, -1
	s_mov_b32 s6, 0
.LBB15_1741:
	s_and_b32 vcc_lo, exec_lo, s0
	s_cbranch_vccz .LBB15_1780
; %bb.1742:
	s_and_b32 s0, 0xffff, s3
	s_mov_b32 s3, -1
	s_cmp_lt_i32 s0, 5
	s_cbranch_scc1 .LBB15_1763
; %bb.1743:
	s_cmp_lt_i32 s0, 8
	s_cbranch_scc1 .LBB15_1753
; %bb.1744:
	;; [unrolled: 3-line block ×3, first 2 shown]
	s_cmp_gt_i32 s0, 9
	s_cbranch_scc0 .LBB15_1747
; %bb.1746:
	v_cvt_f64_f32_e32 v[10:11], v7
	v_mov_b32_e32 v12, 0
	s_mov_b32 s3, 0
	v_mov_b32_e32 v13, v12
	global_store_dwordx4 v[5:6], v[10:13], off
.LBB15_1747:
	s_andn2_b32 vcc_lo, exec_lo, s3
	s_cbranch_vccnz .LBB15_1749
; %bb.1748:
	v_mov_b32_e32 v8, 0
	global_store_dwordx2 v[5:6], v[7:8], off
.LBB15_1749:
	s_mov_b32 s3, 0
.LBB15_1750:
	s_andn2_b32 vcc_lo, exec_lo, s3
	s_cbranch_vccnz .LBB15_1752
; %bb.1751:
	v_cvt_f16_f32_e32 v8, v7
	v_and_b32_e32 v8, 0xffff, v8
	global_store_dword v[5:6], v8, off
.LBB15_1752:
	s_mov_b32 s3, 0
.LBB15_1753:
	s_andn2_b32 vcc_lo, exec_lo, s3
	s_cbranch_vccnz .LBB15_1762
; %bb.1754:
	s_cmp_lt_i32 s0, 6
	s_mov_b32 s3, -1
	s_cbranch_scc1 .LBB15_1760
; %bb.1755:
	s_cmp_gt_i32 s0, 6
	s_cbranch_scc0 .LBB15_1757
; %bb.1756:
	v_cvt_f64_f32_e32 v[10:11], v7
	s_mov_b32 s3, 0
	global_store_dwordx2 v[5:6], v[10:11], off
.LBB15_1757:
	s_andn2_b32 vcc_lo, exec_lo, s3
	s_cbranch_vccnz .LBB15_1759
; %bb.1758:
	global_store_dword v[5:6], v7, off
.LBB15_1759:
	s_mov_b32 s3, 0
.LBB15_1760:
	s_andn2_b32 vcc_lo, exec_lo, s3
	s_cbranch_vccnz .LBB15_1762
; %bb.1761:
	v_cvt_f16_f32_e32 v8, v7
	global_store_short v[5:6], v8, off
.LBB15_1762:
	s_mov_b32 s3, 0
.LBB15_1763:
	s_andn2_b32 vcc_lo, exec_lo, s3
	s_cbranch_vccnz .LBB15_1779
; %bb.1764:
	s_cmp_lt_i32 s0, 2
	s_mov_b32 s3, -1
	s_cbranch_scc1 .LBB15_1774
; %bb.1765:
	s_cmp_lt_i32 s0, 3
	s_cbranch_scc1 .LBB15_1771
; %bb.1766:
	s_cmp_gt_i32 s0, 3
	s_cbranch_scc0 .LBB15_1768
; %bb.1767:
	v_trunc_f32_e32 v8, v7
	s_mov_b32 s3, 0
	v_mul_f32_e64 v10, 0x2f800000, |v8|
	v_floor_f32_e32 v10, v10
	v_fma_f32 v11, 0xcf800000, v10, |v8|
	v_ashrrev_i32_e32 v8, 31, v8
	v_cvt_u32_f32_e32 v10, v10
	v_cvt_u32_f32_e32 v11, v11
	v_xor_b32_e32 v12, v10, v8
	v_xor_b32_e32 v11, v11, v8
	v_sub_co_u32 v10, vcc_lo, v11, v8
	v_sub_co_ci_u32_e64 v11, null, v12, v8, vcc_lo
	global_store_dwordx2 v[5:6], v[10:11], off
.LBB15_1768:
	s_andn2_b32 vcc_lo, exec_lo, s3
	s_cbranch_vccnz .LBB15_1770
; %bb.1769:
	v_cvt_i32_f32_e32 v8, v7
	global_store_dword v[5:6], v8, off
.LBB15_1770:
	s_mov_b32 s3, 0
.LBB15_1771:
	s_andn2_b32 vcc_lo, exec_lo, s3
	s_cbranch_vccnz .LBB15_1773
; %bb.1772:
	v_cvt_i32_f32_e32 v8, v7
	global_store_short v[5:6], v8, off
.LBB15_1773:
	s_mov_b32 s3, 0
.LBB15_1774:
	s_andn2_b32 vcc_lo, exec_lo, s3
	s_cbranch_vccnz .LBB15_1779
; %bb.1775:
	s_cmp_gt_i32 s0, 0
	s_mov_b32 s0, -1
	s_cbranch_scc0 .LBB15_1777
; %bb.1776:
	v_cvt_i32_f32_e32 v8, v7
	s_mov_b32 s0, 0
	global_store_byte v[5:6], v8, off
.LBB15_1777:
	s_andn2_b32 vcc_lo, exec_lo, s0
	s_cbranch_vccnz .LBB15_1779
; %bb.1778:
	v_trunc_f32_e32 v7, v7
	v_mul_f32_e64 v8, 0x2f800000, |v7|
	v_floor_f32_e32 v8, v8
	v_fma_f32 v8, 0xcf800000, v8, |v7|
	v_ashrrev_i32_e32 v7, 31, v7
	v_cvt_u32_f32_e32 v8, v8
	v_xor_b32_e32 v8, v8, v7
	v_sub_nc_u32_e32 v7, v8, v7
	global_store_byte v[5:6], v7, off
.LBB15_1779:
	s_mov_b32 s6, -1
.LBB15_1780:
	s_andn2_b32 vcc_lo, exec_lo, s6
	s_cbranch_vccnz .LBB15_2095
; %bb.1781:
	v_rcp_f32_e64 v5, |v3|
	v_cmp_gt_f32_e64 vcc_lo, |v3|, 1.0
	s_mov_b32 s0, 0x3b2d2a58
	v_cndmask_b32_e64 v5, |v3|, v5, vcc_lo
	v_mul_f32_e32 v6, v5, v5
	v_fmaak_f32 v7, s0, v6, 0xbc7a590c
	s_lshr_b32 s0, s2, 8
	s_and_b32 s6, s0, 0xff
	s_cmp_lt_i32 s6, 11
	v_fmaak_f32 v7, v6, v7, 0x3d29fb3f
	v_fmaak_f32 v7, v6, v7, 0xbd97d4d7
	;; [unrolled: 1-line block ×6, first 2 shown]
	v_mul_f32_e32 v6, v6, v7
	v_fmac_f32_e32 v5, v5, v6
	v_sub_f32_e32 v6, 0x3fc90fdb, v5
	v_cndmask_b32_e32 v6, v5, v6, vcc_lo
	v_bfi_b32 v5, 0x7fffffff, v6, v3
	v_add_co_u32 v3, s0, s8, v4
	v_add_co_ci_u32_e64 v4, null, s9, 0, s0
	s_cbranch_scc1 .LBB15_1859
; %bb.1782:
	s_and_b32 s2, 0xffff, s6
	s_mov_b32 s5, -1
	s_mov_b32 s3, 0
	s_cmp_gt_i32 s2, 25
	s_mov_b32 s4, 0
	s_mov_b32 s0, 0
	s_cbranch_scc0 .LBB15_1815
; %bb.1783:
	s_cmp_gt_i32 s2, 28
	s_cbranch_scc0 .LBB15_1798
; %bb.1784:
	s_cmp_gt_i32 s2, 43
	;; [unrolled: 3-line block ×3, first 2 shown]
	s_cbranch_scc0 .LBB15_1788
; %bb.1786:
	s_mov_b32 s0, -1
	s_mov_b32 s5, 0
	s_cmp_eq_u32 s2, 46
	s_cbranch_scc0 .LBB15_1788
; %bb.1787:
	v_bfe_u32 v7, v5, 16, 1
	v_cmp_o_f32_e32 vcc_lo, v5, v5
	v_mov_b32_e32 v8, 0x7fc0
	s_mov_b32 s0, 0
	s_mov_b32 s4, -1
	v_add3_u32 v7, v5, v7, 0x7fff
	v_cndmask_b32_sdwa v7, v8, v7, vcc_lo dst_sel:DWORD dst_unused:UNUSED_PAD src0_sel:DWORD src1_sel:WORD_1
	global_store_dword v[3:4], v7, off
.LBB15_1788:
	s_and_b32 vcc_lo, exec_lo, s5
	s_cbranch_vccz .LBB15_1793
; %bb.1789:
	s_cmp_eq_u32 s2, 44
	s_mov_b32 s0, -1
	s_cbranch_scc0 .LBB15_1793
; %bb.1790:
	v_bfe_u32 v8, v5, 23, 8
	v_mov_b32_e32 v7, 0xff
	s_mov_b32 s4, exec_lo
	v_cmpx_ne_u32_e32 0xff, v8
	s_cbranch_execz .LBB15_1792
; %bb.1791:
	v_and_b32_e32 v7, 0x400000, v5
	v_and_or_b32 v8, 0x3fffff, v5, v8
	v_cmp_ne_u32_e32 vcc_lo, 0, v7
	v_cmp_ne_u32_e64 s0, 0, v8
	v_lshrrev_b32_e32 v7, 23, v5
	s_and_b32 s0, vcc_lo, s0
	v_cndmask_b32_e64 v8, 0, 1, s0
	v_add_nc_u32_e32 v7, v7, v8
.LBB15_1792:
	s_or_b32 exec_lo, exec_lo, s4
	s_mov_b32 s0, 0
	s_mov_b32 s4, -1
	global_store_byte v[3:4], v7, off
.LBB15_1793:
	s_mov_b32 s5, 0
.LBB15_1794:
	s_and_b32 vcc_lo, exec_lo, s5
	s_cbranch_vccz .LBB15_1797
; %bb.1795:
	s_cmp_eq_u32 s2, 29
	s_mov_b32 s0, -1
	s_cbranch_scc0 .LBB15_1797
; %bb.1796:
	v_trunc_f32_e32 v7, v5
	s_mov_b32 s0, 0
	s_mov_b32 s4, -1
	v_mul_f32_e32 v8, 0x2f800000, v7
	v_floor_f32_e32 v8, v8
	v_fmamk_f32 v7, v8, 0xcf800000, v7
	v_cvt_u32_f32_e32 v8, v8
	v_cvt_u32_f32_e32 v7, v7
	global_store_dwordx2 v[3:4], v[7:8], off
.LBB15_1797:
	s_mov_b32 s5, 0
.LBB15_1798:
	s_and_b32 vcc_lo, exec_lo, s5
	s_cbranch_vccz .LBB15_1814
; %bb.1799:
	s_cmp_lt_i32 s2, 27
	s_mov_b32 s4, -1
	s_cbranch_scc1 .LBB15_1805
; %bb.1800:
	s_cmp_gt_i32 s2, 27
	s_cbranch_scc0 .LBB15_1802
; %bb.1801:
	v_cvt_u32_f32_e32 v7, v5
	s_mov_b32 s4, 0
	global_store_dword v[3:4], v7, off
.LBB15_1802:
	s_andn2_b32 vcc_lo, exec_lo, s4
	s_cbranch_vccnz .LBB15_1804
; %bb.1803:
	v_cvt_u32_f32_e32 v7, v5
	global_store_short v[3:4], v7, off
.LBB15_1804:
	s_mov_b32 s4, 0
.LBB15_1805:
	s_andn2_b32 vcc_lo, exec_lo, s4
	s_cbranch_vccnz .LBB15_1813
; %bb.1806:
	v_and_b32_e32 v7, 0x7fffffff, v6
	v_mov_b32_e32 v8, 0x80
	s_mov_b32 s4, exec_lo
	v_cmpx_gt_u32_e32 0x43800000, v7
	s_cbranch_execz .LBB15_1812
; %bb.1807:
	v_cmp_lt_u32_e32 vcc_lo, 0x3bffffff, v7
	s_mov_b32 s5, 0
                                        ; implicit-def: $vgpr7
	s_and_saveexec_b32 s7, vcc_lo
	s_xor_b32 s7, exec_lo, s7
	s_cbranch_execz .LBB15_2147
; %bb.1808:
	v_bfe_u32 v7, v5, 20, 1
	s_mov_b32 s5, exec_lo
	v_add3_u32 v7, v5, v7, 0x487ffff
	v_lshrrev_b32_e32 v7, 20, v7
	s_andn2_saveexec_b32 s7, s7
	s_cbranch_execnz .LBB15_2148
.LBB15_1809:
	s_or_b32 exec_lo, exec_lo, s7
	v_mov_b32_e32 v8, 0
	s_and_saveexec_b32 s7, s5
.LBB15_1810:
	v_lshrrev_b32_e32 v8, 24, v5
	v_and_or_b32 v8, 0x80, v8, v7
.LBB15_1811:
	s_or_b32 exec_lo, exec_lo, s7
.LBB15_1812:
	s_or_b32 exec_lo, exec_lo, s4
	global_store_byte v[3:4], v8, off
.LBB15_1813:
	s_mov_b32 s4, -1
.LBB15_1814:
	s_mov_b32 s5, 0
.LBB15_1815:
	s_and_b32 vcc_lo, exec_lo, s5
	s_cbranch_vccz .LBB15_1855
; %bb.1816:
	s_cmp_gt_i32 s2, 22
	s_mov_b32 s3, -1
	s_cbranch_scc0 .LBB15_1848
; %bb.1817:
	s_cmp_lt_i32 s2, 24
	s_cbranch_scc1 .LBB15_1837
; %bb.1818:
	s_cmp_gt_i32 s2, 24
	s_cbranch_scc0 .LBB15_1826
; %bb.1819:
	v_and_b32_e32 v7, 0x7fffffff, v6
	v_mov_b32_e32 v8, 0x80
	s_mov_b32 s3, exec_lo
	v_cmpx_gt_u32_e32 0x47800000, v7
	s_cbranch_execz .LBB15_1825
; %bb.1820:
	v_cmp_lt_u32_e32 vcc_lo, 0x37ffffff, v7
	s_mov_b32 s4, 0
                                        ; implicit-def: $vgpr7
	s_and_saveexec_b32 s5, vcc_lo
	s_xor_b32 s5, exec_lo, s5
	s_cbranch_execz .LBB15_2150
; %bb.1821:
	v_bfe_u32 v7, v5, 21, 1
	s_mov_b32 s4, exec_lo
	v_add3_u32 v7, v5, v7, 0x88fffff
	v_lshrrev_b32_e32 v7, 21, v7
	s_andn2_saveexec_b32 s5, s5
	s_cbranch_execnz .LBB15_2151
.LBB15_1822:
	s_or_b32 exec_lo, exec_lo, s5
	v_mov_b32_e32 v8, 0
	s_and_saveexec_b32 s5, s4
.LBB15_1823:
	v_lshrrev_b32_e32 v8, 24, v5
	v_and_or_b32 v8, 0x80, v8, v7
.LBB15_1824:
	s_or_b32 exec_lo, exec_lo, s5
.LBB15_1825:
	s_or_b32 exec_lo, exec_lo, s3
	s_mov_b32 s3, 0
	global_store_byte v[3:4], v8, off
.LBB15_1826:
	s_and_b32 vcc_lo, exec_lo, s3
	s_cbranch_vccz .LBB15_1836
; %bb.1827:
	v_and_b32_e32 v8, 0x7fffffff, v6
	s_mov_b32 s3, exec_lo
                                        ; implicit-def: $vgpr7
	v_cmpx_gt_u32_e32 0x43f00000, v8
	s_xor_b32 s3, exec_lo, s3
	s_cbranch_execz .LBB15_1833
; %bb.1828:
	s_mov_b32 s4, exec_lo
                                        ; implicit-def: $vgpr7
	v_cmpx_lt_u32_e32 0x3c7fffff, v8
	s_xor_b32 s4, exec_lo, s4
; %bb.1829:
	v_bfe_u32 v7, v5, 20, 1
	v_add3_u32 v7, v5, v7, 0x407ffff
	v_and_b32_e32 v8, 0xff00000, v7
	v_lshrrev_b32_e32 v7, 20, v7
	v_cmp_ne_u32_e32 vcc_lo, 0x7f00000, v8
	v_cndmask_b32_e32 v7, 0x7e, v7, vcc_lo
; %bb.1830:
	s_andn2_saveexec_b32 s4, s4
; %bb.1831:
	v_add_f32_e64 v7, 0x46800000, |v6|
; %bb.1832:
	s_or_b32 exec_lo, exec_lo, s4
                                        ; implicit-def: $vgpr8
.LBB15_1833:
	s_andn2_saveexec_b32 s3, s3
; %bb.1834:
	v_mov_b32_e32 v7, 0x7f
	v_cmp_lt_u32_e32 vcc_lo, 0x7f800000, v8
	v_cndmask_b32_e32 v7, 0x7e, v7, vcc_lo
; %bb.1835:
	s_or_b32 exec_lo, exec_lo, s3
	v_lshrrev_b32_e32 v8, 24, v5
	v_and_or_b32 v7, 0x80, v8, v7
	global_store_byte v[3:4], v7, off
.LBB15_1836:
	s_mov_b32 s3, 0
.LBB15_1837:
	s_andn2_b32 vcc_lo, exec_lo, s3
	s_cbranch_vccnz .LBB15_1847
; %bb.1838:
	v_and_b32_e32 v8, 0x7fffffff, v6
	s_mov_b32 s3, exec_lo
                                        ; implicit-def: $vgpr7
	v_cmpx_gt_u32_e32 0x47800000, v8
	s_xor_b32 s3, exec_lo, s3
	s_cbranch_execz .LBB15_1844
; %bb.1839:
	s_mov_b32 s4, exec_lo
                                        ; implicit-def: $vgpr7
	v_cmpx_lt_u32_e32 0x387fffff, v8
	s_xor_b32 s4, exec_lo, s4
; %bb.1840:
	v_bfe_u32 v6, v5, 21, 1
	v_add3_u32 v6, v5, v6, 0x80fffff
	v_lshrrev_b32_e32 v7, 21, v6
                                        ; implicit-def: $vgpr6
; %bb.1841:
	s_andn2_saveexec_b32 s4, s4
; %bb.1842:
	v_add_f32_e64 v7, 0x43000000, |v6|
; %bb.1843:
	s_or_b32 exec_lo, exec_lo, s4
                                        ; implicit-def: $vgpr8
.LBB15_1844:
	s_andn2_saveexec_b32 s3, s3
; %bb.1845:
	v_mov_b32_e32 v6, 0x7f
	v_cmp_lt_u32_e32 vcc_lo, 0x7f800000, v8
	v_cndmask_b32_e32 v7, 0x7c, v6, vcc_lo
; %bb.1846:
	s_or_b32 exec_lo, exec_lo, s3
	v_lshrrev_b32_e32 v6, 24, v5
	v_and_or_b32 v6, 0x80, v6, v7
	global_store_byte v[3:4], v6, off
.LBB15_1847:
	s_mov_b32 s3, 0
	s_mov_b32 s4, -1
.LBB15_1848:
	s_andn2_b32 vcc_lo, exec_lo, s3
	s_mov_b32 s3, 0
	s_cbranch_vccnz .LBB15_1855
; %bb.1849:
	s_cmp_gt_i32 s2, 14
	s_mov_b32 s3, -1
	s_cbranch_scc0 .LBB15_1853
; %bb.1850:
	s_cmp_eq_u32 s2, 15
	s_mov_b32 s0, -1
	s_cbranch_scc0 .LBB15_1852
; %bb.1851:
	v_bfe_u32 v6, v5, 16, 1
	v_cmp_o_f32_e32 vcc_lo, v5, v5
	v_mov_b32_e32 v7, 0x7fc0
	s_mov_b32 s0, 0
	s_mov_b32 s4, -1
	v_add3_u32 v6, v5, v6, 0x7fff
	v_cndmask_b32_sdwa v6, v7, v6, vcc_lo dst_sel:DWORD dst_unused:UNUSED_PAD src0_sel:DWORD src1_sel:WORD_1
	global_store_short v[3:4], v6, off
.LBB15_1852:
	s_mov_b32 s3, 0
.LBB15_1853:
	s_and_b32 vcc_lo, exec_lo, s3
	s_mov_b32 s3, 0
	s_cbranch_vccz .LBB15_1855
; %bb.1854:
	s_cmp_lg_u32 s2, 11
	s_mov_b32 s3, -1
	s_cselect_b32 s0, -1, 0
.LBB15_1855:
	s_and_b32 vcc_lo, exec_lo, s0
	s_cbranch_vccnz .LBB15_2149
; %bb.1856:
	s_andn2_b32 vcc_lo, exec_lo, s3
	s_cbranch_vccnz .LBB15_1858
.LBB15_1857:
	v_cmp_neq_f32_e32 vcc_lo, 0, v5
	s_mov_b32 s4, -1
	v_cndmask_b32_e64 v6, 0, 1, vcc_lo
	global_store_byte v[3:4], v6, off
.LBB15_1858:
	s_mov_b32 s0, 0
	s_branch .LBB15_1860
.LBB15_1859:
	s_mov_b32 s0, -1
	s_mov_b32 s4, 0
.LBB15_1860:
	s_and_b32 vcc_lo, exec_lo, s0
	s_cbranch_vccz .LBB15_1899
; %bb.1861:
	s_and_b32 s0, 0xffff, s6
	s_mov_b32 s2, -1
	s_cmp_lt_i32 s0, 5
	s_cbranch_scc1 .LBB15_1882
; %bb.1862:
	s_cmp_lt_i32 s0, 8
	s_cbranch_scc1 .LBB15_1872
; %bb.1863:
	;; [unrolled: 3-line block ×3, first 2 shown]
	s_cmp_gt_i32 s0, 9
	s_cbranch_scc0 .LBB15_1866
; %bb.1865:
	v_cvt_f64_f32_e32 v[10:11], v5
	v_mov_b32_e32 v12, 0
	s_mov_b32 s2, 0
	v_mov_b32_e32 v13, v12
	global_store_dwordx4 v[3:4], v[10:13], off
.LBB15_1866:
	s_andn2_b32 vcc_lo, exec_lo, s2
	s_cbranch_vccnz .LBB15_1868
; %bb.1867:
	v_mov_b32_e32 v6, 0
	global_store_dwordx2 v[3:4], v[5:6], off
.LBB15_1868:
	s_mov_b32 s2, 0
.LBB15_1869:
	s_andn2_b32 vcc_lo, exec_lo, s2
	s_cbranch_vccnz .LBB15_1871
; %bb.1870:
	v_cvt_f16_f32_e32 v6, v5
	v_and_b32_e32 v6, 0xffff, v6
	global_store_dword v[3:4], v6, off
.LBB15_1871:
	s_mov_b32 s2, 0
.LBB15_1872:
	s_andn2_b32 vcc_lo, exec_lo, s2
	s_cbranch_vccnz .LBB15_1881
; %bb.1873:
	s_cmp_lt_i32 s0, 6
	s_mov_b32 s2, -1
	s_cbranch_scc1 .LBB15_1879
; %bb.1874:
	s_cmp_gt_i32 s0, 6
	s_cbranch_scc0 .LBB15_1876
; %bb.1875:
	v_cvt_f64_f32_e32 v[6:7], v5
	s_mov_b32 s2, 0
	global_store_dwordx2 v[3:4], v[6:7], off
.LBB15_1876:
	s_andn2_b32 vcc_lo, exec_lo, s2
	s_cbranch_vccnz .LBB15_1878
; %bb.1877:
	global_store_dword v[3:4], v5, off
.LBB15_1878:
	s_mov_b32 s2, 0
.LBB15_1879:
	s_andn2_b32 vcc_lo, exec_lo, s2
	s_cbranch_vccnz .LBB15_1881
; %bb.1880:
	v_cvt_f16_f32_e32 v6, v5
	global_store_short v[3:4], v6, off
.LBB15_1881:
	s_mov_b32 s2, 0
.LBB15_1882:
	s_andn2_b32 vcc_lo, exec_lo, s2
	s_cbranch_vccnz .LBB15_1898
; %bb.1883:
	s_cmp_lt_i32 s0, 2
	s_mov_b32 s2, -1
	s_cbranch_scc1 .LBB15_1893
; %bb.1884:
	s_cmp_lt_i32 s0, 3
	s_cbranch_scc1 .LBB15_1890
; %bb.1885:
	s_cmp_gt_i32 s0, 3
	s_cbranch_scc0 .LBB15_1887
; %bb.1886:
	v_trunc_f32_e32 v6, v5
	s_mov_b32 s2, 0
	v_mul_f32_e64 v7, 0x2f800000, |v6|
	v_ashrrev_i32_e32 v10, 31, v6
	v_floor_f32_e32 v7, v7
	v_fma_f32 v8, 0xcf800000, v7, |v6|
	v_cvt_u32_f32_e32 v7, v7
	v_cvt_u32_f32_e32 v6, v8
	v_xor_b32_e32 v7, v7, v10
	v_xor_b32_e32 v6, v6, v10
	v_sub_co_u32 v6, vcc_lo, v6, v10
	v_sub_co_ci_u32_e64 v7, null, v7, v10, vcc_lo
	global_store_dwordx2 v[3:4], v[6:7], off
.LBB15_1887:
	s_andn2_b32 vcc_lo, exec_lo, s2
	s_cbranch_vccnz .LBB15_1889
; %bb.1888:
	v_cvt_i32_f32_e32 v6, v5
	global_store_dword v[3:4], v6, off
.LBB15_1889:
	s_mov_b32 s2, 0
.LBB15_1890:
	s_andn2_b32 vcc_lo, exec_lo, s2
	s_cbranch_vccnz .LBB15_1892
; %bb.1891:
	v_cvt_i32_f32_e32 v6, v5
	global_store_short v[3:4], v6, off
.LBB15_1892:
	s_mov_b32 s2, 0
.LBB15_1893:
	s_andn2_b32 vcc_lo, exec_lo, s2
	s_cbranch_vccnz .LBB15_1898
; %bb.1894:
	s_cmp_gt_i32 s0, 0
	s_mov_b32 s0, -1
	s_cbranch_scc0 .LBB15_1896
; %bb.1895:
	v_cvt_i32_f32_e32 v6, v5
	s_mov_b32 s0, 0
	global_store_byte v[3:4], v6, off
.LBB15_1896:
	s_andn2_b32 vcc_lo, exec_lo, s0
	s_cbranch_vccnz .LBB15_1898
; %bb.1897:
	v_trunc_f32_e32 v5, v5
	v_mul_f32_e64 v6, 0x2f800000, |v5|
	v_floor_f32_e32 v6, v6
	v_fma_f32 v6, 0xcf800000, v6, |v5|
	v_ashrrev_i32_e32 v5, 31, v5
	v_cvt_u32_f32_e32 v6, v6
	v_xor_b32_e32 v6, v6, v5
	v_sub_nc_u32_e32 v5, v6, v5
	global_store_byte v[3:4], v5, off
.LBB15_1898:
	s_mov_b32 s4, -1
.LBB15_1899:
	s_andn2_b32 vcc_lo, exec_lo, s4
	s_cbranch_vccnz .LBB15_2095
; %bb.1900:
	v_rcp_f32_e64 v3, |v1|
	v_cmp_gt_f32_e64 vcc_lo, |v1|, 1.0
	s_mov_b32 s0, 0x3b2d2a58
	s_cmp_lt_i32 s6, 11
	v_cndmask_b32_e64 v3, |v1|, v3, vcc_lo
	v_mul_f32_e32 v4, v3, v3
	v_fmaak_f32 v5, s0, v4, 0xbc7a590c
	v_fmaak_f32 v5, v4, v5, 0x3d29fb3f
	;; [unrolled: 1-line block ×7, first 2 shown]
	v_mul_f32_e32 v4, v4, v5
	v_fmac_f32_e32 v3, v3, v4
	v_sub_f32_e32 v4, 0x3fc90fdb, v3
	v_cndmask_b32_e32 v4, v3, v4, vcc_lo
	v_bfi_b32 v3, 0x7fffffff, v4, v1
	v_add_co_u32 v1, s0, s8, v2
	v_add_co_ci_u32_e64 v2, null, s9, 0, s0
	s_cbranch_scc1 .LBB15_1978
; %bb.1901:
	s_and_b32 s2, 0xffff, s6
	s_mov_b32 s5, -1
	s_mov_b32 s3, 0
	s_cmp_gt_i32 s2, 25
	s_mov_b32 s4, 0
	s_mov_b32 s0, 0
	s_cbranch_scc0 .LBB15_1934
; %bb.1902:
	s_cmp_gt_i32 s2, 28
	s_cbranch_scc0 .LBB15_1917
; %bb.1903:
	s_cmp_gt_i32 s2, 43
	s_cbranch_scc0 .LBB15_1913
; %bb.1904:
	s_cmp_gt_i32 s2, 45
	s_cbranch_scc0 .LBB15_1907
; %bb.1905:
	s_mov_b32 s0, -1
	s_mov_b32 s5, 0
	s_cmp_eq_u32 s2, 46
	s_cbranch_scc0 .LBB15_1907
; %bb.1906:
	v_bfe_u32 v5, v3, 16, 1
	v_cmp_o_f32_e32 vcc_lo, v3, v3
	v_mov_b32_e32 v6, 0x7fc0
	s_mov_b32 s0, 0
	s_mov_b32 s4, -1
	v_add3_u32 v5, v3, v5, 0x7fff
	v_cndmask_b32_sdwa v5, v6, v5, vcc_lo dst_sel:DWORD dst_unused:UNUSED_PAD src0_sel:DWORD src1_sel:WORD_1
	global_store_dword v[1:2], v5, off
.LBB15_1907:
	s_and_b32 vcc_lo, exec_lo, s5
	s_cbranch_vccz .LBB15_1912
; %bb.1908:
	s_cmp_eq_u32 s2, 44
	s_mov_b32 s0, -1
	s_cbranch_scc0 .LBB15_1912
; %bb.1909:
	v_bfe_u32 v6, v3, 23, 8
	v_mov_b32_e32 v5, 0xff
	s_mov_b32 s4, exec_lo
	v_cmpx_ne_u32_e32 0xff, v6
	s_cbranch_execz .LBB15_1911
; %bb.1910:
	v_and_b32_e32 v5, 0x400000, v3
	v_and_or_b32 v6, 0x3fffff, v3, v6
	v_cmp_ne_u32_e32 vcc_lo, 0, v5
	v_cmp_ne_u32_e64 s0, 0, v6
	v_lshrrev_b32_e32 v5, 23, v3
	s_and_b32 s0, vcc_lo, s0
	v_cndmask_b32_e64 v6, 0, 1, s0
	v_add_nc_u32_e32 v5, v5, v6
.LBB15_1911:
	s_or_b32 exec_lo, exec_lo, s4
	s_mov_b32 s0, 0
	s_mov_b32 s4, -1
	global_store_byte v[1:2], v5, off
.LBB15_1912:
	s_mov_b32 s5, 0
.LBB15_1913:
	s_and_b32 vcc_lo, exec_lo, s5
	s_cbranch_vccz .LBB15_1916
; %bb.1914:
	s_cmp_eq_u32 s2, 29
	s_mov_b32 s0, -1
	s_cbranch_scc0 .LBB15_1916
; %bb.1915:
	v_trunc_f32_e32 v5, v3
	s_mov_b32 s0, 0
	s_mov_b32 s4, -1
	v_mul_f32_e32 v6, 0x2f800000, v5
	v_floor_f32_e32 v6, v6
	v_fmamk_f32 v5, v6, 0xcf800000, v5
	v_cvt_u32_f32_e32 v6, v6
	v_cvt_u32_f32_e32 v5, v5
	global_store_dwordx2 v[1:2], v[5:6], off
.LBB15_1916:
	s_mov_b32 s5, 0
.LBB15_1917:
	s_and_b32 vcc_lo, exec_lo, s5
	s_cbranch_vccz .LBB15_1933
; %bb.1918:
	s_cmp_lt_i32 s2, 27
	s_mov_b32 s4, -1
	s_cbranch_scc1 .LBB15_1924
; %bb.1919:
	v_cvt_u32_f32_e32 v5, v3
	s_cmp_gt_i32 s2, 27
	s_cbranch_scc0 .LBB15_1921
; %bb.1920:
	s_mov_b32 s4, 0
	global_store_dword v[1:2], v5, off
.LBB15_1921:
	s_andn2_b32 vcc_lo, exec_lo, s4
	s_cbranch_vccnz .LBB15_1923
; %bb.1922:
	global_store_short v[1:2], v5, off
.LBB15_1923:
	s_mov_b32 s4, 0
.LBB15_1924:
	s_andn2_b32 vcc_lo, exec_lo, s4
	s_cbranch_vccnz .LBB15_1932
; %bb.1925:
	v_and_b32_e32 v5, 0x7fffffff, v4
	v_mov_b32_e32 v6, 0x80
	s_mov_b32 s4, exec_lo
	v_cmpx_gt_u32_e32 0x43800000, v5
	s_cbranch_execz .LBB15_1931
; %bb.1926:
	v_cmp_lt_u32_e32 vcc_lo, 0x3bffffff, v5
	s_mov_b32 s5, 0
                                        ; implicit-def: $vgpr5
	s_and_saveexec_b32 s7, vcc_lo
	s_xor_b32 s7, exec_lo, s7
	s_cbranch_execz .LBB15_2152
; %bb.1927:
	v_bfe_u32 v5, v3, 20, 1
	s_mov_b32 s5, exec_lo
	v_add3_u32 v5, v3, v5, 0x487ffff
	v_lshrrev_b32_e32 v5, 20, v5
	s_andn2_saveexec_b32 s7, s7
	s_cbranch_execnz .LBB15_2153
.LBB15_1928:
	s_or_b32 exec_lo, exec_lo, s7
	v_mov_b32_e32 v6, 0
	s_and_saveexec_b32 s7, s5
.LBB15_1929:
	v_lshrrev_b32_e32 v6, 24, v3
	v_and_or_b32 v6, 0x80, v6, v5
.LBB15_1930:
	s_or_b32 exec_lo, exec_lo, s7
.LBB15_1931:
	s_or_b32 exec_lo, exec_lo, s4
	global_store_byte v[1:2], v6, off
.LBB15_1932:
	s_mov_b32 s4, -1
.LBB15_1933:
	s_mov_b32 s5, 0
.LBB15_1934:
	s_and_b32 vcc_lo, exec_lo, s5
	s_cbranch_vccz .LBB15_1974
; %bb.1935:
	s_cmp_gt_i32 s2, 22
	s_mov_b32 s3, -1
	s_cbranch_scc0 .LBB15_1967
; %bb.1936:
	s_cmp_lt_i32 s2, 24
	s_cbranch_scc1 .LBB15_1956
; %bb.1937:
	s_cmp_gt_i32 s2, 24
	s_cbranch_scc0 .LBB15_1945
; %bb.1938:
	v_and_b32_e32 v5, 0x7fffffff, v4
	v_mov_b32_e32 v6, 0x80
	s_mov_b32 s3, exec_lo
	v_cmpx_gt_u32_e32 0x47800000, v5
	s_cbranch_execz .LBB15_1944
; %bb.1939:
	v_cmp_lt_u32_e32 vcc_lo, 0x37ffffff, v5
	s_mov_b32 s4, 0
                                        ; implicit-def: $vgpr5
	s_and_saveexec_b32 s5, vcc_lo
	s_xor_b32 s5, exec_lo, s5
	s_cbranch_execz .LBB15_2155
; %bb.1940:
	v_bfe_u32 v5, v3, 21, 1
	s_mov_b32 s4, exec_lo
	v_add3_u32 v5, v3, v5, 0x88fffff
	v_lshrrev_b32_e32 v5, 21, v5
	s_andn2_saveexec_b32 s5, s5
	s_cbranch_execnz .LBB15_2156
.LBB15_1941:
	s_or_b32 exec_lo, exec_lo, s5
	v_mov_b32_e32 v6, 0
	s_and_saveexec_b32 s5, s4
.LBB15_1942:
	v_lshrrev_b32_e32 v6, 24, v3
	v_and_or_b32 v6, 0x80, v6, v5
.LBB15_1943:
	s_or_b32 exec_lo, exec_lo, s5
.LBB15_1944:
	s_or_b32 exec_lo, exec_lo, s3
	s_mov_b32 s3, 0
	global_store_byte v[1:2], v6, off
.LBB15_1945:
	s_and_b32 vcc_lo, exec_lo, s3
	s_cbranch_vccz .LBB15_1955
; %bb.1946:
	v_and_b32_e32 v6, 0x7fffffff, v4
	s_mov_b32 s3, exec_lo
                                        ; implicit-def: $vgpr5
	v_cmpx_gt_u32_e32 0x43f00000, v6
	s_xor_b32 s3, exec_lo, s3
	s_cbranch_execz .LBB15_1952
; %bb.1947:
	s_mov_b32 s4, exec_lo
                                        ; implicit-def: $vgpr5
	v_cmpx_lt_u32_e32 0x3c7fffff, v6
	s_xor_b32 s4, exec_lo, s4
; %bb.1948:
	v_bfe_u32 v5, v3, 20, 1
	v_add3_u32 v5, v3, v5, 0x407ffff
	v_and_b32_e32 v6, 0xff00000, v5
	v_lshrrev_b32_e32 v5, 20, v5
	v_cmp_ne_u32_e32 vcc_lo, 0x7f00000, v6
	v_cndmask_b32_e32 v5, 0x7e, v5, vcc_lo
; %bb.1949:
	s_andn2_saveexec_b32 s4, s4
; %bb.1950:
	v_add_f32_e64 v5, 0x46800000, |v4|
; %bb.1951:
	s_or_b32 exec_lo, exec_lo, s4
                                        ; implicit-def: $vgpr6
.LBB15_1952:
	s_andn2_saveexec_b32 s3, s3
; %bb.1953:
	v_mov_b32_e32 v5, 0x7f
	v_cmp_lt_u32_e32 vcc_lo, 0x7f800000, v6
	v_cndmask_b32_e32 v5, 0x7e, v5, vcc_lo
; %bb.1954:
	s_or_b32 exec_lo, exec_lo, s3
	v_lshrrev_b32_e32 v6, 24, v3
	v_and_or_b32 v5, 0x80, v6, v5
	global_store_byte v[1:2], v5, off
.LBB15_1955:
	s_mov_b32 s3, 0
.LBB15_1956:
	s_andn2_b32 vcc_lo, exec_lo, s3
	s_cbranch_vccnz .LBB15_1966
; %bb.1957:
	v_and_b32_e32 v6, 0x7fffffff, v4
	s_mov_b32 s3, exec_lo
                                        ; implicit-def: $vgpr5
	v_cmpx_gt_u32_e32 0x47800000, v6
	s_xor_b32 s3, exec_lo, s3
	s_cbranch_execz .LBB15_1963
; %bb.1958:
	s_mov_b32 s4, exec_lo
                                        ; implicit-def: $vgpr5
	v_cmpx_lt_u32_e32 0x387fffff, v6
	s_xor_b32 s4, exec_lo, s4
; %bb.1959:
	v_bfe_u32 v4, v3, 21, 1
	v_add3_u32 v4, v3, v4, 0x80fffff
	v_lshrrev_b32_e32 v5, 21, v4
                                        ; implicit-def: $vgpr4
; %bb.1960:
	s_andn2_saveexec_b32 s4, s4
; %bb.1961:
	v_add_f32_e64 v5, 0x43000000, |v4|
; %bb.1962:
	s_or_b32 exec_lo, exec_lo, s4
                                        ; implicit-def: $vgpr6
.LBB15_1963:
	s_andn2_saveexec_b32 s3, s3
; %bb.1964:
	v_mov_b32_e32 v4, 0x7f
	v_cmp_lt_u32_e32 vcc_lo, 0x7f800000, v6
	v_cndmask_b32_e32 v5, 0x7c, v4, vcc_lo
; %bb.1965:
	s_or_b32 exec_lo, exec_lo, s3
	v_lshrrev_b32_e32 v4, 24, v3
	v_and_or_b32 v4, 0x80, v4, v5
	global_store_byte v[1:2], v4, off
.LBB15_1966:
	s_mov_b32 s3, 0
	s_mov_b32 s4, -1
.LBB15_1967:
	s_andn2_b32 vcc_lo, exec_lo, s3
	s_mov_b32 s3, 0
	s_cbranch_vccnz .LBB15_1974
; %bb.1968:
	s_cmp_gt_i32 s2, 14
	s_mov_b32 s3, -1
	s_cbranch_scc0 .LBB15_1972
; %bb.1969:
	s_cmp_eq_u32 s2, 15
	s_mov_b32 s0, -1
	s_cbranch_scc0 .LBB15_1971
; %bb.1970:
	v_bfe_u32 v4, v3, 16, 1
	v_cmp_o_f32_e32 vcc_lo, v3, v3
	v_mov_b32_e32 v5, 0x7fc0
	s_mov_b32 s0, 0
	s_mov_b32 s4, -1
	v_add3_u32 v4, v3, v4, 0x7fff
	v_cndmask_b32_sdwa v4, v5, v4, vcc_lo dst_sel:DWORD dst_unused:UNUSED_PAD src0_sel:DWORD src1_sel:WORD_1
	global_store_short v[1:2], v4, off
.LBB15_1971:
	s_mov_b32 s3, 0
.LBB15_1972:
	s_and_b32 vcc_lo, exec_lo, s3
	s_mov_b32 s3, 0
	s_cbranch_vccz .LBB15_1974
; %bb.1973:
	s_cmp_lg_u32 s2, 11
	s_mov_b32 s3, -1
	s_cselect_b32 s0, -1, 0
.LBB15_1974:
	s_and_b32 vcc_lo, exec_lo, s0
	s_cbranch_vccnz .LBB15_2154
; %bb.1975:
	s_andn2_b32 vcc_lo, exec_lo, s3
	s_cbranch_vccnz .LBB15_1977
.LBB15_1976:
	v_cmp_neq_f32_e32 vcc_lo, 0, v3
	s_mov_b32 s4, -1
	v_cndmask_b32_e64 v4, 0, 1, vcc_lo
	global_store_byte v[1:2], v4, off
.LBB15_1977:
	s_mov_b32 s0, 0
	s_branch .LBB15_1979
.LBB15_1978:
	s_mov_b32 s0, -1
	s_mov_b32 s4, 0
.LBB15_1979:
	s_and_b32 vcc_lo, exec_lo, s0
	s_cbranch_vccz .LBB15_2018
; %bb.1980:
	s_and_b32 s0, 0xffff, s6
	s_mov_b32 s2, -1
	s_cmp_lt_i32 s0, 5
	s_cbranch_scc1 .LBB15_2001
; %bb.1981:
	s_cmp_lt_i32 s0, 8
	s_cbranch_scc1 .LBB15_1991
; %bb.1982:
	;; [unrolled: 3-line block ×3, first 2 shown]
	s_cmp_gt_i32 s0, 9
	s_cbranch_scc0 .LBB15_1985
; %bb.1984:
	v_cvt_f64_f32_e32 v[4:5], v3
	v_mov_b32_e32 v6, 0
	s_mov_b32 s2, 0
	v_mov_b32_e32 v7, v6
	global_store_dwordx4 v[1:2], v[4:7], off
.LBB15_1985:
	s_andn2_b32 vcc_lo, exec_lo, s2
	s_cbranch_vccnz .LBB15_1987
; %bb.1986:
	v_mov_b32_e32 v4, 0
	global_store_dwordx2 v[1:2], v[3:4], off
.LBB15_1987:
	s_mov_b32 s2, 0
.LBB15_1988:
	s_andn2_b32 vcc_lo, exec_lo, s2
	s_cbranch_vccnz .LBB15_1990
; %bb.1989:
	v_cvt_f16_f32_e32 v4, v3
	v_and_b32_e32 v4, 0xffff, v4
	global_store_dword v[1:2], v4, off
.LBB15_1990:
	s_mov_b32 s2, 0
.LBB15_1991:
	s_andn2_b32 vcc_lo, exec_lo, s2
	s_cbranch_vccnz .LBB15_2000
; %bb.1992:
	s_cmp_lt_i32 s0, 6
	s_mov_b32 s2, -1
	s_cbranch_scc1 .LBB15_1998
; %bb.1993:
	s_cmp_gt_i32 s0, 6
	s_cbranch_scc0 .LBB15_1995
; %bb.1994:
	v_cvt_f64_f32_e32 v[4:5], v3
	s_mov_b32 s2, 0
	global_store_dwordx2 v[1:2], v[4:5], off
.LBB15_1995:
	s_andn2_b32 vcc_lo, exec_lo, s2
	s_cbranch_vccnz .LBB15_1997
; %bb.1996:
	global_store_dword v[1:2], v3, off
.LBB15_1997:
	s_mov_b32 s2, 0
.LBB15_1998:
	s_andn2_b32 vcc_lo, exec_lo, s2
	s_cbranch_vccnz .LBB15_2000
; %bb.1999:
	v_cvt_f16_f32_e32 v4, v3
	global_store_short v[1:2], v4, off
.LBB15_2000:
	s_mov_b32 s2, 0
.LBB15_2001:
	s_andn2_b32 vcc_lo, exec_lo, s2
	s_cbranch_vccnz .LBB15_2017
; %bb.2002:
	s_cmp_lt_i32 s0, 2
	s_mov_b32 s2, -1
	s_cbranch_scc1 .LBB15_2012
; %bb.2003:
	s_cmp_lt_i32 s0, 3
	s_cbranch_scc1 .LBB15_2009
; %bb.2004:
	s_cmp_gt_i32 s0, 3
	s_cbranch_scc0 .LBB15_2006
; %bb.2005:
	v_trunc_f32_e32 v4, v3
	s_mov_b32 s2, 0
	v_mul_f32_e64 v5, 0x2f800000, |v4|
	v_ashrrev_i32_e32 v7, 31, v4
	v_floor_f32_e32 v5, v5
	v_fma_f32 v6, 0xcf800000, v5, |v4|
	v_cvt_u32_f32_e32 v5, v5
	v_cvt_u32_f32_e32 v4, v6
	v_xor_b32_e32 v5, v5, v7
	v_xor_b32_e32 v4, v4, v7
	v_sub_co_u32 v4, vcc_lo, v4, v7
	v_sub_co_ci_u32_e64 v5, null, v5, v7, vcc_lo
	global_store_dwordx2 v[1:2], v[4:5], off
.LBB15_2006:
	s_andn2_b32 vcc_lo, exec_lo, s2
	s_cbranch_vccnz .LBB15_2008
; %bb.2007:
	v_cvt_i32_f32_e32 v4, v3
	global_store_dword v[1:2], v4, off
.LBB15_2008:
	s_mov_b32 s2, 0
.LBB15_2009:
	s_andn2_b32 vcc_lo, exec_lo, s2
	s_cbranch_vccnz .LBB15_2011
; %bb.2010:
	v_cvt_i32_f32_e32 v4, v3
	global_store_short v[1:2], v4, off
.LBB15_2011:
	s_mov_b32 s2, 0
.LBB15_2012:
	s_andn2_b32 vcc_lo, exec_lo, s2
	s_cbranch_vccnz .LBB15_2017
; %bb.2013:
	s_cmp_gt_i32 s0, 0
	s_mov_b32 s0, -1
	s_cbranch_scc0 .LBB15_2015
; %bb.2014:
	v_cvt_i32_f32_e32 v4, v3
	s_mov_b32 s0, 0
	global_store_byte v[1:2], v4, off
.LBB15_2015:
	s_andn2_b32 vcc_lo, exec_lo, s0
	s_cbranch_vccnz .LBB15_2017
; %bb.2016:
	v_trunc_f32_e32 v3, v3
	v_mul_f32_e64 v4, 0x2f800000, |v3|
	v_floor_f32_e32 v4, v4
	v_fma_f32 v4, 0xcf800000, v4, |v3|
	v_ashrrev_i32_e32 v3, 31, v3
	v_cvt_u32_f32_e32 v4, v4
	v_xor_b32_e32 v4, v4, v3
	v_sub_nc_u32_e32 v3, v4, v3
	global_store_byte v[1:2], v3, off
.LBB15_2017:
	s_mov_b32 s4, -1
.LBB15_2018:
	s_andn2_b32 vcc_lo, exec_lo, s4
	s_cbranch_vccnz .LBB15_2095
; %bb.2019:
	v_rcp_f32_e64 v1, |v9|
	v_cmp_gt_f32_e64 vcc_lo, |v9|, 1.0
	s_mov_b32 s0, 0x3b2d2a58
	s_cmp_lt_i32 s6, 11
	v_cndmask_b32_e64 v1, |v9|, v1, vcc_lo
	v_mul_f32_e32 v2, v1, v1
	v_fmaak_f32 v3, s0, v2, 0xbc7a590c
	v_add_co_u32 v0, s0, s8, v0
	v_fmaak_f32 v3, v2, v3, 0x3d29fb3f
	v_fmaak_f32 v3, v2, v3, 0xbd97d4d7
	;; [unrolled: 1-line block ×6, first 2 shown]
	v_mul_f32_e32 v2, v2, v3
	v_fmac_f32_e32 v1, v1, v2
	v_sub_f32_e32 v2, 0x3fc90fdb, v1
	v_cndmask_b32_e32 v3, v1, v2, vcc_lo
	v_add_co_ci_u32_e64 v1, null, s9, 0, s0
	v_bfi_b32 v2, 0x7fffffff, v3, v9
	s_cbranch_scc1 .LBB15_2140
; %bb.2020:
	s_and_b32 s2, 0xffff, s6
	s_mov_b32 s4, -1
	s_mov_b32 s3, 0
	s_cmp_gt_i32 s2, 25
	s_mov_b32 s0, 0
	s_cbranch_scc0 .LBB15_2053
; %bb.2021:
	s_cmp_gt_i32 s2, 28
	s_cbranch_scc0 .LBB15_2037
; %bb.2022:
	s_cmp_gt_i32 s2, 43
	s_cbranch_scc0 .LBB15_2033
; %bb.2023:
	s_cmp_gt_i32 s2, 45
	s_cbranch_scc0 .LBB15_2027
; %bb.2024:
	s_cmp_eq_u32 s2, 46
	s_mov_b32 s0, -1
	s_cbranch_scc0 .LBB15_2026
; %bb.2025:
	v_bfe_u32 v4, v2, 16, 1
	v_cmp_o_f32_e32 vcc_lo, v2, v2
	v_mov_b32_e32 v5, 0x7fc0
	s_mov_b32 s0, 0
	v_add3_u32 v4, v2, v4, 0x7fff
	v_cndmask_b32_sdwa v4, v5, v4, vcc_lo dst_sel:DWORD dst_unused:UNUSED_PAD src0_sel:DWORD src1_sel:WORD_1
	global_store_dword v[0:1], v4, off
.LBB15_2026:
	s_mov_b32 s4, 0
.LBB15_2027:
	s_and_b32 vcc_lo, exec_lo, s4
	s_cbranch_vccz .LBB15_2032
; %bb.2028:
	s_cmp_eq_u32 s2, 44
	s_mov_b32 s0, -1
	s_cbranch_scc0 .LBB15_2032
; %bb.2029:
	v_bfe_u32 v5, v2, 23, 8
	v_mov_b32_e32 v4, 0xff
	s_mov_b32 s4, exec_lo
	v_cmpx_ne_u32_e32 0xff, v5
	s_cbranch_execz .LBB15_2031
; %bb.2030:
	v_and_b32_e32 v4, 0x400000, v2
	v_and_or_b32 v5, 0x3fffff, v2, v5
	v_cmp_ne_u32_e32 vcc_lo, 0, v4
	v_cmp_ne_u32_e64 s0, 0, v5
	v_lshrrev_b32_e32 v4, 23, v2
	s_and_b32 s0, vcc_lo, s0
	v_cndmask_b32_e64 v5, 0, 1, s0
	v_add_nc_u32_e32 v4, v4, v5
.LBB15_2031:
	s_or_b32 exec_lo, exec_lo, s4
	s_mov_b32 s0, 0
	global_store_byte v[0:1], v4, off
.LBB15_2032:
	s_mov_b32 s4, 0
.LBB15_2033:
	s_and_b32 vcc_lo, exec_lo, s4
	s_cbranch_vccz .LBB15_2036
; %bb.2034:
	s_cmp_eq_u32 s2, 29
	s_mov_b32 s0, -1
	s_cbranch_scc0 .LBB15_2036
; %bb.2035:
	v_trunc_f32_e32 v4, v2
	s_mov_b32 s0, 0
	v_mul_f32_e32 v5, 0x2f800000, v4
	v_floor_f32_e32 v5, v5
	v_fmamk_f32 v4, v5, 0xcf800000, v4
	v_cvt_u32_f32_e32 v5, v5
	v_cvt_u32_f32_e32 v4, v4
	global_store_dwordx2 v[0:1], v[4:5], off
.LBB15_2036:
	s_mov_b32 s4, 0
.LBB15_2037:
	s_and_b32 vcc_lo, exec_lo, s4
	s_cbranch_vccz .LBB15_2052
; %bb.2038:
	s_cmp_lt_i32 s2, 27
	s_mov_b32 s4, -1
	s_cbranch_scc1 .LBB15_2044
; %bb.2039:
	s_cmp_gt_i32 s2, 27
	s_cbranch_scc0 .LBB15_2041
; %bb.2040:
	v_cvt_u32_f32_e32 v4, v2
	s_mov_b32 s4, 0
	global_store_dword v[0:1], v4, off
.LBB15_2041:
	s_andn2_b32 vcc_lo, exec_lo, s4
	s_cbranch_vccnz .LBB15_2043
; %bb.2042:
	v_cvt_u32_f32_e32 v4, v2
	global_store_short v[0:1], v4, off
.LBB15_2043:
	s_mov_b32 s4, 0
.LBB15_2044:
	s_andn2_b32 vcc_lo, exec_lo, s4
	s_cbranch_vccnz .LBB15_2052
; %bb.2045:
	v_and_b32_e32 v4, 0x7fffffff, v3
	v_mov_b32_e32 v5, 0x80
	s_mov_b32 s4, exec_lo
	v_cmpx_gt_u32_e32 0x43800000, v4
	s_cbranch_execz .LBB15_2051
; %bb.2046:
	v_cmp_lt_u32_e32 vcc_lo, 0x3bffffff, v4
	s_mov_b32 s5, 0
                                        ; implicit-def: $vgpr4
	s_and_saveexec_b32 s7, vcc_lo
	s_xor_b32 s7, exec_lo, s7
	s_cbranch_execz .LBB15_2157
; %bb.2047:
	v_bfe_u32 v4, v2, 20, 1
	s_mov_b32 s5, exec_lo
	v_add3_u32 v4, v2, v4, 0x487ffff
	v_lshrrev_b32_e32 v4, 20, v4
	s_andn2_saveexec_b32 s7, s7
	s_cbranch_execnz .LBB15_2158
.LBB15_2048:
	s_or_b32 exec_lo, exec_lo, s7
	v_mov_b32_e32 v5, 0
	s_and_saveexec_b32 s7, s5
.LBB15_2049:
	v_lshrrev_b32_e32 v5, 24, v2
	v_and_or_b32 v5, 0x80, v5, v4
.LBB15_2050:
	s_or_b32 exec_lo, exec_lo, s7
.LBB15_2051:
	s_or_b32 exec_lo, exec_lo, s4
	global_store_byte v[0:1], v5, off
.LBB15_2052:
	s_mov_b32 s4, 0
.LBB15_2053:
	s_and_b32 vcc_lo, exec_lo, s4
	s_cbranch_vccz .LBB15_2093
; %bb.2054:
	s_cmp_gt_i32 s2, 22
	s_mov_b32 s3, -1
	s_cbranch_scc0 .LBB15_2086
; %bb.2055:
	s_cmp_lt_i32 s2, 24
	s_cbranch_scc1 .LBB15_2075
; %bb.2056:
	s_cmp_gt_i32 s2, 24
	s_cbranch_scc0 .LBB15_2064
; %bb.2057:
	v_and_b32_e32 v4, 0x7fffffff, v3
	v_mov_b32_e32 v5, 0x80
	s_mov_b32 s3, exec_lo
	v_cmpx_gt_u32_e32 0x47800000, v4
	s_cbranch_execz .LBB15_2063
; %bb.2058:
	v_cmp_lt_u32_e32 vcc_lo, 0x37ffffff, v4
	s_mov_b32 s4, 0
                                        ; implicit-def: $vgpr4
	s_and_saveexec_b32 s5, vcc_lo
	s_xor_b32 s5, exec_lo, s5
	s_cbranch_execz .LBB15_2160
; %bb.2059:
	v_bfe_u32 v4, v2, 21, 1
	s_mov_b32 s4, exec_lo
	v_add3_u32 v4, v2, v4, 0x88fffff
	v_lshrrev_b32_e32 v4, 21, v4
	s_andn2_saveexec_b32 s5, s5
	s_cbranch_execnz .LBB15_2161
.LBB15_2060:
	s_or_b32 exec_lo, exec_lo, s5
	v_mov_b32_e32 v5, 0
	s_and_saveexec_b32 s5, s4
.LBB15_2061:
	v_lshrrev_b32_e32 v5, 24, v2
	v_and_or_b32 v5, 0x80, v5, v4
.LBB15_2062:
	s_or_b32 exec_lo, exec_lo, s5
.LBB15_2063:
	s_or_b32 exec_lo, exec_lo, s3
	s_mov_b32 s3, 0
	global_store_byte v[0:1], v5, off
.LBB15_2064:
	s_and_b32 vcc_lo, exec_lo, s3
	s_cbranch_vccz .LBB15_2074
; %bb.2065:
	v_and_b32_e32 v5, 0x7fffffff, v3
	s_mov_b32 s3, exec_lo
                                        ; implicit-def: $vgpr4
	v_cmpx_gt_u32_e32 0x43f00000, v5
	s_xor_b32 s3, exec_lo, s3
	s_cbranch_execz .LBB15_2071
; %bb.2066:
	s_mov_b32 s4, exec_lo
                                        ; implicit-def: $vgpr4
	v_cmpx_lt_u32_e32 0x3c7fffff, v5
	s_xor_b32 s4, exec_lo, s4
; %bb.2067:
	v_bfe_u32 v4, v2, 20, 1
	v_add3_u32 v4, v2, v4, 0x407ffff
	v_and_b32_e32 v5, 0xff00000, v4
	v_lshrrev_b32_e32 v4, 20, v4
	v_cmp_ne_u32_e32 vcc_lo, 0x7f00000, v5
	v_cndmask_b32_e32 v4, 0x7e, v4, vcc_lo
; %bb.2068:
	s_andn2_saveexec_b32 s4, s4
; %bb.2069:
	v_add_f32_e64 v4, 0x46800000, |v3|
; %bb.2070:
	s_or_b32 exec_lo, exec_lo, s4
                                        ; implicit-def: $vgpr5
.LBB15_2071:
	s_andn2_saveexec_b32 s3, s3
; %bb.2072:
	v_mov_b32_e32 v4, 0x7f
	v_cmp_lt_u32_e32 vcc_lo, 0x7f800000, v5
	v_cndmask_b32_e32 v4, 0x7e, v4, vcc_lo
; %bb.2073:
	s_or_b32 exec_lo, exec_lo, s3
	v_lshrrev_b32_e32 v5, 24, v2
	v_and_or_b32 v4, 0x80, v5, v4
	global_store_byte v[0:1], v4, off
.LBB15_2074:
	s_mov_b32 s3, 0
.LBB15_2075:
	s_andn2_b32 vcc_lo, exec_lo, s3
	s_cbranch_vccnz .LBB15_2085
; %bb.2076:
	v_and_b32_e32 v5, 0x7fffffff, v3
	s_mov_b32 s3, exec_lo
                                        ; implicit-def: $vgpr4
	v_cmpx_gt_u32_e32 0x47800000, v5
	s_xor_b32 s3, exec_lo, s3
	s_cbranch_execz .LBB15_2082
; %bb.2077:
	s_mov_b32 s4, exec_lo
                                        ; implicit-def: $vgpr4
	v_cmpx_lt_u32_e32 0x387fffff, v5
	s_xor_b32 s4, exec_lo, s4
; %bb.2078:
	v_bfe_u32 v3, v2, 21, 1
	v_add3_u32 v3, v2, v3, 0x80fffff
	v_lshrrev_b32_e32 v4, 21, v3
                                        ; implicit-def: $vgpr3
; %bb.2079:
	s_andn2_saveexec_b32 s4, s4
; %bb.2080:
	v_add_f32_e64 v4, 0x43000000, |v3|
; %bb.2081:
	s_or_b32 exec_lo, exec_lo, s4
                                        ; implicit-def: $vgpr5
.LBB15_2082:
	s_andn2_saveexec_b32 s3, s3
; %bb.2083:
	v_mov_b32_e32 v3, 0x7f
	v_cmp_lt_u32_e32 vcc_lo, 0x7f800000, v5
	v_cndmask_b32_e32 v4, 0x7c, v3, vcc_lo
; %bb.2084:
	s_or_b32 exec_lo, exec_lo, s3
	v_lshrrev_b32_e32 v3, 24, v2
	v_and_or_b32 v3, 0x80, v3, v4
	global_store_byte v[0:1], v3, off
.LBB15_2085:
	s_mov_b32 s3, 0
.LBB15_2086:
	s_andn2_b32 vcc_lo, exec_lo, s3
	s_mov_b32 s3, 0
	s_cbranch_vccnz .LBB15_2093
; %bb.2087:
	s_cmp_gt_i32 s2, 14
	s_mov_b32 s3, -1
	s_cbranch_scc0 .LBB15_2091
; %bb.2088:
	s_cmp_eq_u32 s2, 15
	s_mov_b32 s0, -1
	s_cbranch_scc0 .LBB15_2090
; %bb.2089:
	v_bfe_u32 v3, v2, 16, 1
	v_cmp_o_f32_e32 vcc_lo, v2, v2
	v_mov_b32_e32 v4, 0x7fc0
	s_mov_b32 s0, 0
	v_add3_u32 v3, v2, v3, 0x7fff
	v_cndmask_b32_sdwa v3, v4, v3, vcc_lo dst_sel:DWORD dst_unused:UNUSED_PAD src0_sel:DWORD src1_sel:WORD_1
	global_store_short v[0:1], v3, off
.LBB15_2090:
	s_mov_b32 s3, 0
.LBB15_2091:
	s_and_b32 vcc_lo, exec_lo, s3
	s_mov_b32 s3, 0
	s_cbranch_vccz .LBB15_2093
; %bb.2092:
	s_cmp_lg_u32 s2, 11
	s_mov_b32 s3, -1
	s_cselect_b32 s0, -1, 0
.LBB15_2093:
	s_and_b32 vcc_lo, exec_lo, s0
	s_cbranch_vccnz .LBB15_2159
.LBB15_2094:
	s_mov_b32 s0, 0
	s_branch .LBB15_2096
.LBB15_2095:
	s_mov_b32 s0, 0
	s_mov_b32 s3, 0
                                        ; implicit-def: $vgpr0_vgpr1
                                        ; implicit-def: $sgpr6
                                        ; implicit-def: $vgpr2
.LBB15_2096:
	s_andn2_b32 s2, s12, exec_lo
	s_and_b32 s1, s1, exec_lo
	s_and_b32 s0, s0, exec_lo
	;; [unrolled: 1-line block ×3, first 2 shown]
	s_or_b32 s12, s2, s1
.LBB15_2097:
	s_or_b32 exec_lo, exec_lo, s13
	s_and_saveexec_b32 s1, s12
	s_cbranch_execz .LBB15_2100
; %bb.2098:
	; divergent unreachable
	s_or_b32 exec_lo, exec_lo, s1
	s_and_saveexec_b32 s1, s26
	s_xor_b32 s1, exec_lo, s1
	s_cbranch_execnz .LBB15_2101
.LBB15_2099:
	s_or_b32 exec_lo, exec_lo, s1
	s_and_saveexec_b32 s1, s0
	s_cbranch_execnz .LBB15_2102
	s_branch .LBB15_2139
.LBB15_2100:
	s_or_b32 exec_lo, exec_lo, s1
	s_and_saveexec_b32 s1, s26
	s_xor_b32 s1, exec_lo, s1
	s_cbranch_execz .LBB15_2099
.LBB15_2101:
	v_cmp_neq_f32_e32 vcc_lo, 0, v2
	s_waitcnt vmcnt(0)
	v_cndmask_b32_e64 v3, 0, 1, vcc_lo
	global_store_byte v[0:1], v3, off
	s_or_b32 exec_lo, exec_lo, s1
	s_and_saveexec_b32 s1, s0
	s_cbranch_execz .LBB15_2139
.LBB15_2102:
	s_sext_i32_i16 s1, s6
	s_mov_b32 s0, -1
	s_cmp_lt_i32 s1, 5
	s_cbranch_scc1 .LBB15_2123
; %bb.2103:
	s_cmp_lt_i32 s1, 8
	s_cbranch_scc1 .LBB15_2113
; %bb.2104:
	;; [unrolled: 3-line block ×3, first 2 shown]
	s_cmp_gt_i32 s1, 9
	s_cbranch_scc0 .LBB15_2107
; %bb.2106:
	s_waitcnt vmcnt(0)
	v_cvt_f64_f32_e32 v[3:4], v2
	v_mov_b32_e32 v5, 0
	s_mov_b32 s0, 0
	v_mov_b32_e32 v6, v5
	global_store_dwordx4 v[0:1], v[3:6], off
.LBB15_2107:
	s_andn2_b32 vcc_lo, exec_lo, s0
	s_cbranch_vccnz .LBB15_2109
; %bb.2108:
	s_waitcnt vmcnt(0)
	v_mov_b32_e32 v3, 0
	global_store_dwordx2 v[0:1], v[2:3], off
.LBB15_2109:
	s_mov_b32 s0, 0
.LBB15_2110:
	s_andn2_b32 vcc_lo, exec_lo, s0
	s_cbranch_vccnz .LBB15_2112
; %bb.2111:
	s_waitcnt vmcnt(0)
	v_cvt_f16_f32_e32 v3, v2
	v_and_b32_e32 v3, 0xffff, v3
	global_store_dword v[0:1], v3, off
.LBB15_2112:
	s_mov_b32 s0, 0
.LBB15_2113:
	s_andn2_b32 vcc_lo, exec_lo, s0
	s_cbranch_vccnz .LBB15_2122
; %bb.2114:
	s_sext_i32_i16 s1, s6
	s_mov_b32 s0, -1
	s_cmp_lt_i32 s1, 6
	s_cbranch_scc1 .LBB15_2120
; %bb.2115:
	s_cmp_gt_i32 s1, 6
	s_cbranch_scc0 .LBB15_2117
; %bb.2116:
	s_waitcnt vmcnt(0)
	v_cvt_f64_f32_e32 v[3:4], v2
	s_mov_b32 s0, 0
	global_store_dwordx2 v[0:1], v[3:4], off
.LBB15_2117:
	s_andn2_b32 vcc_lo, exec_lo, s0
	s_cbranch_vccnz .LBB15_2119
; %bb.2118:
	s_waitcnt vmcnt(0)
	global_store_dword v[0:1], v2, off
.LBB15_2119:
	s_mov_b32 s0, 0
.LBB15_2120:
	s_andn2_b32 vcc_lo, exec_lo, s0
	s_cbranch_vccnz .LBB15_2122
; %bb.2121:
	s_waitcnt vmcnt(0)
	v_cvt_f16_f32_e32 v3, v2
	global_store_short v[0:1], v3, off
.LBB15_2122:
	s_mov_b32 s0, 0
.LBB15_2123:
	s_andn2_b32 vcc_lo, exec_lo, s0
	s_cbranch_vccnz .LBB15_2139
; %bb.2124:
	s_sext_i32_i16 s1, s6
	s_mov_b32 s0, -1
	s_cmp_lt_i32 s1, 2
	s_cbranch_scc1 .LBB15_2134
; %bb.2125:
	s_cmp_lt_i32 s1, 3
	s_cbranch_scc1 .LBB15_2131
; %bb.2126:
	s_cmp_gt_i32 s1, 3
	s_cbranch_scc0 .LBB15_2128
; %bb.2127:
	s_waitcnt vmcnt(0)
	v_trunc_f32_e32 v3, v2
	s_mov_b32 s0, 0
	v_mul_f32_e64 v4, 0x2f800000, |v3|
	v_ashrrev_i32_e32 v6, 31, v3
	v_floor_f32_e32 v4, v4
	v_fma_f32 v5, 0xcf800000, v4, |v3|
	v_cvt_u32_f32_e32 v4, v4
	v_cvt_u32_f32_e32 v3, v5
	v_xor_b32_e32 v4, v4, v6
	v_xor_b32_e32 v3, v3, v6
	v_sub_co_u32 v3, vcc_lo, v3, v6
	v_sub_co_ci_u32_e64 v4, null, v4, v6, vcc_lo
	global_store_dwordx2 v[0:1], v[3:4], off
.LBB15_2128:
	s_andn2_b32 vcc_lo, exec_lo, s0
	s_cbranch_vccnz .LBB15_2130
; %bb.2129:
	s_waitcnt vmcnt(0)
	v_cvt_i32_f32_e32 v3, v2
	global_store_dword v[0:1], v3, off
.LBB15_2130:
	s_mov_b32 s0, 0
.LBB15_2131:
	s_andn2_b32 vcc_lo, exec_lo, s0
	s_cbranch_vccnz .LBB15_2133
; %bb.2132:
	s_waitcnt vmcnt(0)
	v_cvt_i32_f32_e32 v3, v2
	global_store_short v[0:1], v3, off
.LBB15_2133:
	s_mov_b32 s0, 0
.LBB15_2134:
	s_andn2_b32 vcc_lo, exec_lo, s0
	s_cbranch_vccnz .LBB15_2139
; %bb.2135:
	s_sext_i32_i16 s0, s6
	s_cmp_gt_i32 s0, 0
	s_mov_b32 s0, -1
	s_cbranch_scc0 .LBB15_2137
; %bb.2136:
	s_waitcnt vmcnt(0)
	v_cvt_i32_f32_e32 v3, v2
	s_mov_b32 s0, 0
	global_store_byte v[0:1], v3, off
.LBB15_2137:
	s_andn2_b32 vcc_lo, exec_lo, s0
	s_cbranch_vccnz .LBB15_2139
; %bb.2138:
	v_trunc_f32_e32 v2, v2
	s_waitcnt vmcnt(0)
	v_mul_f32_e64 v3, 0x2f800000, |v2|
	v_floor_f32_e32 v3, v3
	v_fma_f32 v3, 0xcf800000, v3, |v2|
	v_ashrrev_i32_e32 v2, 31, v2
	v_cvt_u32_f32_e32 v3, v3
	v_xor_b32_e32 v3, v3, v2
	v_sub_nc_u32_e32 v2, v3, v2
	global_store_byte v[0:1], v2, off
	s_endpgm
.LBB15_2139:
	s_endpgm
.LBB15_2140:
	s_mov_b32 s3, 0
	s_mov_b32 s0, -1
	s_branch .LBB15_2096
.LBB15_2141:
	s_or_b32 s1, s1, exec_lo
	s_trap 2
	s_cbranch_execz .LBB15_1610
	s_branch .LBB15_1611
.LBB15_2142:
	s_andn2_saveexec_b32 s10, s10
	s_cbranch_execz .LBB15_1690
.LBB15_2143:
	v_add_f32_e64 v10, 0x46000000, |v8|
	s_andn2_b32 s7, s7, exec_lo
	v_and_b32_e32 v10, 0xff, v10
	v_cmp_ne_u32_e32 vcc_lo, 0, v10
	s_and_b32 s11, vcc_lo, exec_lo
	s_or_b32 s7, s7, s11
	s_or_b32 exec_lo, exec_lo, s10
	v_mov_b32_e32 v11, 0
	s_and_saveexec_b32 s10, s7
	s_cbranch_execnz .LBB15_1691
	s_branch .LBB15_1692
.LBB15_2144:
	s_or_b32 s1, s1, exec_lo
	s_trap 2
	s_cbranch_execz .LBB15_1738
	s_branch .LBB15_1739
.LBB15_2145:
	s_andn2_saveexec_b32 s7, s7
	s_cbranch_execz .LBB15_1703
.LBB15_2146:
	v_add_f32_e64 v10, 0x42800000, |v8|
	s_andn2_b32 s6, s6, exec_lo
	v_and_b32_e32 v10, 0xff, v10
	v_cmp_ne_u32_e32 vcc_lo, 0, v10
	s_and_b32 s10, vcc_lo, exec_lo
	s_or_b32 s6, s6, s10
	s_or_b32 exec_lo, exec_lo, s7
	v_mov_b32_e32 v11, 0
	s_and_saveexec_b32 s7, s6
	s_cbranch_execnz .LBB15_1704
	s_branch .LBB15_1705
.LBB15_2147:
	s_andn2_saveexec_b32 s7, s7
	s_cbranch_execz .LBB15_1809
.LBB15_2148:
	v_add_f32_e64 v7, 0x46000000, |v6|
	s_andn2_b32 s5, s5, exec_lo
	v_and_b32_e32 v7, 0xff, v7
	v_cmp_ne_u32_e32 vcc_lo, 0, v7
	s_and_b32 s10, vcc_lo, exec_lo
	s_or_b32 s5, s5, s10
	s_or_b32 exec_lo, exec_lo, s7
	v_mov_b32_e32 v8, 0
	s_and_saveexec_b32 s7, s5
	s_cbranch_execnz .LBB15_1810
	s_branch .LBB15_1811
.LBB15_2149:
	s_or_b32 s1, s1, exec_lo
	s_trap 2
	s_cbranch_execz .LBB15_1857
	s_branch .LBB15_1858
.LBB15_2150:
	s_andn2_saveexec_b32 s5, s5
	s_cbranch_execz .LBB15_1822
.LBB15_2151:
	v_add_f32_e64 v7, 0x42800000, |v6|
	s_andn2_b32 s4, s4, exec_lo
	v_and_b32_e32 v7, 0xff, v7
	v_cmp_ne_u32_e32 vcc_lo, 0, v7
	s_and_b32 s7, vcc_lo, exec_lo
	s_or_b32 s4, s4, s7
	s_or_b32 exec_lo, exec_lo, s5
	v_mov_b32_e32 v8, 0
	s_and_saveexec_b32 s5, s4
	s_cbranch_execnz .LBB15_1823
	s_branch .LBB15_1824
.LBB15_2152:
	s_andn2_saveexec_b32 s7, s7
	s_cbranch_execz .LBB15_1928
.LBB15_2153:
	v_add_f32_e64 v5, 0x46000000, |v4|
	s_andn2_b32 s5, s5, exec_lo
	v_and_b32_e32 v5, 0xff, v5
	v_cmp_ne_u32_e32 vcc_lo, 0, v5
	s_and_b32 s10, vcc_lo, exec_lo
	s_or_b32 s5, s5, s10
	s_or_b32 exec_lo, exec_lo, s7
	v_mov_b32_e32 v6, 0
	s_and_saveexec_b32 s7, s5
	s_cbranch_execnz .LBB15_1929
	s_branch .LBB15_1930
.LBB15_2154:
	s_or_b32 s1, s1, exec_lo
	s_trap 2
	s_cbranch_execz .LBB15_1976
	s_branch .LBB15_1977
.LBB15_2155:
	s_andn2_saveexec_b32 s5, s5
	s_cbranch_execz .LBB15_1941
.LBB15_2156:
	v_add_f32_e64 v5, 0x42800000, |v4|
	s_andn2_b32 s4, s4, exec_lo
	v_and_b32_e32 v5, 0xff, v5
	v_cmp_ne_u32_e32 vcc_lo, 0, v5
	s_and_b32 s7, vcc_lo, exec_lo
	s_or_b32 s4, s4, s7
	s_or_b32 exec_lo, exec_lo, s5
	v_mov_b32_e32 v6, 0
	s_and_saveexec_b32 s5, s4
	s_cbranch_execnz .LBB15_1942
	s_branch .LBB15_1943
.LBB15_2157:
	s_andn2_saveexec_b32 s7, s7
	s_cbranch_execz .LBB15_2048
.LBB15_2158:
	v_add_f32_e64 v4, 0x46000000, |v3|
	s_andn2_b32 s5, s5, exec_lo
	v_and_b32_e32 v4, 0xff, v4
	v_cmp_ne_u32_e32 vcc_lo, 0, v4
	s_and_b32 s8, vcc_lo, exec_lo
	s_or_b32 s5, s5, s8
	s_or_b32 exec_lo, exec_lo, s7
	v_mov_b32_e32 v5, 0
	s_and_saveexec_b32 s7, s5
	s_cbranch_execnz .LBB15_2049
	s_branch .LBB15_2050
.LBB15_2159:
	s_mov_b32 s3, 0
	s_or_b32 s1, s1, exec_lo
	s_trap 2
	s_branch .LBB15_2094
.LBB15_2160:
	s_andn2_saveexec_b32 s5, s5
	s_cbranch_execz .LBB15_2060
.LBB15_2161:
	v_add_f32_e64 v4, 0x42800000, |v3|
	s_andn2_b32 s4, s4, exec_lo
	v_and_b32_e32 v4, 0xff, v4
	v_cmp_ne_u32_e32 vcc_lo, 0, v4
	s_and_b32 s7, vcc_lo, exec_lo
	s_or_b32 s4, s4, s7
	s_or_b32 exec_lo, exec_lo, s5
	v_mov_b32_e32 v5, 0
	s_and_saveexec_b32 s5, s4
	s_cbranch_execnz .LBB15_2061
	s_branch .LBB15_2062
	.section	.rodata,"a",@progbits
	.p2align	6, 0x0
	.amdhsa_kernel _ZN2at6native32elementwise_kernel_manual_unrollILi128ELi4EZNS0_15gpu_kernel_implIZZZNS0_16atan_kernel_cudaERNS_18TensorIteratorBaseEENKUlvE0_clEvENKUlvE0_clEvEUlfE_EEvS4_RKT_EUlibE0_EEviT1_
		.amdhsa_group_segment_fixed_size 0
		.amdhsa_private_segment_fixed_size 0
		.amdhsa_kernarg_size 360
		.amdhsa_user_sgpr_count 6
		.amdhsa_user_sgpr_private_segment_buffer 1
		.amdhsa_user_sgpr_dispatch_ptr 0
		.amdhsa_user_sgpr_queue_ptr 0
		.amdhsa_user_sgpr_kernarg_segment_ptr 1
		.amdhsa_user_sgpr_dispatch_id 0
		.amdhsa_user_sgpr_flat_scratch_init 0
		.amdhsa_user_sgpr_private_segment_size 0
		.amdhsa_wavefront_size32 1
		.amdhsa_uses_dynamic_stack 0
		.amdhsa_system_sgpr_private_segment_wavefront_offset 0
		.amdhsa_system_sgpr_workgroup_id_x 1
		.amdhsa_system_sgpr_workgroup_id_y 0
		.amdhsa_system_sgpr_workgroup_id_z 0
		.amdhsa_system_sgpr_workgroup_info 0
		.amdhsa_system_vgpr_workitem_id 0
		.amdhsa_next_free_vgpr 18
		.amdhsa_next_free_sgpr 68
		.amdhsa_reserve_vcc 1
		.amdhsa_reserve_flat_scratch 0
		.amdhsa_float_round_mode_32 0
		.amdhsa_float_round_mode_16_64 0
		.amdhsa_float_denorm_mode_32 3
		.amdhsa_float_denorm_mode_16_64 3
		.amdhsa_dx10_clamp 1
		.amdhsa_ieee_mode 1
		.amdhsa_fp16_overflow 0
		.amdhsa_workgroup_processor_mode 1
		.amdhsa_memory_ordered 1
		.amdhsa_forward_progress 1
		.amdhsa_shared_vgpr_count 0
		.amdhsa_exception_fp_ieee_invalid_op 0
		.amdhsa_exception_fp_denorm_src 0
		.amdhsa_exception_fp_ieee_div_zero 0
		.amdhsa_exception_fp_ieee_overflow 0
		.amdhsa_exception_fp_ieee_underflow 0
		.amdhsa_exception_fp_ieee_inexact 0
		.amdhsa_exception_int_div_zero 0
	.end_amdhsa_kernel
	.section	.text._ZN2at6native32elementwise_kernel_manual_unrollILi128ELi4EZNS0_15gpu_kernel_implIZZZNS0_16atan_kernel_cudaERNS_18TensorIteratorBaseEENKUlvE0_clEvENKUlvE0_clEvEUlfE_EEvS4_RKT_EUlibE0_EEviT1_,"axG",@progbits,_ZN2at6native32elementwise_kernel_manual_unrollILi128ELi4EZNS0_15gpu_kernel_implIZZZNS0_16atan_kernel_cudaERNS_18TensorIteratorBaseEENKUlvE0_clEvENKUlvE0_clEvEUlfE_EEvS4_RKT_EUlibE0_EEviT1_,comdat
.Lfunc_end15:
	.size	_ZN2at6native32elementwise_kernel_manual_unrollILi128ELi4EZNS0_15gpu_kernel_implIZZZNS0_16atan_kernel_cudaERNS_18TensorIteratorBaseEENKUlvE0_clEvENKUlvE0_clEvEUlfE_EEvS4_RKT_EUlibE0_EEviT1_, .Lfunc_end15-_ZN2at6native32elementwise_kernel_manual_unrollILi128ELi4EZNS0_15gpu_kernel_implIZZZNS0_16atan_kernel_cudaERNS_18TensorIteratorBaseEENKUlvE0_clEvENKUlvE0_clEvEUlfE_EEvS4_RKT_EUlibE0_EEviT1_
                                        ; -- End function
	.set _ZN2at6native32elementwise_kernel_manual_unrollILi128ELi4EZNS0_15gpu_kernel_implIZZZNS0_16atan_kernel_cudaERNS_18TensorIteratorBaseEENKUlvE0_clEvENKUlvE0_clEvEUlfE_EEvS4_RKT_EUlibE0_EEviT1_.num_vgpr, 18
	.set _ZN2at6native32elementwise_kernel_manual_unrollILi128ELi4EZNS0_15gpu_kernel_implIZZZNS0_16atan_kernel_cudaERNS_18TensorIteratorBaseEENKUlvE0_clEvENKUlvE0_clEvEUlfE_EEvS4_RKT_EUlibE0_EEviT1_.num_agpr, 0
	.set _ZN2at6native32elementwise_kernel_manual_unrollILi128ELi4EZNS0_15gpu_kernel_implIZZZNS0_16atan_kernel_cudaERNS_18TensorIteratorBaseEENKUlvE0_clEvENKUlvE0_clEvEUlfE_EEvS4_RKT_EUlibE0_EEviT1_.numbered_sgpr, 68
	.set _ZN2at6native32elementwise_kernel_manual_unrollILi128ELi4EZNS0_15gpu_kernel_implIZZZNS0_16atan_kernel_cudaERNS_18TensorIteratorBaseEENKUlvE0_clEvENKUlvE0_clEvEUlfE_EEvS4_RKT_EUlibE0_EEviT1_.num_named_barrier, 0
	.set _ZN2at6native32elementwise_kernel_manual_unrollILi128ELi4EZNS0_15gpu_kernel_implIZZZNS0_16atan_kernel_cudaERNS_18TensorIteratorBaseEENKUlvE0_clEvENKUlvE0_clEvEUlfE_EEvS4_RKT_EUlibE0_EEviT1_.private_seg_size, 0
	.set _ZN2at6native32elementwise_kernel_manual_unrollILi128ELi4EZNS0_15gpu_kernel_implIZZZNS0_16atan_kernel_cudaERNS_18TensorIteratorBaseEENKUlvE0_clEvENKUlvE0_clEvEUlfE_EEvS4_RKT_EUlibE0_EEviT1_.uses_vcc, 1
	.set _ZN2at6native32elementwise_kernel_manual_unrollILi128ELi4EZNS0_15gpu_kernel_implIZZZNS0_16atan_kernel_cudaERNS_18TensorIteratorBaseEENKUlvE0_clEvENKUlvE0_clEvEUlfE_EEvS4_RKT_EUlibE0_EEviT1_.uses_flat_scratch, 0
	.set _ZN2at6native32elementwise_kernel_manual_unrollILi128ELi4EZNS0_15gpu_kernel_implIZZZNS0_16atan_kernel_cudaERNS_18TensorIteratorBaseEENKUlvE0_clEvENKUlvE0_clEvEUlfE_EEvS4_RKT_EUlibE0_EEviT1_.has_dyn_sized_stack, 0
	.set _ZN2at6native32elementwise_kernel_manual_unrollILi128ELi4EZNS0_15gpu_kernel_implIZZZNS0_16atan_kernel_cudaERNS_18TensorIteratorBaseEENKUlvE0_clEvENKUlvE0_clEvEUlfE_EEvS4_RKT_EUlibE0_EEviT1_.has_recursion, 0
	.set _ZN2at6native32elementwise_kernel_manual_unrollILi128ELi4EZNS0_15gpu_kernel_implIZZZNS0_16atan_kernel_cudaERNS_18TensorIteratorBaseEENKUlvE0_clEvENKUlvE0_clEvEUlfE_EEvS4_RKT_EUlibE0_EEviT1_.has_indirect_call, 0
	.section	.AMDGPU.csdata,"",@progbits
; Kernel info:
; codeLenInByte = 38148
; TotalNumSgprs: 70
; NumVgprs: 18
; ScratchSize: 0
; MemoryBound: 1
; FloatMode: 240
; IeeeMode: 1
; LDSByteSize: 0 bytes/workgroup (compile time only)
; SGPRBlocks: 0
; VGPRBlocks: 2
; NumSGPRsForWavesPerEU: 70
; NumVGPRsForWavesPerEU: 18
; Occupancy: 16
; WaveLimiterHint : 1
; COMPUTE_PGM_RSRC2:SCRATCH_EN: 0
; COMPUTE_PGM_RSRC2:USER_SGPR: 6
; COMPUTE_PGM_RSRC2:TRAP_HANDLER: 0
; COMPUTE_PGM_RSRC2:TGID_X_EN: 1
; COMPUTE_PGM_RSRC2:TGID_Y_EN: 0
; COMPUTE_PGM_RSRC2:TGID_Z_EN: 0
; COMPUTE_PGM_RSRC2:TIDIG_COMP_CNT: 0
	.section	.text._ZN2at6native29vectorized_elementwise_kernelILi16EZZZNS0_16atan_kernel_cudaERNS_18TensorIteratorBaseEENKUlvE0_clEvENKUlvE1_clEvEUlN3c104HalfEE_St5arrayIPcLm2EEEEviT0_T1_,"axG",@progbits,_ZN2at6native29vectorized_elementwise_kernelILi16EZZZNS0_16atan_kernel_cudaERNS_18TensorIteratorBaseEENKUlvE0_clEvENKUlvE1_clEvEUlN3c104HalfEE_St5arrayIPcLm2EEEEviT0_T1_,comdat
	.globl	_ZN2at6native29vectorized_elementwise_kernelILi16EZZZNS0_16atan_kernel_cudaERNS_18TensorIteratorBaseEENKUlvE0_clEvENKUlvE1_clEvEUlN3c104HalfEE_St5arrayIPcLm2EEEEviT0_T1_ ; -- Begin function _ZN2at6native29vectorized_elementwise_kernelILi16EZZZNS0_16atan_kernel_cudaERNS_18TensorIteratorBaseEENKUlvE0_clEvENKUlvE1_clEvEUlN3c104HalfEE_St5arrayIPcLm2EEEEviT0_T1_
	.p2align	8
	.type	_ZN2at6native29vectorized_elementwise_kernelILi16EZZZNS0_16atan_kernel_cudaERNS_18TensorIteratorBaseEENKUlvE0_clEvENKUlvE1_clEvEUlN3c104HalfEE_St5arrayIPcLm2EEEEviT0_T1_,@function
_ZN2at6native29vectorized_elementwise_kernelILi16EZZZNS0_16atan_kernel_cudaERNS_18TensorIteratorBaseEENKUlvE0_clEvENKUlvE1_clEvEUlN3c104HalfEE_St5arrayIPcLm2EEEEviT0_T1_: ; @_ZN2at6native29vectorized_elementwise_kernelILi16EZZZNS0_16atan_kernel_cudaERNS_18TensorIteratorBaseEENKUlvE0_clEvENKUlvE1_clEvEUlN3c104HalfEE_St5arrayIPcLm2EEEEviT0_T1_
; %bb.0:
	s_clause 0x1
	s_load_dword s0, s[4:5], 0x0
	s_load_dwordx4 s[8:11], s[4:5], 0x8
	s_lshl_b32 s12, s6, 11
	s_waitcnt lgkmcnt(0)
	s_sub_i32 s7, s0, s12
	s_mov_b32 s0, -1
	s_cmpk_gt_i32 s7, 0x7ff
	s_cbranch_scc0 .LBB16_2
; %bb.1:
	s_ashr_i32 s13, s12, 31
	v_lshlrev_b32_e32 v5, 4, v0
	s_lshl_b64 s[14:15], s[12:13], 1
	s_mov_b32 s13, 0x3b2d2a58
	s_add_u32 s0, s10, s14
	s_addc_u32 s1, s11, s15
	global_load_dwordx4 v[1:4], v5, s[0:1]
	s_waitcnt vmcnt(0)
	v_lshrrev_b32_e32 v6, 16, v1
	v_lshrrev_b32_e32 v7, 16, v2
	;; [unrolled: 1-line block ×3, first 2 shown]
	v_cvt_f32_f16_e32 v9, v1
	v_lshrrev_b32_e32 v10, 16, v4
	v_cvt_f32_f16_e32 v11, v2
	v_cvt_f32_f16_e32 v12, v3
	v_cvt_f32_f16_e32 v13, v4
	v_rcp_f32_e64 v14, |v9|
	v_cvt_f32_f16_e32 v15, v6
	v_rcp_f32_e64 v16, |v11|
	v_cvt_f32_f16_e32 v17, v7
	;; [unrolled: 2-line block ×3, first 2 shown]
	v_cvt_f32_f16_e32 v20, v10
	v_rcp_f32_e64 v21, |v13|
	v_rcp_f32_e64 v22, |v15|
	v_rcp_f32_e64 v23, |v17|
	v_rcp_f32_e64 v24, |v19|
	v_rcp_f32_e64 v25, |v20|
	v_cmp_gt_f32_e64 vcc_lo, |v9|, 1.0
	v_cmp_gt_f32_e64 s0, |v11|, 1.0
	v_cmp_gt_f32_e64 s1, |v12|, 1.0
	;; [unrolled: 1-line block ×4, first 2 shown]
	v_cndmask_b32_e64 v9, |v9|, v14, vcc_lo
	v_cndmask_b32_e64 v11, |v11|, v16, s0
	v_cndmask_b32_e64 v12, |v12|, v18, s1
	;; [unrolled: 1-line block ×3, first 2 shown]
	v_cmp_gt_f32_e64 s4, |v17|, 1.0
	v_cmp_gt_f32_e64 s5, |v19|, 1.0
	;; [unrolled: 1-line block ×3, first 2 shown]
	v_mul_f32_e32 v14, v9, v9
	v_cndmask_b32_e64 v15, |v15|, v22, s3
	v_mul_f32_e32 v16, v11, v11
	v_cndmask_b32_e64 v17, |v17|, v23, s4
	;; [unrolled: 2-line block ×4, first 2 shown]
	v_fmaak_f32 v22, s13, v14, 0xbc7a590c
	v_mul_f32_e32 v23, v15, v15
	v_fmaak_f32 v24, s13, v16, 0xbc7a590c
	v_mul_f32_e32 v25, v17, v17
	;; [unrolled: 2-line block ×4, first 2 shown]
	v_fmaak_f32 v22, v14, v22, 0x3d29fb3f
	v_fmaak_f32 v30, s13, v23, 0xbc7a590c
	;; [unrolled: 1-line block ×48, first 2 shown]
	v_mul_f32_e32 v14, v14, v22
	v_fmaak_f32 v22, v23, v30, 0xbeaaaa62
	v_mul_f32_e32 v16, v16, v24
	v_fmaak_f32 v24, v25, v31, 0xbeaaaa62
	v_mul_f32_e32 v18, v18, v26
	v_fmaak_f32 v26, v27, v32, 0xbeaaaa62
	v_mul_f32_e32 v21, v21, v28
	v_fmaak_f32 v28, v29, v33, 0xbeaaaa62
	v_fmac_f32_e32 v9, v9, v14
	v_mul_f32_e32 v14, v23, v22
	v_fmac_f32_e32 v11, v11, v16
	v_mul_f32_e32 v16, v25, v24
	v_fmac_f32_e32 v12, v12, v18
	v_mul_f32_e32 v18, v27, v26
	v_fmac_f32_e32 v13, v13, v21
	v_mul_f32_e32 v21, v29, v28
	v_sub_f32_e32 v22, 0x3fc90fdb, v9
	v_fmac_f32_e32 v15, v15, v14
	v_sub_f32_e32 v14, 0x3fc90fdb, v11
	v_fmac_f32_e32 v17, v17, v16
	;; [unrolled: 2-line block ×4, first 2 shown]
	v_cndmask_b32_e32 v9, v9, v22, vcc_lo
	v_sub_f32_e32 v21, 0x3fc90fdb, v15
	v_cndmask_b32_e64 v11, v11, v14, s0
	v_sub_f32_e32 v14, 0x3fc90fdb, v17
	v_cndmask_b32_e64 v12, v12, v16, s1
	;; [unrolled: 2-line block ×3, first 2 shown]
	v_sub_f32_e32 v18, 0x3fc90fdb, v20
	v_cvt_f16_f32_e32 v9, v9
	v_cndmask_b32_e64 v15, v15, v21, s3
	v_cvt_f16_f32_e32 v11, v11
	v_cndmask_b32_e64 v14, v17, v14, s4
	v_cndmask_b32_e64 v16, v19, v16, s5
	;; [unrolled: 1-line block ×3, first 2 shown]
	v_cvt_f16_f32_e32 v12, v12
	v_cvt_f16_f32_e32 v13, v13
	v_bfi_b32 v1, 0x7fff, v9, v1
	v_cvt_f16_f32_e32 v9, v15
	v_bfi_b32 v2, 0x7fff, v11, v2
	v_cvt_f16_f32_e32 v11, v17
	v_cvt_f16_f32_e32 v15, v16
	;; [unrolled: 1-line block ×3, first 2 shown]
	v_bfi_b32 v3, 0x7fff, v12, v3
	v_bfi_b32 v4, 0x7fff, v13, v4
	;; [unrolled: 1-line block ×6, first 2 shown]
	s_add_u32 s2, s8, s14
	v_pack_b32_f16 v4, v4, v10
	v_pack_b32_f16 v3, v3, v8
	;; [unrolled: 1-line block ×4, first 2 shown]
	s_addc_u32 s3, s9, s15
	s_mov_b32 s0, 0
	global_store_dwordx4 v5, v[1:4], s[2:3]
.LBB16_2:
	s_andn2_b32 vcc_lo, exec_lo, s0
	s_cbranch_vccnz .LBB16_41
; %bb.3:
	v_cmp_gt_i32_e32 vcc_lo, s7, v0
	v_mov_b32_e32 v6, 0
	v_or_b32_e32 v1, s12, v0
	v_or_b32_e32 v3, 0x100, v0
	v_mov_b32_e32 v10, 0
	v_mov_b32_e32 v8, v0
	s_and_saveexec_b32 s1, vcc_lo
	s_cbranch_execz .LBB16_5
; %bb.4:
	v_mov_b32_e32 v2, 0
	v_or_b32_e32 v8, 0x100, v0
	v_lshlrev_b64 v[4:5], 1, v[1:2]
	v_add_co_u32 v4, s0, s10, v4
	v_add_co_ci_u32_e64 v5, null, s11, v5, s0
	global_load_ushort v2, v[4:5], off
	s_waitcnt vmcnt(0)
	v_cvt_f32_f16_e32 v10, v2
.LBB16_5:
	s_or_b32 exec_lo, exec_lo, s1
	s_mov_b32 s1, exec_lo
	v_cmpx_gt_i32_e64 s7, v8
	s_cbranch_execz .LBB16_7
; %bb.6:
	v_add_nc_u32_e32 v4, s12, v8
	v_mov_b32_e32 v5, 0
	v_add_nc_u32_e32 v8, 0x100, v8
	v_lshlrev_b64 v[4:5], 1, v[4:5]
	v_add_co_u32 v4, s0, s10, v4
	v_add_co_ci_u32_e64 v5, null, s11, v5, s0
	global_load_ushort v2, v[4:5], off
	s_waitcnt vmcnt(0)
	v_cvt_f32_f16_e32 v6, v2
.LBB16_7:
	s_or_b32 exec_lo, exec_lo, s1
	v_mov_b32_e32 v5, 0
	v_mov_b32_e32 v11, 0
	s_mov_b32 s1, exec_lo
	v_cmpx_gt_i32_e64 s7, v8
	s_cbranch_execz .LBB16_9
; %bb.8:
	v_add_nc_u32_e32 v11, s12, v8
	v_mov_b32_e32 v12, 0
	v_add_nc_u32_e32 v8, 0x100, v8
	v_lshlrev_b64 v[11:12], 1, v[11:12]
	v_add_co_u32 v11, s0, s10, v11
	v_add_co_ci_u32_e64 v12, null, s11, v12, s0
	global_load_ushort v2, v[11:12], off
	s_waitcnt vmcnt(0)
	v_cvt_f32_f16_e32 v11, v2
.LBB16_9:
	s_or_b32 exec_lo, exec_lo, s1
	s_mov_b32 s1, exec_lo
	v_cmpx_gt_i32_e64 s7, v8
	s_cbranch_execz .LBB16_11
; %bb.10:
	v_add_nc_u32_e32 v4, s12, v8
	v_mov_b32_e32 v5, 0
	v_add_nc_u32_e32 v8, 0x100, v8
	v_lshlrev_b64 v[4:5], 1, v[4:5]
	v_add_co_u32 v4, s0, s10, v4
	v_add_co_ci_u32_e64 v5, null, s11, v5, s0
	global_load_ushort v2, v[4:5], off
	s_waitcnt vmcnt(0)
	v_cvt_f32_f16_e32 v5, v2
.LBB16_11:
	s_or_b32 exec_lo, exec_lo, s1
	v_mov_b32_e32 v4, 0
	v_mov_b32_e32 v9, 0
	s_mov_b32 s1, exec_lo
	v_cmpx_gt_i32_e64 s7, v8
	s_cbranch_execz .LBB16_13
; %bb.12:
	v_add_nc_u32_e32 v12, s12, v8
	v_mov_b32_e32 v13, 0
	v_add_nc_u32_e32 v8, 0x100, v8
	v_lshlrev_b64 v[12:13], 1, v[12:13]
	v_add_co_u32 v12, s0, s10, v12
	v_add_co_ci_u32_e64 v13, null, s11, v13, s0
	global_load_ushort v2, v[12:13], off
	s_waitcnt vmcnt(0)
	v_cvt_f32_f16_e32 v9, v2
.LBB16_13:
	s_or_b32 exec_lo, exec_lo, s1
	s_mov_b32 s1, exec_lo
	v_cmpx_gt_i32_e64 s7, v8
	s_cbranch_execz .LBB16_15
; %bb.14:
	v_add_nc_u32_e32 v12, s12, v8
	v_mov_b32_e32 v13, 0
	v_add_nc_u32_e32 v8, 0x100, v8
	v_lshlrev_b64 v[12:13], 1, v[12:13]
	v_add_co_u32 v12, s0, s10, v12
	v_add_co_ci_u32_e64 v13, null, s11, v13, s0
	global_load_ushort v2, v[12:13], off
	s_waitcnt vmcnt(0)
	v_cvt_f32_f16_e32 v4, v2
.LBB16_15:
	s_or_b32 exec_lo, exec_lo, s1
	v_mov_b32_e32 v2, 0
	v_mov_b32_e32 v7, 0
	s_mov_b32 s1, exec_lo
	v_cmpx_gt_i32_e64 s7, v8
	s_cbranch_execz .LBB16_42
; %bb.16:
	v_add_nc_u32_e32 v12, s12, v8
	v_mov_b32_e32 v13, 0
	v_add_nc_u32_e32 v8, 0x100, v8
	v_lshlrev_b64 v[12:13], 1, v[12:13]
	v_add_co_u32 v12, s0, s10, v12
	v_add_co_ci_u32_e64 v13, null, s11, v13, s0
	global_load_ushort v7, v[12:13], off
	s_waitcnt vmcnt(0)
	v_cvt_f32_f16_e32 v7, v7
	s_or_b32 exec_lo, exec_lo, s1
	s_mov_b32 s1, exec_lo
	v_cmpx_gt_i32_e64 s7, v8
	s_cbranch_execnz .LBB16_43
.LBB16_17:
	s_or_b32 exec_lo, exec_lo, s1
                                        ; implicit-def: $vgpr8
	s_and_saveexec_b32 s1, vcc_lo
	s_cbranch_execz .LBB16_19
.LBB16_18:
	v_rcp_f32_e64 v8, |v10|
	v_cmp_gt_f32_e64 s0, |v10|, 1.0
	s_mov_b32 s2, 0x3b2d2a58
	v_cndmask_b32_e64 v8, |v10|, v8, s0
	v_lshrrev_b32_e32 v10, 16, v10
	v_mul_f32_e32 v12, v8, v8
	v_fmaak_f32 v13, s2, v12, 0xbc7a590c
	v_fmaak_f32 v13, v12, v13, 0x3d29fb3f
	;; [unrolled: 1-line block ×7, first 2 shown]
	v_mul_f32_e32 v12, v12, v13
	v_fmac_f32_e32 v8, v8, v12
	v_sub_f32_e32 v12, 0x3fc90fdb, v8
	v_cndmask_b32_e64 v8, v8, v12, s0
	v_cvt_f16_f32_e32 v8, v8
	v_bfi_b32 v8, 0x7fff, v8, v10
.LBB16_19:
	s_or_b32 exec_lo, exec_lo, s1
	s_mov_b32 s1, exec_lo
                                        ; implicit-def: $vgpr10
	v_cmpx_gt_i32_e64 s7, v3
	s_cbranch_execz .LBB16_21
; %bb.20:
	v_rcp_f32_e64 v10, |v6|
	v_cmp_gt_f32_e64 s0, |v6|, 1.0
	s_mov_b32 s2, 0x3b2d2a58
	v_cndmask_b32_e64 v10, |v6|, v10, s0
	v_lshrrev_b32_e32 v6, 16, v6
	v_mul_f32_e32 v12, v10, v10
	v_fmaak_f32 v13, s2, v12, 0xbc7a590c
	v_fmaak_f32 v13, v12, v13, 0x3d29fb3f
	;; [unrolled: 1-line block ×7, first 2 shown]
	v_mul_f32_e32 v12, v12, v13
	v_fmac_f32_e32 v10, v10, v12
	v_sub_f32_e32 v12, 0x3fc90fdb, v10
	v_cndmask_b32_e64 v10, v10, v12, s0
	v_cvt_f16_f32_e32 v10, v10
	v_bfi_b32 v10, 0x7fff, v10, v6
.LBB16_21:
	s_or_b32 exec_lo, exec_lo, s1
	v_or_b32_e32 v6, 0x200, v0
	v_cmp_gt_i32_e64 s0, s7, v6
                                        ; implicit-def: $vgpr6
	s_and_saveexec_b32 s1, s0
	s_cbranch_execz .LBB16_23
; %bb.22:
	v_rcp_f32_e64 v6, |v11|
	v_cmp_gt_f32_e64 s0, |v11|, 1.0
	s_mov_b32 s2, 0x3b2d2a58
	v_cndmask_b32_e64 v6, |v11|, v6, s0
	v_lshrrev_b32_e32 v11, 16, v11
	v_mul_f32_e32 v12, v6, v6
	v_fmaak_f32 v13, s2, v12, 0xbc7a590c
	v_fmaak_f32 v13, v12, v13, 0x3d29fb3f
	v_fmaak_f32 v13, v12, v13, 0xbd97d4d7
	v_fmaak_f32 v13, v12, v13, 0x3dd931b2
	v_fmaak_f32 v13, v12, v13, 0xbe1160e6
	v_fmaak_f32 v13, v12, v13, 0x3e4cb8bf
	v_fmaak_f32 v13, v12, v13, 0xbeaaaa62
	v_mul_f32_e32 v12, v12, v13
	v_fmac_f32_e32 v6, v6, v12
	v_sub_f32_e32 v12, 0x3fc90fdb, v6
	v_cndmask_b32_e64 v6, v6, v12, s0
	v_cvt_f16_f32_e32 v6, v6
	v_bfi_b32 v6, 0x7fff, v6, v11
.LBB16_23:
	s_or_b32 exec_lo, exec_lo, s1
	v_or_b32_e32 v11, 0x300, v0
	v_cmp_gt_i32_e64 s0, s7, v11
                                        ; implicit-def: $vgpr11
	s_and_saveexec_b32 s1, s0
	s_cbranch_execz .LBB16_25
; %bb.24:
	v_rcp_f32_e64 v11, |v5|
	v_cmp_gt_f32_e64 s0, |v5|, 1.0
	s_mov_b32 s2, 0x3b2d2a58
	v_cndmask_b32_e64 v11, |v5|, v11, s0
	v_lshrrev_b32_e32 v5, 16, v5
	v_mul_f32_e32 v12, v11, v11
	v_fmaak_f32 v13, s2, v12, 0xbc7a590c
	v_fmaak_f32 v13, v12, v13, 0x3d29fb3f
	v_fmaak_f32 v13, v12, v13, 0xbd97d4d7
	v_fmaak_f32 v13, v12, v13, 0x3dd931b2
	v_fmaak_f32 v13, v12, v13, 0xbe1160e6
	v_fmaak_f32 v13, v12, v13, 0x3e4cb8bf
	v_fmaak_f32 v13, v12, v13, 0xbeaaaa62
	v_mul_f32_e32 v12, v12, v13
	v_fmac_f32_e32 v11, v11, v12
	v_sub_f32_e32 v12, 0x3fc90fdb, v11
	v_cndmask_b32_e64 v11, v11, v12, s0
	v_cvt_f16_f32_e32 v11, v11
	v_bfi_b32 v11, 0x7fff, v11, v5
.LBB16_25:
	s_or_b32 exec_lo, exec_lo, s1
	v_or_b32_e32 v5, 0x400, v0
	v_cmp_gt_i32_e64 s0, s7, v5
                                        ; implicit-def: $vgpr5
	s_and_saveexec_b32 s1, s0
	s_cbranch_execz .LBB16_27
; %bb.26:
	v_rcp_f32_e64 v5, |v9|
	v_cmp_gt_f32_e64 s0, |v9|, 1.0
	s_mov_b32 s2, 0x3b2d2a58
	v_cndmask_b32_e64 v5, |v9|, v5, s0
	v_lshrrev_b32_e32 v9, 16, v9
	v_mul_f32_e32 v12, v5, v5
	v_fmaak_f32 v13, s2, v12, 0xbc7a590c
	v_fmaak_f32 v13, v12, v13, 0x3d29fb3f
	v_fmaak_f32 v13, v12, v13, 0xbd97d4d7
	v_fmaak_f32 v13, v12, v13, 0x3dd931b2
	v_fmaak_f32 v13, v12, v13, 0xbe1160e6
	v_fmaak_f32 v13, v12, v13, 0x3e4cb8bf
	v_fmaak_f32 v13, v12, v13, 0xbeaaaa62
	v_mul_f32_e32 v12, v12, v13
	v_fmac_f32_e32 v5, v5, v12
	v_sub_f32_e32 v12, 0x3fc90fdb, v5
	v_cndmask_b32_e64 v5, v5, v12, s0
	v_cvt_f16_f32_e32 v5, v5
	v_bfi_b32 v5, 0x7fff, v5, v9
.LBB16_27:
	s_or_b32 exec_lo, exec_lo, s1
	v_or_b32_e32 v9, 0x500, v0
	v_cmp_gt_i32_e64 s0, s7, v9
                                        ; implicit-def: $vgpr9
	s_and_saveexec_b32 s1, s0
	s_cbranch_execz .LBB16_29
; %bb.28:
	v_rcp_f32_e64 v9, |v4|
	v_cmp_gt_f32_e64 s0, |v4|, 1.0
	s_mov_b32 s2, 0x3b2d2a58
	v_cndmask_b32_e64 v9, |v4|, v9, s0
	v_lshrrev_b32_e32 v4, 16, v4
	v_mul_f32_e32 v12, v9, v9
	v_fmaak_f32 v13, s2, v12, 0xbc7a590c
	v_fmaak_f32 v13, v12, v13, 0x3d29fb3f
	;; [unrolled: 1-line block ×7, first 2 shown]
	v_mul_f32_e32 v12, v12, v13
	v_fmac_f32_e32 v9, v9, v12
	v_sub_f32_e32 v12, 0x3fc90fdb, v9
	v_cndmask_b32_e64 v9, v9, v12, s0
	v_cvt_f16_f32_e32 v9, v9
	v_bfi_b32 v9, 0x7fff, v9, v4
.LBB16_29:
	s_or_b32 exec_lo, exec_lo, s1
	v_or_b32_e32 v4, 0x600, v0
	v_cmp_gt_i32_e64 s0, s7, v4
                                        ; implicit-def: $vgpr4
	s_and_saveexec_b32 s1, s0
	s_cbranch_execz .LBB16_31
; %bb.30:
	v_rcp_f32_e64 v4, |v7|
	v_cmp_gt_f32_e64 s0, |v7|, 1.0
	s_mov_b32 s2, 0x3b2d2a58
	v_cndmask_b32_e64 v4, |v7|, v4, s0
	v_lshrrev_b32_e32 v7, 16, v7
	v_mul_f32_e32 v12, v4, v4
	v_fmaak_f32 v13, s2, v12, 0xbc7a590c
	v_fmaak_f32 v13, v12, v13, 0x3d29fb3f
	;; [unrolled: 1-line block ×7, first 2 shown]
	v_mul_f32_e32 v12, v12, v13
	v_fmac_f32_e32 v4, v4, v12
	v_sub_f32_e32 v12, 0x3fc90fdb, v4
	v_cndmask_b32_e64 v4, v4, v12, s0
	v_cvt_f16_f32_e32 v4, v4
	v_bfi_b32 v4, 0x7fff, v4, v7
.LBB16_31:
	s_or_b32 exec_lo, exec_lo, s1
	v_or_b32_e32 v7, 0x700, v0
	v_cmp_gt_i32_e64 s0, s7, v7
                                        ; implicit-def: $vgpr7
	s_and_saveexec_b32 s1, s0
	s_cbranch_execz .LBB16_44
; %bb.32:
	v_rcp_f32_e64 v7, |v2|
	v_cmp_gt_f32_e64 s0, |v2|, 1.0
	s_mov_b32 s2, 0x3b2d2a58
	v_cndmask_b32_e64 v7, |v2|, v7, s0
	v_lshrrev_b32_e32 v2, 16, v2
	v_mul_f32_e32 v12, v7, v7
	v_fmaak_f32 v13, s2, v12, 0xbc7a590c
	v_fmaak_f32 v13, v12, v13, 0x3d29fb3f
	;; [unrolled: 1-line block ×7, first 2 shown]
	v_mul_f32_e32 v12, v12, v13
	v_fmac_f32_e32 v7, v7, v12
	v_sub_f32_e32 v12, 0x3fc90fdb, v7
	v_cndmask_b32_e64 v7, v7, v12, s0
	v_cvt_f16_f32_e32 v7, v7
	v_bfi_b32 v7, 0x7fff, v7, v2
	s_or_b32 exec_lo, exec_lo, s1
	s_and_saveexec_b32 s0, vcc_lo
	s_xor_b32 s0, exec_lo, s0
	s_cbranch_execnz .LBB16_45
.LBB16_33:
	s_or_b32 exec_lo, exec_lo, s0
	s_mov_b32 s0, exec_lo
	v_cmpx_gt_i32_e64 s7, v0
	s_cbranch_execz .LBB16_46
.LBB16_34:
	v_add_nc_u32_e32 v1, s12, v0
	v_mov_b32_e32 v2, 0
	v_add_nc_u32_e32 v0, 0x100, v0
	v_lshlrev_b64 v[1:2], 1, v[1:2]
	v_add_co_u32 v1, vcc_lo, s8, v1
	v_add_co_ci_u32_e64 v2, null, s9, v2, vcc_lo
	global_store_short v[1:2], v10, off
	s_or_b32 exec_lo, exec_lo, s0
	s_mov_b32 s0, exec_lo
	v_cmpx_gt_i32_e64 s7, v0
	s_cbranch_execnz .LBB16_47
.LBB16_35:
	s_or_b32 exec_lo, exec_lo, s0
	s_mov_b32 s0, exec_lo
	v_cmpx_gt_i32_e64 s7, v0
	s_cbranch_execz .LBB16_48
.LBB16_36:
	v_add_nc_u32_e32 v1, s12, v0
	v_mov_b32_e32 v2, 0
	v_add_nc_u32_e32 v0, 0x100, v0
	v_lshlrev_b64 v[1:2], 1, v[1:2]
	v_add_co_u32 v1, vcc_lo, s8, v1
	v_add_co_ci_u32_e64 v2, null, s9, v2, vcc_lo
	global_store_short v[1:2], v11, off
	s_or_b32 exec_lo, exec_lo, s0
	s_mov_b32 s0, exec_lo
	v_cmpx_gt_i32_e64 s7, v0
	s_cbranch_execnz .LBB16_49
.LBB16_37:
	s_or_b32 exec_lo, exec_lo, s0
	s_mov_b32 s0, exec_lo
	v_cmpx_gt_i32_e64 s7, v0
	s_cbranch_execz .LBB16_50
.LBB16_38:
	v_add_nc_u32_e32 v1, s12, v0
	v_mov_b32_e32 v2, 0
	v_add_nc_u32_e32 v0, 0x100, v0
	v_lshlrev_b64 v[1:2], 1, v[1:2]
	v_add_co_u32 v1, vcc_lo, s8, v1
	v_add_co_ci_u32_e64 v2, null, s9, v2, vcc_lo
	global_store_short v[1:2], v9, off
	s_or_b32 exec_lo, exec_lo, s0
	s_mov_b32 s0, exec_lo
	v_cmpx_gt_i32_e64 s7, v0
	s_cbranch_execnz .LBB16_51
.LBB16_39:
	s_or_b32 exec_lo, exec_lo, s0
	s_mov_b32 s0, exec_lo
	v_cmpx_gt_i32_e64 s7, v0
	s_cbranch_execz .LBB16_41
.LBB16_40:
	v_add_nc_u32_e32 v0, s12, v0
	v_mov_b32_e32 v1, 0
	v_lshlrev_b64 v[0:1], 1, v[0:1]
	v_add_co_u32 v0, vcc_lo, s8, v0
	v_add_co_ci_u32_e64 v1, null, s9, v1, vcc_lo
	global_store_short v[0:1], v7, off
.LBB16_41:
	s_endpgm
.LBB16_42:
	s_or_b32 exec_lo, exec_lo, s1
	s_mov_b32 s1, exec_lo
	v_cmpx_gt_i32_e64 s7, v8
	s_cbranch_execz .LBB16_17
.LBB16_43:
	v_add_nc_u32_e32 v12, s12, v8
	v_mov_b32_e32 v13, 0
	v_lshlrev_b64 v[12:13], 1, v[12:13]
	v_add_co_u32 v12, s0, s10, v12
	v_add_co_ci_u32_e64 v13, null, s11, v13, s0
	global_load_ushort v2, v[12:13], off
	s_waitcnt vmcnt(0)
	v_cvt_f32_f16_e32 v2, v2
	s_or_b32 exec_lo, exec_lo, s1
                                        ; implicit-def: $vgpr8
	s_and_saveexec_b32 s1, vcc_lo
	s_cbranch_execz .LBB16_19
	s_branch .LBB16_18
.LBB16_44:
	s_or_b32 exec_lo, exec_lo, s1
	s_and_saveexec_b32 s0, vcc_lo
	s_xor_b32 s0, exec_lo, s0
	s_cbranch_execz .LBB16_33
.LBB16_45:
	v_mov_b32_e32 v2, 0
	v_lshlrev_b64 v[0:1], 1, v[1:2]
	v_add_co_u32 v12, vcc_lo, s8, v0
	v_add_co_ci_u32_e64 v13, null, s9, v1, vcc_lo
	v_mov_b32_e32 v0, v3
	global_store_short v[12:13], v8, off
	s_or_b32 exec_lo, exec_lo, s0
	s_mov_b32 s0, exec_lo
	v_cmpx_gt_i32_e64 s7, v0
	s_cbranch_execnz .LBB16_34
.LBB16_46:
	s_or_b32 exec_lo, exec_lo, s0
	s_mov_b32 s0, exec_lo
	v_cmpx_gt_i32_e64 s7, v0
	s_cbranch_execz .LBB16_35
.LBB16_47:
	v_add_nc_u32_e32 v1, s12, v0
	v_mov_b32_e32 v2, 0
	v_add_nc_u32_e32 v0, 0x100, v0
	v_lshlrev_b64 v[1:2], 1, v[1:2]
	v_add_co_u32 v1, vcc_lo, s8, v1
	v_add_co_ci_u32_e64 v2, null, s9, v2, vcc_lo
	global_store_short v[1:2], v6, off
	s_or_b32 exec_lo, exec_lo, s0
	s_mov_b32 s0, exec_lo
	v_cmpx_gt_i32_e64 s7, v0
	s_cbranch_execnz .LBB16_36
.LBB16_48:
	s_or_b32 exec_lo, exec_lo, s0
	s_mov_b32 s0, exec_lo
	v_cmpx_gt_i32_e64 s7, v0
	s_cbranch_execz .LBB16_37
.LBB16_49:
	v_add_nc_u32_e32 v1, s12, v0
	v_mov_b32_e32 v2, 0
	v_add_nc_u32_e32 v0, 0x100, v0
	v_lshlrev_b64 v[1:2], 1, v[1:2]
	v_add_co_u32 v1, vcc_lo, s8, v1
	v_add_co_ci_u32_e64 v2, null, s9, v2, vcc_lo
	global_store_short v[1:2], v5, off
	s_or_b32 exec_lo, exec_lo, s0
	s_mov_b32 s0, exec_lo
	v_cmpx_gt_i32_e64 s7, v0
	s_cbranch_execnz .LBB16_38
.LBB16_50:
	s_or_b32 exec_lo, exec_lo, s0
	s_mov_b32 s0, exec_lo
	v_cmpx_gt_i32_e64 s7, v0
	s_cbranch_execz .LBB16_39
.LBB16_51:
	v_add_nc_u32_e32 v1, s12, v0
	v_mov_b32_e32 v2, 0
	v_add_nc_u32_e32 v0, 0x100, v0
	v_lshlrev_b64 v[1:2], 1, v[1:2]
	v_add_co_u32 v1, vcc_lo, s8, v1
	v_add_co_ci_u32_e64 v2, null, s9, v2, vcc_lo
	global_store_short v[1:2], v4, off
	s_or_b32 exec_lo, exec_lo, s0
	s_mov_b32 s0, exec_lo
	v_cmpx_gt_i32_e64 s7, v0
	s_cbranch_execnz .LBB16_40
	s_branch .LBB16_41
	.section	.rodata,"a",@progbits
	.p2align	6, 0x0
	.amdhsa_kernel _ZN2at6native29vectorized_elementwise_kernelILi16EZZZNS0_16atan_kernel_cudaERNS_18TensorIteratorBaseEENKUlvE0_clEvENKUlvE1_clEvEUlN3c104HalfEE_St5arrayIPcLm2EEEEviT0_T1_
		.amdhsa_group_segment_fixed_size 0
		.amdhsa_private_segment_fixed_size 0
		.amdhsa_kernarg_size 24
		.amdhsa_user_sgpr_count 6
		.amdhsa_user_sgpr_private_segment_buffer 1
		.amdhsa_user_sgpr_dispatch_ptr 0
		.amdhsa_user_sgpr_queue_ptr 0
		.amdhsa_user_sgpr_kernarg_segment_ptr 1
		.amdhsa_user_sgpr_dispatch_id 0
		.amdhsa_user_sgpr_flat_scratch_init 0
		.amdhsa_user_sgpr_private_segment_size 0
		.amdhsa_wavefront_size32 1
		.amdhsa_uses_dynamic_stack 0
		.amdhsa_system_sgpr_private_segment_wavefront_offset 0
		.amdhsa_system_sgpr_workgroup_id_x 1
		.amdhsa_system_sgpr_workgroup_id_y 0
		.amdhsa_system_sgpr_workgroup_id_z 0
		.amdhsa_system_sgpr_workgroup_info 0
		.amdhsa_system_vgpr_workitem_id 0
		.amdhsa_next_free_vgpr 34
		.amdhsa_next_free_sgpr 16
		.amdhsa_reserve_vcc 1
		.amdhsa_reserve_flat_scratch 0
		.amdhsa_float_round_mode_32 0
		.amdhsa_float_round_mode_16_64 0
		.amdhsa_float_denorm_mode_32 3
		.amdhsa_float_denorm_mode_16_64 3
		.amdhsa_dx10_clamp 1
		.amdhsa_ieee_mode 1
		.amdhsa_fp16_overflow 0
		.amdhsa_workgroup_processor_mode 1
		.amdhsa_memory_ordered 1
		.amdhsa_forward_progress 1
		.amdhsa_shared_vgpr_count 0
		.amdhsa_exception_fp_ieee_invalid_op 0
		.amdhsa_exception_fp_denorm_src 0
		.amdhsa_exception_fp_ieee_div_zero 0
		.amdhsa_exception_fp_ieee_overflow 0
		.amdhsa_exception_fp_ieee_underflow 0
		.amdhsa_exception_fp_ieee_inexact 0
		.amdhsa_exception_int_div_zero 0
	.end_amdhsa_kernel
	.section	.text._ZN2at6native29vectorized_elementwise_kernelILi16EZZZNS0_16atan_kernel_cudaERNS_18TensorIteratorBaseEENKUlvE0_clEvENKUlvE1_clEvEUlN3c104HalfEE_St5arrayIPcLm2EEEEviT0_T1_,"axG",@progbits,_ZN2at6native29vectorized_elementwise_kernelILi16EZZZNS0_16atan_kernel_cudaERNS_18TensorIteratorBaseEENKUlvE0_clEvENKUlvE1_clEvEUlN3c104HalfEE_St5arrayIPcLm2EEEEviT0_T1_,comdat
.Lfunc_end16:
	.size	_ZN2at6native29vectorized_elementwise_kernelILi16EZZZNS0_16atan_kernel_cudaERNS_18TensorIteratorBaseEENKUlvE0_clEvENKUlvE1_clEvEUlN3c104HalfEE_St5arrayIPcLm2EEEEviT0_T1_, .Lfunc_end16-_ZN2at6native29vectorized_elementwise_kernelILi16EZZZNS0_16atan_kernel_cudaERNS_18TensorIteratorBaseEENKUlvE0_clEvENKUlvE1_clEvEUlN3c104HalfEE_St5arrayIPcLm2EEEEviT0_T1_
                                        ; -- End function
	.set _ZN2at6native29vectorized_elementwise_kernelILi16EZZZNS0_16atan_kernel_cudaERNS_18TensorIteratorBaseEENKUlvE0_clEvENKUlvE1_clEvEUlN3c104HalfEE_St5arrayIPcLm2EEEEviT0_T1_.num_vgpr, 34
	.set _ZN2at6native29vectorized_elementwise_kernelILi16EZZZNS0_16atan_kernel_cudaERNS_18TensorIteratorBaseEENKUlvE0_clEvENKUlvE1_clEvEUlN3c104HalfEE_St5arrayIPcLm2EEEEviT0_T1_.num_agpr, 0
	.set _ZN2at6native29vectorized_elementwise_kernelILi16EZZZNS0_16atan_kernel_cudaERNS_18TensorIteratorBaseEENKUlvE0_clEvENKUlvE1_clEvEUlN3c104HalfEE_St5arrayIPcLm2EEEEviT0_T1_.numbered_sgpr, 16
	.set _ZN2at6native29vectorized_elementwise_kernelILi16EZZZNS0_16atan_kernel_cudaERNS_18TensorIteratorBaseEENKUlvE0_clEvENKUlvE1_clEvEUlN3c104HalfEE_St5arrayIPcLm2EEEEviT0_T1_.num_named_barrier, 0
	.set _ZN2at6native29vectorized_elementwise_kernelILi16EZZZNS0_16atan_kernel_cudaERNS_18TensorIteratorBaseEENKUlvE0_clEvENKUlvE1_clEvEUlN3c104HalfEE_St5arrayIPcLm2EEEEviT0_T1_.private_seg_size, 0
	.set _ZN2at6native29vectorized_elementwise_kernelILi16EZZZNS0_16atan_kernel_cudaERNS_18TensorIteratorBaseEENKUlvE0_clEvENKUlvE1_clEvEUlN3c104HalfEE_St5arrayIPcLm2EEEEviT0_T1_.uses_vcc, 1
	.set _ZN2at6native29vectorized_elementwise_kernelILi16EZZZNS0_16atan_kernel_cudaERNS_18TensorIteratorBaseEENKUlvE0_clEvENKUlvE1_clEvEUlN3c104HalfEE_St5arrayIPcLm2EEEEviT0_T1_.uses_flat_scratch, 0
	.set _ZN2at6native29vectorized_elementwise_kernelILi16EZZZNS0_16atan_kernel_cudaERNS_18TensorIteratorBaseEENKUlvE0_clEvENKUlvE1_clEvEUlN3c104HalfEE_St5arrayIPcLm2EEEEviT0_T1_.has_dyn_sized_stack, 0
	.set _ZN2at6native29vectorized_elementwise_kernelILi16EZZZNS0_16atan_kernel_cudaERNS_18TensorIteratorBaseEENKUlvE0_clEvENKUlvE1_clEvEUlN3c104HalfEE_St5arrayIPcLm2EEEEviT0_T1_.has_recursion, 0
	.set _ZN2at6native29vectorized_elementwise_kernelILi16EZZZNS0_16atan_kernel_cudaERNS_18TensorIteratorBaseEENKUlvE0_clEvENKUlvE1_clEvEUlN3c104HalfEE_St5arrayIPcLm2EEEEviT0_T1_.has_indirect_call, 0
	.section	.AMDGPU.csdata,"",@progbits
; Kernel info:
; codeLenInByte = 3828
; TotalNumSgprs: 18
; NumVgprs: 34
; ScratchSize: 0
; MemoryBound: 0
; FloatMode: 240
; IeeeMode: 1
; LDSByteSize: 0 bytes/workgroup (compile time only)
; SGPRBlocks: 0
; VGPRBlocks: 4
; NumSGPRsForWavesPerEU: 18
; NumVGPRsForWavesPerEU: 34
; Occupancy: 16
; WaveLimiterHint : 0
; COMPUTE_PGM_RSRC2:SCRATCH_EN: 0
; COMPUTE_PGM_RSRC2:USER_SGPR: 6
; COMPUTE_PGM_RSRC2:TRAP_HANDLER: 0
; COMPUTE_PGM_RSRC2:TGID_X_EN: 1
; COMPUTE_PGM_RSRC2:TGID_Y_EN: 0
; COMPUTE_PGM_RSRC2:TGID_Z_EN: 0
; COMPUTE_PGM_RSRC2:TIDIG_COMP_CNT: 0
	.section	.text._ZN2at6native29vectorized_elementwise_kernelILi8EZZZNS0_16atan_kernel_cudaERNS_18TensorIteratorBaseEENKUlvE0_clEvENKUlvE1_clEvEUlN3c104HalfEE_St5arrayIPcLm2EEEEviT0_T1_,"axG",@progbits,_ZN2at6native29vectorized_elementwise_kernelILi8EZZZNS0_16atan_kernel_cudaERNS_18TensorIteratorBaseEENKUlvE0_clEvENKUlvE1_clEvEUlN3c104HalfEE_St5arrayIPcLm2EEEEviT0_T1_,comdat
	.globl	_ZN2at6native29vectorized_elementwise_kernelILi8EZZZNS0_16atan_kernel_cudaERNS_18TensorIteratorBaseEENKUlvE0_clEvENKUlvE1_clEvEUlN3c104HalfEE_St5arrayIPcLm2EEEEviT0_T1_ ; -- Begin function _ZN2at6native29vectorized_elementwise_kernelILi8EZZZNS0_16atan_kernel_cudaERNS_18TensorIteratorBaseEENKUlvE0_clEvENKUlvE1_clEvEUlN3c104HalfEE_St5arrayIPcLm2EEEEviT0_T1_
	.p2align	8
	.type	_ZN2at6native29vectorized_elementwise_kernelILi8EZZZNS0_16atan_kernel_cudaERNS_18TensorIteratorBaseEENKUlvE0_clEvENKUlvE1_clEvEUlN3c104HalfEE_St5arrayIPcLm2EEEEviT0_T1_,@function
_ZN2at6native29vectorized_elementwise_kernelILi8EZZZNS0_16atan_kernel_cudaERNS_18TensorIteratorBaseEENKUlvE0_clEvENKUlvE1_clEvEUlN3c104HalfEE_St5arrayIPcLm2EEEEviT0_T1_: ; @_ZN2at6native29vectorized_elementwise_kernelILi8EZZZNS0_16atan_kernel_cudaERNS_18TensorIteratorBaseEENKUlvE0_clEvENKUlvE1_clEvEUlN3c104HalfEE_St5arrayIPcLm2EEEEviT0_T1_
; %bb.0:
	s_clause 0x1
	s_load_dword s0, s[4:5], 0x0
	s_load_dwordx4 s[8:11], s[4:5], 0x8
	s_lshl_b32 s12, s6, 11
	s_waitcnt lgkmcnt(0)
	s_sub_i32 s7, s0, s12
	s_mov_b32 s0, -1
	s_cmpk_gt_i32 s7, 0x7ff
	s_cbranch_scc0 .LBB17_2
; %bb.1:
	s_ashr_i32 s13, s12, 31
	v_lshlrev_b32_e32 v5, 4, v0
	s_lshl_b64 s[14:15], s[12:13], 1
	s_mov_b32 s13, 0x3b2d2a58
	s_add_u32 s0, s10, s14
	s_addc_u32 s1, s11, s15
	global_load_dwordx4 v[1:4], v5, s[0:1]
	s_waitcnt vmcnt(0)
	v_lshrrev_b32_e32 v6, 16, v1
	v_lshrrev_b32_e32 v7, 16, v2
	;; [unrolled: 1-line block ×3, first 2 shown]
	v_cvt_f32_f16_e32 v9, v1
	v_lshrrev_b32_e32 v10, 16, v4
	v_cvt_f32_f16_e32 v11, v2
	v_cvt_f32_f16_e32 v12, v3
	;; [unrolled: 1-line block ×3, first 2 shown]
	v_rcp_f32_e64 v14, |v9|
	v_cvt_f32_f16_e32 v15, v6
	v_rcp_f32_e64 v16, |v11|
	v_cvt_f32_f16_e32 v17, v7
	;; [unrolled: 2-line block ×3, first 2 shown]
	v_cvt_f32_f16_e32 v20, v10
	v_rcp_f32_e64 v21, |v13|
	v_rcp_f32_e64 v22, |v15|
	v_rcp_f32_e64 v23, |v17|
	v_rcp_f32_e64 v24, |v19|
	v_rcp_f32_e64 v25, |v20|
	v_cmp_gt_f32_e64 vcc_lo, |v9|, 1.0
	v_cmp_gt_f32_e64 s0, |v11|, 1.0
	v_cmp_gt_f32_e64 s1, |v12|, 1.0
	;; [unrolled: 1-line block ×4, first 2 shown]
	v_cndmask_b32_e64 v9, |v9|, v14, vcc_lo
	v_cndmask_b32_e64 v11, |v11|, v16, s0
	v_cndmask_b32_e64 v12, |v12|, v18, s1
	;; [unrolled: 1-line block ×3, first 2 shown]
	v_cmp_gt_f32_e64 s4, |v17|, 1.0
	v_cmp_gt_f32_e64 s5, |v19|, 1.0
	;; [unrolled: 1-line block ×3, first 2 shown]
	v_mul_f32_e32 v14, v9, v9
	v_cndmask_b32_e64 v15, |v15|, v22, s3
	v_mul_f32_e32 v16, v11, v11
	v_cndmask_b32_e64 v17, |v17|, v23, s4
	;; [unrolled: 2-line block ×4, first 2 shown]
	v_fmaak_f32 v22, s13, v14, 0xbc7a590c
	v_mul_f32_e32 v23, v15, v15
	v_fmaak_f32 v24, s13, v16, 0xbc7a590c
	v_mul_f32_e32 v25, v17, v17
	;; [unrolled: 2-line block ×4, first 2 shown]
	v_fmaak_f32 v22, v14, v22, 0x3d29fb3f
	v_fmaak_f32 v30, s13, v23, 0xbc7a590c
	;; [unrolled: 1-line block ×48, first 2 shown]
	v_mul_f32_e32 v14, v14, v22
	v_fmaak_f32 v22, v23, v30, 0xbeaaaa62
	v_mul_f32_e32 v16, v16, v24
	v_fmaak_f32 v24, v25, v31, 0xbeaaaa62
	;; [unrolled: 2-line block ×4, first 2 shown]
	v_fmac_f32_e32 v9, v9, v14
	v_mul_f32_e32 v14, v23, v22
	v_fmac_f32_e32 v11, v11, v16
	v_mul_f32_e32 v16, v25, v24
	;; [unrolled: 2-line block ×4, first 2 shown]
	v_sub_f32_e32 v22, 0x3fc90fdb, v9
	v_fmac_f32_e32 v15, v15, v14
	v_sub_f32_e32 v14, 0x3fc90fdb, v11
	v_fmac_f32_e32 v17, v17, v16
	;; [unrolled: 2-line block ×4, first 2 shown]
	v_cndmask_b32_e32 v9, v9, v22, vcc_lo
	v_sub_f32_e32 v21, 0x3fc90fdb, v15
	v_cndmask_b32_e64 v11, v11, v14, s0
	v_sub_f32_e32 v14, 0x3fc90fdb, v17
	v_cndmask_b32_e64 v12, v12, v16, s1
	;; [unrolled: 2-line block ×3, first 2 shown]
	v_sub_f32_e32 v18, 0x3fc90fdb, v20
	v_cvt_f16_f32_e32 v9, v9
	v_cndmask_b32_e64 v15, v15, v21, s3
	v_cvt_f16_f32_e32 v11, v11
	v_cndmask_b32_e64 v14, v17, v14, s4
	v_cndmask_b32_e64 v16, v19, v16, s5
	;; [unrolled: 1-line block ×3, first 2 shown]
	v_cvt_f16_f32_e32 v12, v12
	v_cvt_f16_f32_e32 v13, v13
	v_bfi_b32 v1, 0x7fff, v9, v1
	v_cvt_f16_f32_e32 v9, v15
	v_bfi_b32 v2, 0x7fff, v11, v2
	v_cvt_f16_f32_e32 v11, v17
	v_cvt_f16_f32_e32 v15, v16
	;; [unrolled: 1-line block ×3, first 2 shown]
	v_bfi_b32 v3, 0x7fff, v12, v3
	v_bfi_b32 v4, 0x7fff, v13, v4
	;; [unrolled: 1-line block ×6, first 2 shown]
	s_add_u32 s2, s8, s14
	v_pack_b32_f16 v4, v4, v10
	v_pack_b32_f16 v3, v3, v8
	;; [unrolled: 1-line block ×4, first 2 shown]
	s_addc_u32 s3, s9, s15
	s_mov_b32 s0, 0
	global_store_dwordx4 v5, v[1:4], s[2:3]
.LBB17_2:
	s_andn2_b32 vcc_lo, exec_lo, s0
	s_cbranch_vccnz .LBB17_41
; %bb.3:
	v_cmp_gt_i32_e32 vcc_lo, s7, v0
	v_mov_b32_e32 v6, 0
	v_or_b32_e32 v1, s12, v0
	v_or_b32_e32 v3, 0x100, v0
	v_mov_b32_e32 v10, 0
	v_mov_b32_e32 v8, v0
	s_and_saveexec_b32 s1, vcc_lo
	s_cbranch_execz .LBB17_5
; %bb.4:
	v_mov_b32_e32 v2, 0
	v_or_b32_e32 v8, 0x100, v0
	v_lshlrev_b64 v[4:5], 1, v[1:2]
	v_add_co_u32 v4, s0, s10, v4
	v_add_co_ci_u32_e64 v5, null, s11, v5, s0
	global_load_ushort v2, v[4:5], off
	s_waitcnt vmcnt(0)
	v_cvt_f32_f16_e32 v10, v2
.LBB17_5:
	s_or_b32 exec_lo, exec_lo, s1
	s_mov_b32 s1, exec_lo
	v_cmpx_gt_i32_e64 s7, v8
	s_cbranch_execz .LBB17_7
; %bb.6:
	v_add_nc_u32_e32 v4, s12, v8
	v_mov_b32_e32 v5, 0
	v_add_nc_u32_e32 v8, 0x100, v8
	v_lshlrev_b64 v[4:5], 1, v[4:5]
	v_add_co_u32 v4, s0, s10, v4
	v_add_co_ci_u32_e64 v5, null, s11, v5, s0
	global_load_ushort v2, v[4:5], off
	s_waitcnt vmcnt(0)
	v_cvt_f32_f16_e32 v6, v2
.LBB17_7:
	s_or_b32 exec_lo, exec_lo, s1
	v_mov_b32_e32 v5, 0
	v_mov_b32_e32 v11, 0
	s_mov_b32 s1, exec_lo
	v_cmpx_gt_i32_e64 s7, v8
	s_cbranch_execz .LBB17_9
; %bb.8:
	v_add_nc_u32_e32 v11, s12, v8
	v_mov_b32_e32 v12, 0
	v_add_nc_u32_e32 v8, 0x100, v8
	v_lshlrev_b64 v[11:12], 1, v[11:12]
	v_add_co_u32 v11, s0, s10, v11
	v_add_co_ci_u32_e64 v12, null, s11, v12, s0
	global_load_ushort v2, v[11:12], off
	s_waitcnt vmcnt(0)
	v_cvt_f32_f16_e32 v11, v2
.LBB17_9:
	s_or_b32 exec_lo, exec_lo, s1
	s_mov_b32 s1, exec_lo
	v_cmpx_gt_i32_e64 s7, v8
	s_cbranch_execz .LBB17_11
; %bb.10:
	v_add_nc_u32_e32 v4, s12, v8
	v_mov_b32_e32 v5, 0
	v_add_nc_u32_e32 v8, 0x100, v8
	v_lshlrev_b64 v[4:5], 1, v[4:5]
	v_add_co_u32 v4, s0, s10, v4
	v_add_co_ci_u32_e64 v5, null, s11, v5, s0
	global_load_ushort v2, v[4:5], off
	s_waitcnt vmcnt(0)
	v_cvt_f32_f16_e32 v5, v2
.LBB17_11:
	s_or_b32 exec_lo, exec_lo, s1
	v_mov_b32_e32 v4, 0
	v_mov_b32_e32 v9, 0
	s_mov_b32 s1, exec_lo
	v_cmpx_gt_i32_e64 s7, v8
	s_cbranch_execz .LBB17_13
; %bb.12:
	v_add_nc_u32_e32 v12, s12, v8
	v_mov_b32_e32 v13, 0
	v_add_nc_u32_e32 v8, 0x100, v8
	v_lshlrev_b64 v[12:13], 1, v[12:13]
	v_add_co_u32 v12, s0, s10, v12
	v_add_co_ci_u32_e64 v13, null, s11, v13, s0
	global_load_ushort v2, v[12:13], off
	s_waitcnt vmcnt(0)
	v_cvt_f32_f16_e32 v9, v2
.LBB17_13:
	s_or_b32 exec_lo, exec_lo, s1
	s_mov_b32 s1, exec_lo
	v_cmpx_gt_i32_e64 s7, v8
	s_cbranch_execz .LBB17_15
; %bb.14:
	v_add_nc_u32_e32 v12, s12, v8
	v_mov_b32_e32 v13, 0
	v_add_nc_u32_e32 v8, 0x100, v8
	v_lshlrev_b64 v[12:13], 1, v[12:13]
	v_add_co_u32 v12, s0, s10, v12
	v_add_co_ci_u32_e64 v13, null, s11, v13, s0
	global_load_ushort v2, v[12:13], off
	s_waitcnt vmcnt(0)
	v_cvt_f32_f16_e32 v4, v2
.LBB17_15:
	s_or_b32 exec_lo, exec_lo, s1
	v_mov_b32_e32 v2, 0
	v_mov_b32_e32 v7, 0
	s_mov_b32 s1, exec_lo
	v_cmpx_gt_i32_e64 s7, v8
	s_cbranch_execz .LBB17_42
; %bb.16:
	v_add_nc_u32_e32 v12, s12, v8
	v_mov_b32_e32 v13, 0
	v_add_nc_u32_e32 v8, 0x100, v8
	v_lshlrev_b64 v[12:13], 1, v[12:13]
	v_add_co_u32 v12, s0, s10, v12
	v_add_co_ci_u32_e64 v13, null, s11, v13, s0
	global_load_ushort v7, v[12:13], off
	s_waitcnt vmcnt(0)
	v_cvt_f32_f16_e32 v7, v7
	s_or_b32 exec_lo, exec_lo, s1
	s_mov_b32 s1, exec_lo
	v_cmpx_gt_i32_e64 s7, v8
	s_cbranch_execnz .LBB17_43
.LBB17_17:
	s_or_b32 exec_lo, exec_lo, s1
                                        ; implicit-def: $vgpr8
	s_and_saveexec_b32 s1, vcc_lo
	s_cbranch_execz .LBB17_19
.LBB17_18:
	v_rcp_f32_e64 v8, |v10|
	v_cmp_gt_f32_e64 s0, |v10|, 1.0
	s_mov_b32 s2, 0x3b2d2a58
	v_cndmask_b32_e64 v8, |v10|, v8, s0
	v_lshrrev_b32_e32 v10, 16, v10
	v_mul_f32_e32 v12, v8, v8
	v_fmaak_f32 v13, s2, v12, 0xbc7a590c
	v_fmaak_f32 v13, v12, v13, 0x3d29fb3f
	;; [unrolled: 1-line block ×7, first 2 shown]
	v_mul_f32_e32 v12, v12, v13
	v_fmac_f32_e32 v8, v8, v12
	v_sub_f32_e32 v12, 0x3fc90fdb, v8
	v_cndmask_b32_e64 v8, v8, v12, s0
	v_cvt_f16_f32_e32 v8, v8
	v_bfi_b32 v8, 0x7fff, v8, v10
.LBB17_19:
	s_or_b32 exec_lo, exec_lo, s1
	s_mov_b32 s1, exec_lo
                                        ; implicit-def: $vgpr10
	v_cmpx_gt_i32_e64 s7, v3
	s_cbranch_execz .LBB17_21
; %bb.20:
	v_rcp_f32_e64 v10, |v6|
	v_cmp_gt_f32_e64 s0, |v6|, 1.0
	s_mov_b32 s2, 0x3b2d2a58
	v_cndmask_b32_e64 v10, |v6|, v10, s0
	v_lshrrev_b32_e32 v6, 16, v6
	v_mul_f32_e32 v12, v10, v10
	v_fmaak_f32 v13, s2, v12, 0xbc7a590c
	v_fmaak_f32 v13, v12, v13, 0x3d29fb3f
	;; [unrolled: 1-line block ×7, first 2 shown]
	v_mul_f32_e32 v12, v12, v13
	v_fmac_f32_e32 v10, v10, v12
	v_sub_f32_e32 v12, 0x3fc90fdb, v10
	v_cndmask_b32_e64 v10, v10, v12, s0
	v_cvt_f16_f32_e32 v10, v10
	v_bfi_b32 v10, 0x7fff, v10, v6
.LBB17_21:
	s_or_b32 exec_lo, exec_lo, s1
	v_or_b32_e32 v6, 0x200, v0
	v_cmp_gt_i32_e64 s0, s7, v6
                                        ; implicit-def: $vgpr6
	s_and_saveexec_b32 s1, s0
	s_cbranch_execz .LBB17_23
; %bb.22:
	v_rcp_f32_e64 v6, |v11|
	v_cmp_gt_f32_e64 s0, |v11|, 1.0
	s_mov_b32 s2, 0x3b2d2a58
	v_cndmask_b32_e64 v6, |v11|, v6, s0
	v_lshrrev_b32_e32 v11, 16, v11
	v_mul_f32_e32 v12, v6, v6
	v_fmaak_f32 v13, s2, v12, 0xbc7a590c
	v_fmaak_f32 v13, v12, v13, 0x3d29fb3f
	;; [unrolled: 1-line block ×7, first 2 shown]
	v_mul_f32_e32 v12, v12, v13
	v_fmac_f32_e32 v6, v6, v12
	v_sub_f32_e32 v12, 0x3fc90fdb, v6
	v_cndmask_b32_e64 v6, v6, v12, s0
	v_cvt_f16_f32_e32 v6, v6
	v_bfi_b32 v6, 0x7fff, v6, v11
.LBB17_23:
	s_or_b32 exec_lo, exec_lo, s1
	v_or_b32_e32 v11, 0x300, v0
	v_cmp_gt_i32_e64 s0, s7, v11
                                        ; implicit-def: $vgpr11
	s_and_saveexec_b32 s1, s0
	s_cbranch_execz .LBB17_25
; %bb.24:
	v_rcp_f32_e64 v11, |v5|
	v_cmp_gt_f32_e64 s0, |v5|, 1.0
	s_mov_b32 s2, 0x3b2d2a58
	v_cndmask_b32_e64 v11, |v5|, v11, s0
	v_lshrrev_b32_e32 v5, 16, v5
	v_mul_f32_e32 v12, v11, v11
	v_fmaak_f32 v13, s2, v12, 0xbc7a590c
	v_fmaak_f32 v13, v12, v13, 0x3d29fb3f
	;; [unrolled: 1-line block ×7, first 2 shown]
	v_mul_f32_e32 v12, v12, v13
	v_fmac_f32_e32 v11, v11, v12
	v_sub_f32_e32 v12, 0x3fc90fdb, v11
	v_cndmask_b32_e64 v11, v11, v12, s0
	v_cvt_f16_f32_e32 v11, v11
	v_bfi_b32 v11, 0x7fff, v11, v5
.LBB17_25:
	s_or_b32 exec_lo, exec_lo, s1
	v_or_b32_e32 v5, 0x400, v0
	v_cmp_gt_i32_e64 s0, s7, v5
                                        ; implicit-def: $vgpr5
	s_and_saveexec_b32 s1, s0
	s_cbranch_execz .LBB17_27
; %bb.26:
	v_rcp_f32_e64 v5, |v9|
	v_cmp_gt_f32_e64 s0, |v9|, 1.0
	s_mov_b32 s2, 0x3b2d2a58
	v_cndmask_b32_e64 v5, |v9|, v5, s0
	v_lshrrev_b32_e32 v9, 16, v9
	v_mul_f32_e32 v12, v5, v5
	v_fmaak_f32 v13, s2, v12, 0xbc7a590c
	v_fmaak_f32 v13, v12, v13, 0x3d29fb3f
	;; [unrolled: 1-line block ×7, first 2 shown]
	v_mul_f32_e32 v12, v12, v13
	v_fmac_f32_e32 v5, v5, v12
	v_sub_f32_e32 v12, 0x3fc90fdb, v5
	v_cndmask_b32_e64 v5, v5, v12, s0
	v_cvt_f16_f32_e32 v5, v5
	v_bfi_b32 v5, 0x7fff, v5, v9
.LBB17_27:
	s_or_b32 exec_lo, exec_lo, s1
	v_or_b32_e32 v9, 0x500, v0
	v_cmp_gt_i32_e64 s0, s7, v9
                                        ; implicit-def: $vgpr9
	s_and_saveexec_b32 s1, s0
	s_cbranch_execz .LBB17_29
; %bb.28:
	v_rcp_f32_e64 v9, |v4|
	v_cmp_gt_f32_e64 s0, |v4|, 1.0
	s_mov_b32 s2, 0x3b2d2a58
	v_cndmask_b32_e64 v9, |v4|, v9, s0
	v_lshrrev_b32_e32 v4, 16, v4
	v_mul_f32_e32 v12, v9, v9
	v_fmaak_f32 v13, s2, v12, 0xbc7a590c
	v_fmaak_f32 v13, v12, v13, 0x3d29fb3f
	;; [unrolled: 1-line block ×7, first 2 shown]
	v_mul_f32_e32 v12, v12, v13
	v_fmac_f32_e32 v9, v9, v12
	v_sub_f32_e32 v12, 0x3fc90fdb, v9
	v_cndmask_b32_e64 v9, v9, v12, s0
	v_cvt_f16_f32_e32 v9, v9
	v_bfi_b32 v9, 0x7fff, v9, v4
.LBB17_29:
	s_or_b32 exec_lo, exec_lo, s1
	v_or_b32_e32 v4, 0x600, v0
	v_cmp_gt_i32_e64 s0, s7, v4
                                        ; implicit-def: $vgpr4
	s_and_saveexec_b32 s1, s0
	s_cbranch_execz .LBB17_31
; %bb.30:
	v_rcp_f32_e64 v4, |v7|
	v_cmp_gt_f32_e64 s0, |v7|, 1.0
	s_mov_b32 s2, 0x3b2d2a58
	v_cndmask_b32_e64 v4, |v7|, v4, s0
	v_lshrrev_b32_e32 v7, 16, v7
	v_mul_f32_e32 v12, v4, v4
	v_fmaak_f32 v13, s2, v12, 0xbc7a590c
	v_fmaak_f32 v13, v12, v13, 0x3d29fb3f
	;; [unrolled: 1-line block ×7, first 2 shown]
	v_mul_f32_e32 v12, v12, v13
	v_fmac_f32_e32 v4, v4, v12
	v_sub_f32_e32 v12, 0x3fc90fdb, v4
	v_cndmask_b32_e64 v4, v4, v12, s0
	v_cvt_f16_f32_e32 v4, v4
	v_bfi_b32 v4, 0x7fff, v4, v7
.LBB17_31:
	s_or_b32 exec_lo, exec_lo, s1
	v_or_b32_e32 v7, 0x700, v0
	v_cmp_gt_i32_e64 s0, s7, v7
                                        ; implicit-def: $vgpr7
	s_and_saveexec_b32 s1, s0
	s_cbranch_execz .LBB17_44
; %bb.32:
	v_rcp_f32_e64 v7, |v2|
	v_cmp_gt_f32_e64 s0, |v2|, 1.0
	s_mov_b32 s2, 0x3b2d2a58
	v_cndmask_b32_e64 v7, |v2|, v7, s0
	v_lshrrev_b32_e32 v2, 16, v2
	v_mul_f32_e32 v12, v7, v7
	v_fmaak_f32 v13, s2, v12, 0xbc7a590c
	v_fmaak_f32 v13, v12, v13, 0x3d29fb3f
	;; [unrolled: 1-line block ×7, first 2 shown]
	v_mul_f32_e32 v12, v12, v13
	v_fmac_f32_e32 v7, v7, v12
	v_sub_f32_e32 v12, 0x3fc90fdb, v7
	v_cndmask_b32_e64 v7, v7, v12, s0
	v_cvt_f16_f32_e32 v7, v7
	v_bfi_b32 v7, 0x7fff, v7, v2
	s_or_b32 exec_lo, exec_lo, s1
	s_and_saveexec_b32 s0, vcc_lo
	s_xor_b32 s0, exec_lo, s0
	s_cbranch_execnz .LBB17_45
.LBB17_33:
	s_or_b32 exec_lo, exec_lo, s0
	s_mov_b32 s0, exec_lo
	v_cmpx_gt_i32_e64 s7, v0
	s_cbranch_execz .LBB17_46
.LBB17_34:
	v_add_nc_u32_e32 v1, s12, v0
	v_mov_b32_e32 v2, 0
	v_add_nc_u32_e32 v0, 0x100, v0
	v_lshlrev_b64 v[1:2], 1, v[1:2]
	v_add_co_u32 v1, vcc_lo, s8, v1
	v_add_co_ci_u32_e64 v2, null, s9, v2, vcc_lo
	global_store_short v[1:2], v10, off
	s_or_b32 exec_lo, exec_lo, s0
	s_mov_b32 s0, exec_lo
	v_cmpx_gt_i32_e64 s7, v0
	s_cbranch_execnz .LBB17_47
.LBB17_35:
	s_or_b32 exec_lo, exec_lo, s0
	s_mov_b32 s0, exec_lo
	v_cmpx_gt_i32_e64 s7, v0
	s_cbranch_execz .LBB17_48
.LBB17_36:
	v_add_nc_u32_e32 v1, s12, v0
	v_mov_b32_e32 v2, 0
	v_add_nc_u32_e32 v0, 0x100, v0
	v_lshlrev_b64 v[1:2], 1, v[1:2]
	v_add_co_u32 v1, vcc_lo, s8, v1
	v_add_co_ci_u32_e64 v2, null, s9, v2, vcc_lo
	global_store_short v[1:2], v11, off
	s_or_b32 exec_lo, exec_lo, s0
	s_mov_b32 s0, exec_lo
	v_cmpx_gt_i32_e64 s7, v0
	s_cbranch_execnz .LBB17_49
.LBB17_37:
	s_or_b32 exec_lo, exec_lo, s0
	s_mov_b32 s0, exec_lo
	v_cmpx_gt_i32_e64 s7, v0
	s_cbranch_execz .LBB17_50
.LBB17_38:
	v_add_nc_u32_e32 v1, s12, v0
	v_mov_b32_e32 v2, 0
	v_add_nc_u32_e32 v0, 0x100, v0
	v_lshlrev_b64 v[1:2], 1, v[1:2]
	v_add_co_u32 v1, vcc_lo, s8, v1
	v_add_co_ci_u32_e64 v2, null, s9, v2, vcc_lo
	global_store_short v[1:2], v9, off
	s_or_b32 exec_lo, exec_lo, s0
	s_mov_b32 s0, exec_lo
	v_cmpx_gt_i32_e64 s7, v0
	s_cbranch_execnz .LBB17_51
.LBB17_39:
	s_or_b32 exec_lo, exec_lo, s0
	s_mov_b32 s0, exec_lo
	v_cmpx_gt_i32_e64 s7, v0
	s_cbranch_execz .LBB17_41
.LBB17_40:
	v_add_nc_u32_e32 v0, s12, v0
	v_mov_b32_e32 v1, 0
	v_lshlrev_b64 v[0:1], 1, v[0:1]
	v_add_co_u32 v0, vcc_lo, s8, v0
	v_add_co_ci_u32_e64 v1, null, s9, v1, vcc_lo
	global_store_short v[0:1], v7, off
.LBB17_41:
	s_endpgm
.LBB17_42:
	s_or_b32 exec_lo, exec_lo, s1
	s_mov_b32 s1, exec_lo
	v_cmpx_gt_i32_e64 s7, v8
	s_cbranch_execz .LBB17_17
.LBB17_43:
	v_add_nc_u32_e32 v12, s12, v8
	v_mov_b32_e32 v13, 0
	v_lshlrev_b64 v[12:13], 1, v[12:13]
	v_add_co_u32 v12, s0, s10, v12
	v_add_co_ci_u32_e64 v13, null, s11, v13, s0
	global_load_ushort v2, v[12:13], off
	s_waitcnt vmcnt(0)
	v_cvt_f32_f16_e32 v2, v2
	s_or_b32 exec_lo, exec_lo, s1
                                        ; implicit-def: $vgpr8
	s_and_saveexec_b32 s1, vcc_lo
	s_cbranch_execz .LBB17_19
	s_branch .LBB17_18
.LBB17_44:
	s_or_b32 exec_lo, exec_lo, s1
	s_and_saveexec_b32 s0, vcc_lo
	s_xor_b32 s0, exec_lo, s0
	s_cbranch_execz .LBB17_33
.LBB17_45:
	v_mov_b32_e32 v2, 0
	v_lshlrev_b64 v[0:1], 1, v[1:2]
	v_add_co_u32 v12, vcc_lo, s8, v0
	v_add_co_ci_u32_e64 v13, null, s9, v1, vcc_lo
	v_mov_b32_e32 v0, v3
	global_store_short v[12:13], v8, off
	s_or_b32 exec_lo, exec_lo, s0
	s_mov_b32 s0, exec_lo
	v_cmpx_gt_i32_e64 s7, v0
	s_cbranch_execnz .LBB17_34
.LBB17_46:
	s_or_b32 exec_lo, exec_lo, s0
	s_mov_b32 s0, exec_lo
	v_cmpx_gt_i32_e64 s7, v0
	s_cbranch_execz .LBB17_35
.LBB17_47:
	v_add_nc_u32_e32 v1, s12, v0
	v_mov_b32_e32 v2, 0
	v_add_nc_u32_e32 v0, 0x100, v0
	v_lshlrev_b64 v[1:2], 1, v[1:2]
	v_add_co_u32 v1, vcc_lo, s8, v1
	v_add_co_ci_u32_e64 v2, null, s9, v2, vcc_lo
	global_store_short v[1:2], v6, off
	s_or_b32 exec_lo, exec_lo, s0
	s_mov_b32 s0, exec_lo
	v_cmpx_gt_i32_e64 s7, v0
	s_cbranch_execnz .LBB17_36
.LBB17_48:
	s_or_b32 exec_lo, exec_lo, s0
	s_mov_b32 s0, exec_lo
	v_cmpx_gt_i32_e64 s7, v0
	s_cbranch_execz .LBB17_37
.LBB17_49:
	v_add_nc_u32_e32 v1, s12, v0
	v_mov_b32_e32 v2, 0
	v_add_nc_u32_e32 v0, 0x100, v0
	v_lshlrev_b64 v[1:2], 1, v[1:2]
	v_add_co_u32 v1, vcc_lo, s8, v1
	v_add_co_ci_u32_e64 v2, null, s9, v2, vcc_lo
	global_store_short v[1:2], v5, off
	s_or_b32 exec_lo, exec_lo, s0
	s_mov_b32 s0, exec_lo
	v_cmpx_gt_i32_e64 s7, v0
	s_cbranch_execnz .LBB17_38
.LBB17_50:
	s_or_b32 exec_lo, exec_lo, s0
	s_mov_b32 s0, exec_lo
	v_cmpx_gt_i32_e64 s7, v0
	s_cbranch_execz .LBB17_39
.LBB17_51:
	v_add_nc_u32_e32 v1, s12, v0
	v_mov_b32_e32 v2, 0
	v_add_nc_u32_e32 v0, 0x100, v0
	v_lshlrev_b64 v[1:2], 1, v[1:2]
	v_add_co_u32 v1, vcc_lo, s8, v1
	v_add_co_ci_u32_e64 v2, null, s9, v2, vcc_lo
	global_store_short v[1:2], v4, off
	s_or_b32 exec_lo, exec_lo, s0
	s_mov_b32 s0, exec_lo
	v_cmpx_gt_i32_e64 s7, v0
	s_cbranch_execnz .LBB17_40
	s_branch .LBB17_41
	.section	.rodata,"a",@progbits
	.p2align	6, 0x0
	.amdhsa_kernel _ZN2at6native29vectorized_elementwise_kernelILi8EZZZNS0_16atan_kernel_cudaERNS_18TensorIteratorBaseEENKUlvE0_clEvENKUlvE1_clEvEUlN3c104HalfEE_St5arrayIPcLm2EEEEviT0_T1_
		.amdhsa_group_segment_fixed_size 0
		.amdhsa_private_segment_fixed_size 0
		.amdhsa_kernarg_size 24
		.amdhsa_user_sgpr_count 6
		.amdhsa_user_sgpr_private_segment_buffer 1
		.amdhsa_user_sgpr_dispatch_ptr 0
		.amdhsa_user_sgpr_queue_ptr 0
		.amdhsa_user_sgpr_kernarg_segment_ptr 1
		.amdhsa_user_sgpr_dispatch_id 0
		.amdhsa_user_sgpr_flat_scratch_init 0
		.amdhsa_user_sgpr_private_segment_size 0
		.amdhsa_wavefront_size32 1
		.amdhsa_uses_dynamic_stack 0
		.amdhsa_system_sgpr_private_segment_wavefront_offset 0
		.amdhsa_system_sgpr_workgroup_id_x 1
		.amdhsa_system_sgpr_workgroup_id_y 0
		.amdhsa_system_sgpr_workgroup_id_z 0
		.amdhsa_system_sgpr_workgroup_info 0
		.amdhsa_system_vgpr_workitem_id 0
		.amdhsa_next_free_vgpr 34
		.amdhsa_next_free_sgpr 16
		.amdhsa_reserve_vcc 1
		.amdhsa_reserve_flat_scratch 0
		.amdhsa_float_round_mode_32 0
		.amdhsa_float_round_mode_16_64 0
		.amdhsa_float_denorm_mode_32 3
		.amdhsa_float_denorm_mode_16_64 3
		.amdhsa_dx10_clamp 1
		.amdhsa_ieee_mode 1
		.amdhsa_fp16_overflow 0
		.amdhsa_workgroup_processor_mode 1
		.amdhsa_memory_ordered 1
		.amdhsa_forward_progress 1
		.amdhsa_shared_vgpr_count 0
		.amdhsa_exception_fp_ieee_invalid_op 0
		.amdhsa_exception_fp_denorm_src 0
		.amdhsa_exception_fp_ieee_div_zero 0
		.amdhsa_exception_fp_ieee_overflow 0
		.amdhsa_exception_fp_ieee_underflow 0
		.amdhsa_exception_fp_ieee_inexact 0
		.amdhsa_exception_int_div_zero 0
	.end_amdhsa_kernel
	.section	.text._ZN2at6native29vectorized_elementwise_kernelILi8EZZZNS0_16atan_kernel_cudaERNS_18TensorIteratorBaseEENKUlvE0_clEvENKUlvE1_clEvEUlN3c104HalfEE_St5arrayIPcLm2EEEEviT0_T1_,"axG",@progbits,_ZN2at6native29vectorized_elementwise_kernelILi8EZZZNS0_16atan_kernel_cudaERNS_18TensorIteratorBaseEENKUlvE0_clEvENKUlvE1_clEvEUlN3c104HalfEE_St5arrayIPcLm2EEEEviT0_T1_,comdat
.Lfunc_end17:
	.size	_ZN2at6native29vectorized_elementwise_kernelILi8EZZZNS0_16atan_kernel_cudaERNS_18TensorIteratorBaseEENKUlvE0_clEvENKUlvE1_clEvEUlN3c104HalfEE_St5arrayIPcLm2EEEEviT0_T1_, .Lfunc_end17-_ZN2at6native29vectorized_elementwise_kernelILi8EZZZNS0_16atan_kernel_cudaERNS_18TensorIteratorBaseEENKUlvE0_clEvENKUlvE1_clEvEUlN3c104HalfEE_St5arrayIPcLm2EEEEviT0_T1_
                                        ; -- End function
	.set _ZN2at6native29vectorized_elementwise_kernelILi8EZZZNS0_16atan_kernel_cudaERNS_18TensorIteratorBaseEENKUlvE0_clEvENKUlvE1_clEvEUlN3c104HalfEE_St5arrayIPcLm2EEEEviT0_T1_.num_vgpr, 34
	.set _ZN2at6native29vectorized_elementwise_kernelILi8EZZZNS0_16atan_kernel_cudaERNS_18TensorIteratorBaseEENKUlvE0_clEvENKUlvE1_clEvEUlN3c104HalfEE_St5arrayIPcLm2EEEEviT0_T1_.num_agpr, 0
	.set _ZN2at6native29vectorized_elementwise_kernelILi8EZZZNS0_16atan_kernel_cudaERNS_18TensorIteratorBaseEENKUlvE0_clEvENKUlvE1_clEvEUlN3c104HalfEE_St5arrayIPcLm2EEEEviT0_T1_.numbered_sgpr, 16
	.set _ZN2at6native29vectorized_elementwise_kernelILi8EZZZNS0_16atan_kernel_cudaERNS_18TensorIteratorBaseEENKUlvE0_clEvENKUlvE1_clEvEUlN3c104HalfEE_St5arrayIPcLm2EEEEviT0_T1_.num_named_barrier, 0
	.set _ZN2at6native29vectorized_elementwise_kernelILi8EZZZNS0_16atan_kernel_cudaERNS_18TensorIteratorBaseEENKUlvE0_clEvENKUlvE1_clEvEUlN3c104HalfEE_St5arrayIPcLm2EEEEviT0_T1_.private_seg_size, 0
	.set _ZN2at6native29vectorized_elementwise_kernelILi8EZZZNS0_16atan_kernel_cudaERNS_18TensorIteratorBaseEENKUlvE0_clEvENKUlvE1_clEvEUlN3c104HalfEE_St5arrayIPcLm2EEEEviT0_T1_.uses_vcc, 1
	.set _ZN2at6native29vectorized_elementwise_kernelILi8EZZZNS0_16atan_kernel_cudaERNS_18TensorIteratorBaseEENKUlvE0_clEvENKUlvE1_clEvEUlN3c104HalfEE_St5arrayIPcLm2EEEEviT0_T1_.uses_flat_scratch, 0
	.set _ZN2at6native29vectorized_elementwise_kernelILi8EZZZNS0_16atan_kernel_cudaERNS_18TensorIteratorBaseEENKUlvE0_clEvENKUlvE1_clEvEUlN3c104HalfEE_St5arrayIPcLm2EEEEviT0_T1_.has_dyn_sized_stack, 0
	.set _ZN2at6native29vectorized_elementwise_kernelILi8EZZZNS0_16atan_kernel_cudaERNS_18TensorIteratorBaseEENKUlvE0_clEvENKUlvE1_clEvEUlN3c104HalfEE_St5arrayIPcLm2EEEEviT0_T1_.has_recursion, 0
	.set _ZN2at6native29vectorized_elementwise_kernelILi8EZZZNS0_16atan_kernel_cudaERNS_18TensorIteratorBaseEENKUlvE0_clEvENKUlvE1_clEvEUlN3c104HalfEE_St5arrayIPcLm2EEEEviT0_T1_.has_indirect_call, 0
	.section	.AMDGPU.csdata,"",@progbits
; Kernel info:
; codeLenInByte = 3828
; TotalNumSgprs: 18
; NumVgprs: 34
; ScratchSize: 0
; MemoryBound: 0
; FloatMode: 240
; IeeeMode: 1
; LDSByteSize: 0 bytes/workgroup (compile time only)
; SGPRBlocks: 0
; VGPRBlocks: 4
; NumSGPRsForWavesPerEU: 18
; NumVGPRsForWavesPerEU: 34
; Occupancy: 16
; WaveLimiterHint : 0
; COMPUTE_PGM_RSRC2:SCRATCH_EN: 0
; COMPUTE_PGM_RSRC2:USER_SGPR: 6
; COMPUTE_PGM_RSRC2:TRAP_HANDLER: 0
; COMPUTE_PGM_RSRC2:TGID_X_EN: 1
; COMPUTE_PGM_RSRC2:TGID_Y_EN: 0
; COMPUTE_PGM_RSRC2:TGID_Z_EN: 0
; COMPUTE_PGM_RSRC2:TIDIG_COMP_CNT: 0
	.section	.text._ZN2at6native29vectorized_elementwise_kernelILi4EZZZNS0_16atan_kernel_cudaERNS_18TensorIteratorBaseEENKUlvE0_clEvENKUlvE1_clEvEUlN3c104HalfEE_St5arrayIPcLm2EEEEviT0_T1_,"axG",@progbits,_ZN2at6native29vectorized_elementwise_kernelILi4EZZZNS0_16atan_kernel_cudaERNS_18TensorIteratorBaseEENKUlvE0_clEvENKUlvE1_clEvEUlN3c104HalfEE_St5arrayIPcLm2EEEEviT0_T1_,comdat
	.globl	_ZN2at6native29vectorized_elementwise_kernelILi4EZZZNS0_16atan_kernel_cudaERNS_18TensorIteratorBaseEENKUlvE0_clEvENKUlvE1_clEvEUlN3c104HalfEE_St5arrayIPcLm2EEEEviT0_T1_ ; -- Begin function _ZN2at6native29vectorized_elementwise_kernelILi4EZZZNS0_16atan_kernel_cudaERNS_18TensorIteratorBaseEENKUlvE0_clEvENKUlvE1_clEvEUlN3c104HalfEE_St5arrayIPcLm2EEEEviT0_T1_
	.p2align	8
	.type	_ZN2at6native29vectorized_elementwise_kernelILi4EZZZNS0_16atan_kernel_cudaERNS_18TensorIteratorBaseEENKUlvE0_clEvENKUlvE1_clEvEUlN3c104HalfEE_St5arrayIPcLm2EEEEviT0_T1_,@function
_ZN2at6native29vectorized_elementwise_kernelILi4EZZZNS0_16atan_kernel_cudaERNS_18TensorIteratorBaseEENKUlvE0_clEvENKUlvE1_clEvEUlN3c104HalfEE_St5arrayIPcLm2EEEEviT0_T1_: ; @_ZN2at6native29vectorized_elementwise_kernelILi4EZZZNS0_16atan_kernel_cudaERNS_18TensorIteratorBaseEENKUlvE0_clEvENKUlvE1_clEvEUlN3c104HalfEE_St5arrayIPcLm2EEEEviT0_T1_
; %bb.0:
	s_clause 0x1
	s_load_dword s0, s[4:5], 0x0
	s_load_dwordx4 s[8:11], s[4:5], 0x8
	s_lshl_b32 s12, s6, 11
	s_waitcnt lgkmcnt(0)
	s_sub_i32 s7, s0, s12
	s_mov_b32 s0, -1
	s_cmpk_gt_i32 s7, 0x7ff
	s_cbranch_scc0 .LBB18_2
; %bb.1:
	s_ashr_i32 s13, s12, 31
	v_lshlrev_b32_e32 v7, 3, v0
	s_lshl_b64 s[0:1], s[12:13], 1
	s_mov_b32 s13, 0x3b2d2a58
	s_add_u32 s2, s10, s0
	s_addc_u32 s3, s11, s1
	v_add_co_u32 v3, s4, s2, v7
	v_add_co_ci_u32_e64 v4, null, s3, 0, s4
	global_load_dwordx2 v[1:2], v7, s[2:3]
	v_add_co_u32 v3, vcc_lo, 0x800, v3
	v_add_co_ci_u32_e64 v4, null, 0, v4, vcc_lo
	s_add_u32 s14, s8, s0
	s_addc_u32 s15, s9, s1
	global_load_dwordx2 v[3:4], v[3:4], off
	s_waitcnt vmcnt(1)
	v_cvt_f32_f16_e32 v5, v1
	v_lshrrev_b32_e32 v6, 16, v1
	v_lshrrev_b32_e32 v8, 16, v2
	v_cvt_f32_f16_e32 v9, v2
	v_rcp_f32_e64 v10, |v5|
	v_cvt_f32_f16_e32 v11, v6
	v_cvt_f32_f16_e32 v12, v8
	v_rcp_f32_e64 v13, |v9|
	s_waitcnt vmcnt(0)
	v_lshrrev_b32_e32 v14, 16, v3
	v_lshrrev_b32_e32 v15, 16, v4
	v_rcp_f32_e64 v16, |v11|
	v_rcp_f32_e64 v17, |v12|
	v_cvt_f32_f16_e32 v18, v3
	v_cvt_f32_f16_e32 v19, v4
	v_cmp_gt_f32_e64 vcc_lo, |v5|, 1.0
	v_cmp_gt_f32_e64 s0, |v9|, 1.0
	v_cvt_f32_f16_e32 v21, v15
	v_cmp_gt_f32_e64 s1, |v11|, 1.0
	v_rcp_f32_e64 v20, |v19|
	v_cndmask_b32_e64 v5, |v5|, v10, vcc_lo
	v_cndmask_b32_e64 v9, |v9|, v13, s0
	v_rcp_f32_e64 v10, |v18|
	v_cvt_f32_f16_e32 v13, v14
	v_cmp_gt_f32_e64 s2, |v12|, 1.0
	v_mul_f32_e32 v22, v5, v5
	v_cndmask_b32_e64 v11, |v11|, v16, s1
	v_mul_f32_e32 v16, v9, v9
	v_rcp_f32_e64 v23, |v21|
	v_cndmask_b32_e64 v12, |v12|, v17, s2
	v_rcp_f32_e64 v17, |v13|
	v_cmp_gt_f32_e64 s3, |v18|, 1.0
	v_cmp_gt_f32_e64 s4, |v19|, 1.0
	v_fmaak_f32 v24, s13, v22, 0xbc7a590c
	v_mul_f32_e32 v25, v11, v11
	v_fmaak_f32 v26, s13, v16, 0xbc7a590c
	v_mul_f32_e32 v27, v12, v12
	v_cndmask_b32_e64 v10, |v18|, v10, s3
	v_cndmask_b32_e64 v18, |v19|, v20, s4
	v_cmp_gt_f32_e64 s5, |v13|, 1.0
	v_cmp_gt_f32_e64 s6, |v21|, 1.0
	v_fmaak_f32 v19, v22, v24, 0x3d29fb3f
	v_fmaak_f32 v20, s13, v25, 0xbc7a590c
	;; [unrolled: 1-line block ×4, first 2 shown]
	v_mul_f32_e32 v28, v10, v10
	v_cndmask_b32_e64 v13, |v13|, v17, s5
	v_mul_f32_e32 v17, v18, v18
	v_cndmask_b32_e64 v21, |v21|, v23, s6
	v_fmaak_f32 v19, v22, v19, 0xbd97d4d7
	v_fmaak_f32 v20, v25, v20, 0x3d29fb3f
	;; [unrolled: 1-line block ×5, first 2 shown]
	v_mul_f32_e32 v29, v13, v13
	v_fmaak_f32 v30, s13, v17, 0xbc7a590c
	v_mul_f32_e32 v31, v21, v21
	v_fmaak_f32 v19, v22, v19, 0x3dd931b2
	v_fmaak_f32 v20, v25, v20, 0xbd97d4d7
	;; [unrolled: 1-line block ×32, first 2 shown]
	v_mul_f32_e32 v19, v22, v19
	v_fmaak_f32 v20, v25, v20, 0xbeaaaa62
	v_mul_f32_e32 v16, v16, v23
	v_fmaak_f32 v22, v27, v24, 0xbeaaaa62
	v_fmaak_f32 v23, v28, v26, 0x3e4cb8bf
	;; [unrolled: 1-line block ×5, first 2 shown]
	v_fmac_f32_e32 v5, v5, v19
	v_mul_f32_e32 v19, v25, v20
	v_fmac_f32_e32 v9, v9, v16
	v_mul_f32_e32 v16, v27, v22
	v_fmaak_f32 v20, v28, v23, 0xbeaaaa62
	v_fmaak_f32 v22, v29, v24, 0x3e4cb8bf
	;; [unrolled: 1-line block ×4, first 2 shown]
	v_sub_f32_e32 v25, 0x3fc90fdb, v5
	v_fmac_f32_e32 v11, v11, v19
	v_sub_f32_e32 v19, 0x3fc90fdb, v9
	v_fmac_f32_e32 v12, v12, v16
	v_mul_f32_e32 v16, v28, v20
	v_fmaak_f32 v20, v29, v22, 0xbeaaaa62
	v_mul_f32_e32 v17, v17, v23
	v_fmaak_f32 v22, v31, v24, 0xbeaaaa62
	v_cndmask_b32_e32 v5, v5, v25, vcc_lo
	v_sub_f32_e32 v23, 0x3fc90fdb, v11
	v_cndmask_b32_e64 v9, v9, v19, s0
	v_fmac_f32_e32 v10, v10, v16
	v_mul_f32_e32 v16, v29, v20
	v_fmac_f32_e32 v18, v18, v17
	v_mul_f32_e32 v17, v31, v22
	v_sub_f32_e32 v19, 0x3fc90fdb, v12
	v_cvt_f16_f32_e32 v5, v5
	v_cndmask_b32_e64 v11, v11, v23, s1
	v_cvt_f16_f32_e32 v9, v9
	v_fmac_f32_e32 v13, v13, v16
	v_fmac_f32_e32 v21, v21, v17
	v_cndmask_b32_e64 v12, v12, v19, s2
	v_sub_f32_e32 v19, 0x3fc90fdb, v10
	v_sub_f32_e32 v16, 0x3fc90fdb, v18
	v_bfi_b32 v1, 0x7fff, v5, v1
	v_cvt_f16_f32_e32 v5, v11
	v_bfi_b32 v2, 0x7fff, v9, v2
	v_sub_f32_e32 v9, 0x3fc90fdb, v13
	v_sub_f32_e32 v11, 0x3fc90fdb, v21
	v_cndmask_b32_e64 v10, v10, v19, s3
	v_cndmask_b32_e64 v16, v18, v16, s4
	v_bfi_b32 v5, 0x7fff, v5, v6
	v_cndmask_b32_e64 v9, v13, v9, s5
	v_cndmask_b32_e64 v11, v21, v11, s6
	v_cvt_f16_f32_e32 v6, v10
	v_cvt_f16_f32_e32 v10, v16
	;; [unrolled: 1-line block ×5, first 2 shown]
	v_bfi_b32 v3, 0x7fff, v6, v3
	v_bfi_b32 v4, 0x7fff, v10, v4
	v_add_co_u32 v10, s0, s14, v7
	v_bfi_b32 v8, 0x7fff, v12, v8
	v_bfi_b32 v6, 0x7fff, v9, v14
	;; [unrolled: 1-line block ×3, first 2 shown]
	v_add_co_ci_u32_e64 v11, null, s15, 0, s0
	v_pack_b32_f16 v1, v1, v5
	v_add_co_u32 v5, vcc_lo, 0x800, v10
	v_pack_b32_f16 v2, v2, v8
	v_pack_b32_f16 v4, v4, v9
	;; [unrolled: 1-line block ×3, first 2 shown]
	v_add_co_ci_u32_e64 v6, null, 0, v11, vcc_lo
	s_mov_b32 s0, 0
	global_store_dwordx2 v7, v[1:2], s[14:15]
	global_store_dwordx2 v[5:6], v[3:4], off
.LBB18_2:
	s_andn2_b32 vcc_lo, exec_lo, s0
	s_cbranch_vccnz .LBB18_41
; %bb.3:
	v_cmp_gt_i32_e32 vcc_lo, s7, v0
	v_mov_b32_e32 v6, 0
	v_or_b32_e32 v1, s12, v0
	v_or_b32_e32 v3, 0x100, v0
	v_mov_b32_e32 v10, 0
	v_mov_b32_e32 v8, v0
	s_and_saveexec_b32 s1, vcc_lo
	s_cbranch_execz .LBB18_5
; %bb.4:
	v_mov_b32_e32 v2, 0
	v_or_b32_e32 v8, 0x100, v0
	v_lshlrev_b64 v[4:5], 1, v[1:2]
	v_add_co_u32 v4, s0, s10, v4
	v_add_co_ci_u32_e64 v5, null, s11, v5, s0
	global_load_ushort v2, v[4:5], off
	s_waitcnt vmcnt(0)
	v_cvt_f32_f16_e32 v10, v2
.LBB18_5:
	s_or_b32 exec_lo, exec_lo, s1
	s_mov_b32 s1, exec_lo
	v_cmpx_gt_i32_e64 s7, v8
	s_cbranch_execz .LBB18_7
; %bb.6:
	v_add_nc_u32_e32 v4, s12, v8
	v_mov_b32_e32 v5, 0
	v_add_nc_u32_e32 v8, 0x100, v8
	v_lshlrev_b64 v[4:5], 1, v[4:5]
	v_add_co_u32 v4, s0, s10, v4
	v_add_co_ci_u32_e64 v5, null, s11, v5, s0
	global_load_ushort v2, v[4:5], off
	s_waitcnt vmcnt(0)
	v_cvt_f32_f16_e32 v6, v2
.LBB18_7:
	s_or_b32 exec_lo, exec_lo, s1
	v_mov_b32_e32 v5, 0
	v_mov_b32_e32 v11, 0
	s_mov_b32 s1, exec_lo
	v_cmpx_gt_i32_e64 s7, v8
	s_cbranch_execz .LBB18_9
; %bb.8:
	v_add_nc_u32_e32 v11, s12, v8
	v_mov_b32_e32 v12, 0
	v_add_nc_u32_e32 v8, 0x100, v8
	v_lshlrev_b64 v[11:12], 1, v[11:12]
	v_add_co_u32 v11, s0, s10, v11
	v_add_co_ci_u32_e64 v12, null, s11, v12, s0
	global_load_ushort v2, v[11:12], off
	s_waitcnt vmcnt(0)
	v_cvt_f32_f16_e32 v11, v2
.LBB18_9:
	s_or_b32 exec_lo, exec_lo, s1
	s_mov_b32 s1, exec_lo
	v_cmpx_gt_i32_e64 s7, v8
	s_cbranch_execz .LBB18_11
; %bb.10:
	v_add_nc_u32_e32 v4, s12, v8
	v_mov_b32_e32 v5, 0
	v_add_nc_u32_e32 v8, 0x100, v8
	v_lshlrev_b64 v[4:5], 1, v[4:5]
	v_add_co_u32 v4, s0, s10, v4
	v_add_co_ci_u32_e64 v5, null, s11, v5, s0
	global_load_ushort v2, v[4:5], off
	s_waitcnt vmcnt(0)
	v_cvt_f32_f16_e32 v5, v2
.LBB18_11:
	s_or_b32 exec_lo, exec_lo, s1
	v_mov_b32_e32 v4, 0
	v_mov_b32_e32 v9, 0
	s_mov_b32 s1, exec_lo
	v_cmpx_gt_i32_e64 s7, v8
	s_cbranch_execz .LBB18_13
; %bb.12:
	v_add_nc_u32_e32 v12, s12, v8
	v_mov_b32_e32 v13, 0
	v_add_nc_u32_e32 v8, 0x100, v8
	v_lshlrev_b64 v[12:13], 1, v[12:13]
	v_add_co_u32 v12, s0, s10, v12
	v_add_co_ci_u32_e64 v13, null, s11, v13, s0
	global_load_ushort v2, v[12:13], off
	s_waitcnt vmcnt(0)
	v_cvt_f32_f16_e32 v9, v2
.LBB18_13:
	s_or_b32 exec_lo, exec_lo, s1
	s_mov_b32 s1, exec_lo
	v_cmpx_gt_i32_e64 s7, v8
	s_cbranch_execz .LBB18_15
; %bb.14:
	v_add_nc_u32_e32 v12, s12, v8
	v_mov_b32_e32 v13, 0
	v_add_nc_u32_e32 v8, 0x100, v8
	v_lshlrev_b64 v[12:13], 1, v[12:13]
	v_add_co_u32 v12, s0, s10, v12
	v_add_co_ci_u32_e64 v13, null, s11, v13, s0
	global_load_ushort v2, v[12:13], off
	s_waitcnt vmcnt(0)
	v_cvt_f32_f16_e32 v4, v2
.LBB18_15:
	s_or_b32 exec_lo, exec_lo, s1
	v_mov_b32_e32 v2, 0
	v_mov_b32_e32 v7, 0
	s_mov_b32 s1, exec_lo
	v_cmpx_gt_i32_e64 s7, v8
	s_cbranch_execz .LBB18_42
; %bb.16:
	v_add_nc_u32_e32 v12, s12, v8
	v_mov_b32_e32 v13, 0
	v_add_nc_u32_e32 v8, 0x100, v8
	v_lshlrev_b64 v[12:13], 1, v[12:13]
	v_add_co_u32 v12, s0, s10, v12
	v_add_co_ci_u32_e64 v13, null, s11, v13, s0
	global_load_ushort v7, v[12:13], off
	s_waitcnt vmcnt(0)
	v_cvt_f32_f16_e32 v7, v7
	s_or_b32 exec_lo, exec_lo, s1
	s_mov_b32 s1, exec_lo
	v_cmpx_gt_i32_e64 s7, v8
	s_cbranch_execnz .LBB18_43
.LBB18_17:
	s_or_b32 exec_lo, exec_lo, s1
                                        ; implicit-def: $vgpr8
	s_and_saveexec_b32 s1, vcc_lo
	s_cbranch_execz .LBB18_19
.LBB18_18:
	v_rcp_f32_e64 v8, |v10|
	v_cmp_gt_f32_e64 s0, |v10|, 1.0
	s_mov_b32 s2, 0x3b2d2a58
	v_cndmask_b32_e64 v8, |v10|, v8, s0
	v_lshrrev_b32_e32 v10, 16, v10
	v_mul_f32_e32 v12, v8, v8
	v_fmaak_f32 v13, s2, v12, 0xbc7a590c
	v_fmaak_f32 v13, v12, v13, 0x3d29fb3f
	;; [unrolled: 1-line block ×7, first 2 shown]
	v_mul_f32_e32 v12, v12, v13
	v_fmac_f32_e32 v8, v8, v12
	v_sub_f32_e32 v12, 0x3fc90fdb, v8
	v_cndmask_b32_e64 v8, v8, v12, s0
	v_cvt_f16_f32_e32 v8, v8
	v_bfi_b32 v8, 0x7fff, v8, v10
.LBB18_19:
	s_or_b32 exec_lo, exec_lo, s1
	s_mov_b32 s1, exec_lo
                                        ; implicit-def: $vgpr10
	v_cmpx_gt_i32_e64 s7, v3
	s_cbranch_execz .LBB18_21
; %bb.20:
	v_rcp_f32_e64 v10, |v6|
	v_cmp_gt_f32_e64 s0, |v6|, 1.0
	s_mov_b32 s2, 0x3b2d2a58
	v_cndmask_b32_e64 v10, |v6|, v10, s0
	v_lshrrev_b32_e32 v6, 16, v6
	v_mul_f32_e32 v12, v10, v10
	v_fmaak_f32 v13, s2, v12, 0xbc7a590c
	v_fmaak_f32 v13, v12, v13, 0x3d29fb3f
	;; [unrolled: 1-line block ×7, first 2 shown]
	v_mul_f32_e32 v12, v12, v13
	v_fmac_f32_e32 v10, v10, v12
	v_sub_f32_e32 v12, 0x3fc90fdb, v10
	v_cndmask_b32_e64 v10, v10, v12, s0
	v_cvt_f16_f32_e32 v10, v10
	v_bfi_b32 v10, 0x7fff, v10, v6
.LBB18_21:
	s_or_b32 exec_lo, exec_lo, s1
	v_or_b32_e32 v6, 0x200, v0
	v_cmp_gt_i32_e64 s0, s7, v6
                                        ; implicit-def: $vgpr6
	s_and_saveexec_b32 s1, s0
	s_cbranch_execz .LBB18_23
; %bb.22:
	v_rcp_f32_e64 v6, |v11|
	v_cmp_gt_f32_e64 s0, |v11|, 1.0
	s_mov_b32 s2, 0x3b2d2a58
	v_cndmask_b32_e64 v6, |v11|, v6, s0
	v_lshrrev_b32_e32 v11, 16, v11
	v_mul_f32_e32 v12, v6, v6
	v_fmaak_f32 v13, s2, v12, 0xbc7a590c
	v_fmaak_f32 v13, v12, v13, 0x3d29fb3f
	;; [unrolled: 1-line block ×7, first 2 shown]
	v_mul_f32_e32 v12, v12, v13
	v_fmac_f32_e32 v6, v6, v12
	v_sub_f32_e32 v12, 0x3fc90fdb, v6
	v_cndmask_b32_e64 v6, v6, v12, s0
	v_cvt_f16_f32_e32 v6, v6
	v_bfi_b32 v6, 0x7fff, v6, v11
.LBB18_23:
	s_or_b32 exec_lo, exec_lo, s1
	v_or_b32_e32 v11, 0x300, v0
	v_cmp_gt_i32_e64 s0, s7, v11
                                        ; implicit-def: $vgpr11
	s_and_saveexec_b32 s1, s0
	s_cbranch_execz .LBB18_25
; %bb.24:
	v_rcp_f32_e64 v11, |v5|
	v_cmp_gt_f32_e64 s0, |v5|, 1.0
	s_mov_b32 s2, 0x3b2d2a58
	v_cndmask_b32_e64 v11, |v5|, v11, s0
	v_lshrrev_b32_e32 v5, 16, v5
	v_mul_f32_e32 v12, v11, v11
	v_fmaak_f32 v13, s2, v12, 0xbc7a590c
	v_fmaak_f32 v13, v12, v13, 0x3d29fb3f
	;; [unrolled: 1-line block ×7, first 2 shown]
	v_mul_f32_e32 v12, v12, v13
	v_fmac_f32_e32 v11, v11, v12
	v_sub_f32_e32 v12, 0x3fc90fdb, v11
	v_cndmask_b32_e64 v11, v11, v12, s0
	v_cvt_f16_f32_e32 v11, v11
	v_bfi_b32 v11, 0x7fff, v11, v5
.LBB18_25:
	s_or_b32 exec_lo, exec_lo, s1
	v_or_b32_e32 v5, 0x400, v0
	v_cmp_gt_i32_e64 s0, s7, v5
                                        ; implicit-def: $vgpr5
	s_and_saveexec_b32 s1, s0
	s_cbranch_execz .LBB18_27
; %bb.26:
	v_rcp_f32_e64 v5, |v9|
	v_cmp_gt_f32_e64 s0, |v9|, 1.0
	s_mov_b32 s2, 0x3b2d2a58
	v_cndmask_b32_e64 v5, |v9|, v5, s0
	v_lshrrev_b32_e32 v9, 16, v9
	v_mul_f32_e32 v12, v5, v5
	v_fmaak_f32 v13, s2, v12, 0xbc7a590c
	v_fmaak_f32 v13, v12, v13, 0x3d29fb3f
	;; [unrolled: 1-line block ×7, first 2 shown]
	v_mul_f32_e32 v12, v12, v13
	v_fmac_f32_e32 v5, v5, v12
	v_sub_f32_e32 v12, 0x3fc90fdb, v5
	v_cndmask_b32_e64 v5, v5, v12, s0
	v_cvt_f16_f32_e32 v5, v5
	v_bfi_b32 v5, 0x7fff, v5, v9
.LBB18_27:
	s_or_b32 exec_lo, exec_lo, s1
	v_or_b32_e32 v9, 0x500, v0
	v_cmp_gt_i32_e64 s0, s7, v9
                                        ; implicit-def: $vgpr9
	s_and_saveexec_b32 s1, s0
	s_cbranch_execz .LBB18_29
; %bb.28:
	v_rcp_f32_e64 v9, |v4|
	v_cmp_gt_f32_e64 s0, |v4|, 1.0
	s_mov_b32 s2, 0x3b2d2a58
	v_cndmask_b32_e64 v9, |v4|, v9, s0
	v_lshrrev_b32_e32 v4, 16, v4
	v_mul_f32_e32 v12, v9, v9
	v_fmaak_f32 v13, s2, v12, 0xbc7a590c
	v_fmaak_f32 v13, v12, v13, 0x3d29fb3f
	;; [unrolled: 1-line block ×7, first 2 shown]
	v_mul_f32_e32 v12, v12, v13
	v_fmac_f32_e32 v9, v9, v12
	v_sub_f32_e32 v12, 0x3fc90fdb, v9
	v_cndmask_b32_e64 v9, v9, v12, s0
	v_cvt_f16_f32_e32 v9, v9
	v_bfi_b32 v9, 0x7fff, v9, v4
.LBB18_29:
	s_or_b32 exec_lo, exec_lo, s1
	v_or_b32_e32 v4, 0x600, v0
	v_cmp_gt_i32_e64 s0, s7, v4
                                        ; implicit-def: $vgpr4
	s_and_saveexec_b32 s1, s0
	s_cbranch_execz .LBB18_31
; %bb.30:
	v_rcp_f32_e64 v4, |v7|
	v_cmp_gt_f32_e64 s0, |v7|, 1.0
	s_mov_b32 s2, 0x3b2d2a58
	v_cndmask_b32_e64 v4, |v7|, v4, s0
	v_lshrrev_b32_e32 v7, 16, v7
	v_mul_f32_e32 v12, v4, v4
	v_fmaak_f32 v13, s2, v12, 0xbc7a590c
	v_fmaak_f32 v13, v12, v13, 0x3d29fb3f
	;; [unrolled: 1-line block ×7, first 2 shown]
	v_mul_f32_e32 v12, v12, v13
	v_fmac_f32_e32 v4, v4, v12
	v_sub_f32_e32 v12, 0x3fc90fdb, v4
	v_cndmask_b32_e64 v4, v4, v12, s0
	v_cvt_f16_f32_e32 v4, v4
	v_bfi_b32 v4, 0x7fff, v4, v7
.LBB18_31:
	s_or_b32 exec_lo, exec_lo, s1
	v_or_b32_e32 v7, 0x700, v0
	v_cmp_gt_i32_e64 s0, s7, v7
                                        ; implicit-def: $vgpr7
	s_and_saveexec_b32 s1, s0
	s_cbranch_execz .LBB18_44
; %bb.32:
	v_rcp_f32_e64 v7, |v2|
	v_cmp_gt_f32_e64 s0, |v2|, 1.0
	s_mov_b32 s2, 0x3b2d2a58
	v_cndmask_b32_e64 v7, |v2|, v7, s0
	v_lshrrev_b32_e32 v2, 16, v2
	v_mul_f32_e32 v12, v7, v7
	v_fmaak_f32 v13, s2, v12, 0xbc7a590c
	v_fmaak_f32 v13, v12, v13, 0x3d29fb3f
	;; [unrolled: 1-line block ×7, first 2 shown]
	v_mul_f32_e32 v12, v12, v13
	v_fmac_f32_e32 v7, v7, v12
	v_sub_f32_e32 v12, 0x3fc90fdb, v7
	v_cndmask_b32_e64 v7, v7, v12, s0
	v_cvt_f16_f32_e32 v7, v7
	v_bfi_b32 v7, 0x7fff, v7, v2
	s_or_b32 exec_lo, exec_lo, s1
	s_and_saveexec_b32 s0, vcc_lo
	s_xor_b32 s0, exec_lo, s0
	s_cbranch_execnz .LBB18_45
.LBB18_33:
	s_or_b32 exec_lo, exec_lo, s0
	s_mov_b32 s0, exec_lo
	v_cmpx_gt_i32_e64 s7, v0
	s_cbranch_execz .LBB18_46
.LBB18_34:
	v_add_nc_u32_e32 v1, s12, v0
	v_mov_b32_e32 v2, 0
	v_add_nc_u32_e32 v0, 0x100, v0
	v_lshlrev_b64 v[1:2], 1, v[1:2]
	v_add_co_u32 v1, vcc_lo, s8, v1
	v_add_co_ci_u32_e64 v2, null, s9, v2, vcc_lo
	global_store_short v[1:2], v10, off
	s_or_b32 exec_lo, exec_lo, s0
	s_mov_b32 s0, exec_lo
	v_cmpx_gt_i32_e64 s7, v0
	s_cbranch_execnz .LBB18_47
.LBB18_35:
	s_or_b32 exec_lo, exec_lo, s0
	s_mov_b32 s0, exec_lo
	v_cmpx_gt_i32_e64 s7, v0
	s_cbranch_execz .LBB18_48
.LBB18_36:
	v_add_nc_u32_e32 v1, s12, v0
	v_mov_b32_e32 v2, 0
	v_add_nc_u32_e32 v0, 0x100, v0
	v_lshlrev_b64 v[1:2], 1, v[1:2]
	v_add_co_u32 v1, vcc_lo, s8, v1
	v_add_co_ci_u32_e64 v2, null, s9, v2, vcc_lo
	global_store_short v[1:2], v11, off
	s_or_b32 exec_lo, exec_lo, s0
	s_mov_b32 s0, exec_lo
	v_cmpx_gt_i32_e64 s7, v0
	s_cbranch_execnz .LBB18_49
.LBB18_37:
	s_or_b32 exec_lo, exec_lo, s0
	s_mov_b32 s0, exec_lo
	v_cmpx_gt_i32_e64 s7, v0
	s_cbranch_execz .LBB18_50
.LBB18_38:
	v_add_nc_u32_e32 v1, s12, v0
	v_mov_b32_e32 v2, 0
	v_add_nc_u32_e32 v0, 0x100, v0
	v_lshlrev_b64 v[1:2], 1, v[1:2]
	v_add_co_u32 v1, vcc_lo, s8, v1
	v_add_co_ci_u32_e64 v2, null, s9, v2, vcc_lo
	global_store_short v[1:2], v9, off
	s_or_b32 exec_lo, exec_lo, s0
	s_mov_b32 s0, exec_lo
	v_cmpx_gt_i32_e64 s7, v0
	s_cbranch_execnz .LBB18_51
.LBB18_39:
	s_or_b32 exec_lo, exec_lo, s0
	s_mov_b32 s0, exec_lo
	v_cmpx_gt_i32_e64 s7, v0
	s_cbranch_execz .LBB18_41
.LBB18_40:
	v_add_nc_u32_e32 v0, s12, v0
	v_mov_b32_e32 v1, 0
	v_lshlrev_b64 v[0:1], 1, v[0:1]
	v_add_co_u32 v0, vcc_lo, s8, v0
	v_add_co_ci_u32_e64 v1, null, s9, v1, vcc_lo
	global_store_short v[0:1], v7, off
.LBB18_41:
	s_endpgm
.LBB18_42:
	s_or_b32 exec_lo, exec_lo, s1
	s_mov_b32 s1, exec_lo
	v_cmpx_gt_i32_e64 s7, v8
	s_cbranch_execz .LBB18_17
.LBB18_43:
	v_add_nc_u32_e32 v12, s12, v8
	v_mov_b32_e32 v13, 0
	v_lshlrev_b64 v[12:13], 1, v[12:13]
	v_add_co_u32 v12, s0, s10, v12
	v_add_co_ci_u32_e64 v13, null, s11, v13, s0
	global_load_ushort v2, v[12:13], off
	s_waitcnt vmcnt(0)
	v_cvt_f32_f16_e32 v2, v2
	s_or_b32 exec_lo, exec_lo, s1
                                        ; implicit-def: $vgpr8
	s_and_saveexec_b32 s1, vcc_lo
	s_cbranch_execz .LBB18_19
	s_branch .LBB18_18
.LBB18_44:
	s_or_b32 exec_lo, exec_lo, s1
	s_and_saveexec_b32 s0, vcc_lo
	s_xor_b32 s0, exec_lo, s0
	s_cbranch_execz .LBB18_33
.LBB18_45:
	v_mov_b32_e32 v2, 0
	v_lshlrev_b64 v[0:1], 1, v[1:2]
	v_add_co_u32 v12, vcc_lo, s8, v0
	v_add_co_ci_u32_e64 v13, null, s9, v1, vcc_lo
	v_mov_b32_e32 v0, v3
	global_store_short v[12:13], v8, off
	s_or_b32 exec_lo, exec_lo, s0
	s_mov_b32 s0, exec_lo
	v_cmpx_gt_i32_e64 s7, v0
	s_cbranch_execnz .LBB18_34
.LBB18_46:
	s_or_b32 exec_lo, exec_lo, s0
	s_mov_b32 s0, exec_lo
	v_cmpx_gt_i32_e64 s7, v0
	s_cbranch_execz .LBB18_35
.LBB18_47:
	v_add_nc_u32_e32 v1, s12, v0
	v_mov_b32_e32 v2, 0
	v_add_nc_u32_e32 v0, 0x100, v0
	v_lshlrev_b64 v[1:2], 1, v[1:2]
	v_add_co_u32 v1, vcc_lo, s8, v1
	v_add_co_ci_u32_e64 v2, null, s9, v2, vcc_lo
	global_store_short v[1:2], v6, off
	s_or_b32 exec_lo, exec_lo, s0
	s_mov_b32 s0, exec_lo
	v_cmpx_gt_i32_e64 s7, v0
	s_cbranch_execnz .LBB18_36
.LBB18_48:
	s_or_b32 exec_lo, exec_lo, s0
	s_mov_b32 s0, exec_lo
	v_cmpx_gt_i32_e64 s7, v0
	s_cbranch_execz .LBB18_37
.LBB18_49:
	v_add_nc_u32_e32 v1, s12, v0
	v_mov_b32_e32 v2, 0
	v_add_nc_u32_e32 v0, 0x100, v0
	v_lshlrev_b64 v[1:2], 1, v[1:2]
	v_add_co_u32 v1, vcc_lo, s8, v1
	v_add_co_ci_u32_e64 v2, null, s9, v2, vcc_lo
	global_store_short v[1:2], v5, off
	s_or_b32 exec_lo, exec_lo, s0
	s_mov_b32 s0, exec_lo
	v_cmpx_gt_i32_e64 s7, v0
	s_cbranch_execnz .LBB18_38
.LBB18_50:
	s_or_b32 exec_lo, exec_lo, s0
	s_mov_b32 s0, exec_lo
	v_cmpx_gt_i32_e64 s7, v0
	s_cbranch_execz .LBB18_39
.LBB18_51:
	v_add_nc_u32_e32 v1, s12, v0
	v_mov_b32_e32 v2, 0
	v_add_nc_u32_e32 v0, 0x100, v0
	v_lshlrev_b64 v[1:2], 1, v[1:2]
	v_add_co_u32 v1, vcc_lo, s8, v1
	v_add_co_ci_u32_e64 v2, null, s9, v2, vcc_lo
	global_store_short v[1:2], v4, off
	s_or_b32 exec_lo, exec_lo, s0
	s_mov_b32 s0, exec_lo
	v_cmpx_gt_i32_e64 s7, v0
	s_cbranch_execnz .LBB18_40
	s_branch .LBB18_41
	.section	.rodata,"a",@progbits
	.p2align	6, 0x0
	.amdhsa_kernel _ZN2at6native29vectorized_elementwise_kernelILi4EZZZNS0_16atan_kernel_cudaERNS_18TensorIteratorBaseEENKUlvE0_clEvENKUlvE1_clEvEUlN3c104HalfEE_St5arrayIPcLm2EEEEviT0_T1_
		.amdhsa_group_segment_fixed_size 0
		.amdhsa_private_segment_fixed_size 0
		.amdhsa_kernarg_size 24
		.amdhsa_user_sgpr_count 6
		.amdhsa_user_sgpr_private_segment_buffer 1
		.amdhsa_user_sgpr_dispatch_ptr 0
		.amdhsa_user_sgpr_queue_ptr 0
		.amdhsa_user_sgpr_kernarg_segment_ptr 1
		.amdhsa_user_sgpr_dispatch_id 0
		.amdhsa_user_sgpr_flat_scratch_init 0
		.amdhsa_user_sgpr_private_segment_size 0
		.amdhsa_wavefront_size32 1
		.amdhsa_uses_dynamic_stack 0
		.amdhsa_system_sgpr_private_segment_wavefront_offset 0
		.amdhsa_system_sgpr_workgroup_id_x 1
		.amdhsa_system_sgpr_workgroup_id_y 0
		.amdhsa_system_sgpr_workgroup_id_z 0
		.amdhsa_system_sgpr_workgroup_info 0
		.amdhsa_system_vgpr_workitem_id 0
		.amdhsa_next_free_vgpr 34
		.amdhsa_next_free_sgpr 16
		.amdhsa_reserve_vcc 1
		.amdhsa_reserve_flat_scratch 0
		.amdhsa_float_round_mode_32 0
		.amdhsa_float_round_mode_16_64 0
		.amdhsa_float_denorm_mode_32 3
		.amdhsa_float_denorm_mode_16_64 3
		.amdhsa_dx10_clamp 1
		.amdhsa_ieee_mode 1
		.amdhsa_fp16_overflow 0
		.amdhsa_workgroup_processor_mode 1
		.amdhsa_memory_ordered 1
		.amdhsa_forward_progress 1
		.amdhsa_shared_vgpr_count 0
		.amdhsa_exception_fp_ieee_invalid_op 0
		.amdhsa_exception_fp_denorm_src 0
		.amdhsa_exception_fp_ieee_div_zero 0
		.amdhsa_exception_fp_ieee_overflow 0
		.amdhsa_exception_fp_ieee_underflow 0
		.amdhsa_exception_fp_ieee_inexact 0
		.amdhsa_exception_int_div_zero 0
	.end_amdhsa_kernel
	.section	.text._ZN2at6native29vectorized_elementwise_kernelILi4EZZZNS0_16atan_kernel_cudaERNS_18TensorIteratorBaseEENKUlvE0_clEvENKUlvE1_clEvEUlN3c104HalfEE_St5arrayIPcLm2EEEEviT0_T1_,"axG",@progbits,_ZN2at6native29vectorized_elementwise_kernelILi4EZZZNS0_16atan_kernel_cudaERNS_18TensorIteratorBaseEENKUlvE0_clEvENKUlvE1_clEvEUlN3c104HalfEE_St5arrayIPcLm2EEEEviT0_T1_,comdat
.Lfunc_end18:
	.size	_ZN2at6native29vectorized_elementwise_kernelILi4EZZZNS0_16atan_kernel_cudaERNS_18TensorIteratorBaseEENKUlvE0_clEvENKUlvE1_clEvEUlN3c104HalfEE_St5arrayIPcLm2EEEEviT0_T1_, .Lfunc_end18-_ZN2at6native29vectorized_elementwise_kernelILi4EZZZNS0_16atan_kernel_cudaERNS_18TensorIteratorBaseEENKUlvE0_clEvENKUlvE1_clEvEUlN3c104HalfEE_St5arrayIPcLm2EEEEviT0_T1_
                                        ; -- End function
	.set _ZN2at6native29vectorized_elementwise_kernelILi4EZZZNS0_16atan_kernel_cudaERNS_18TensorIteratorBaseEENKUlvE0_clEvENKUlvE1_clEvEUlN3c104HalfEE_St5arrayIPcLm2EEEEviT0_T1_.num_vgpr, 34
	.set _ZN2at6native29vectorized_elementwise_kernelILi4EZZZNS0_16atan_kernel_cudaERNS_18TensorIteratorBaseEENKUlvE0_clEvENKUlvE1_clEvEUlN3c104HalfEE_St5arrayIPcLm2EEEEviT0_T1_.num_agpr, 0
	.set _ZN2at6native29vectorized_elementwise_kernelILi4EZZZNS0_16atan_kernel_cudaERNS_18TensorIteratorBaseEENKUlvE0_clEvENKUlvE1_clEvEUlN3c104HalfEE_St5arrayIPcLm2EEEEviT0_T1_.numbered_sgpr, 16
	.set _ZN2at6native29vectorized_elementwise_kernelILi4EZZZNS0_16atan_kernel_cudaERNS_18TensorIteratorBaseEENKUlvE0_clEvENKUlvE1_clEvEUlN3c104HalfEE_St5arrayIPcLm2EEEEviT0_T1_.num_named_barrier, 0
	.set _ZN2at6native29vectorized_elementwise_kernelILi4EZZZNS0_16atan_kernel_cudaERNS_18TensorIteratorBaseEENKUlvE0_clEvENKUlvE1_clEvEUlN3c104HalfEE_St5arrayIPcLm2EEEEviT0_T1_.private_seg_size, 0
	.set _ZN2at6native29vectorized_elementwise_kernelILi4EZZZNS0_16atan_kernel_cudaERNS_18TensorIteratorBaseEENKUlvE0_clEvENKUlvE1_clEvEUlN3c104HalfEE_St5arrayIPcLm2EEEEviT0_T1_.uses_vcc, 1
	.set _ZN2at6native29vectorized_elementwise_kernelILi4EZZZNS0_16atan_kernel_cudaERNS_18TensorIteratorBaseEENKUlvE0_clEvENKUlvE1_clEvEUlN3c104HalfEE_St5arrayIPcLm2EEEEviT0_T1_.uses_flat_scratch, 0
	.set _ZN2at6native29vectorized_elementwise_kernelILi4EZZZNS0_16atan_kernel_cudaERNS_18TensorIteratorBaseEENKUlvE0_clEvENKUlvE1_clEvEUlN3c104HalfEE_St5arrayIPcLm2EEEEviT0_T1_.has_dyn_sized_stack, 0
	.set _ZN2at6native29vectorized_elementwise_kernelILi4EZZZNS0_16atan_kernel_cudaERNS_18TensorIteratorBaseEENKUlvE0_clEvENKUlvE1_clEvEUlN3c104HalfEE_St5arrayIPcLm2EEEEviT0_T1_.has_recursion, 0
	.set _ZN2at6native29vectorized_elementwise_kernelILi4EZZZNS0_16atan_kernel_cudaERNS_18TensorIteratorBaseEENKUlvE0_clEvENKUlvE1_clEvEUlN3c104HalfEE_St5arrayIPcLm2EEEEviT0_T1_.has_indirect_call, 0
	.section	.AMDGPU.csdata,"",@progbits
; Kernel info:
; codeLenInByte = 3920
; TotalNumSgprs: 18
; NumVgprs: 34
; ScratchSize: 0
; MemoryBound: 0
; FloatMode: 240
; IeeeMode: 1
; LDSByteSize: 0 bytes/workgroup (compile time only)
; SGPRBlocks: 0
; VGPRBlocks: 4
; NumSGPRsForWavesPerEU: 18
; NumVGPRsForWavesPerEU: 34
; Occupancy: 16
; WaveLimiterHint : 1
; COMPUTE_PGM_RSRC2:SCRATCH_EN: 0
; COMPUTE_PGM_RSRC2:USER_SGPR: 6
; COMPUTE_PGM_RSRC2:TRAP_HANDLER: 0
; COMPUTE_PGM_RSRC2:TGID_X_EN: 1
; COMPUTE_PGM_RSRC2:TGID_Y_EN: 0
; COMPUTE_PGM_RSRC2:TGID_Z_EN: 0
; COMPUTE_PGM_RSRC2:TIDIG_COMP_CNT: 0
	.section	.text._ZN2at6native29vectorized_elementwise_kernelILi2EZZZNS0_16atan_kernel_cudaERNS_18TensorIteratorBaseEENKUlvE0_clEvENKUlvE1_clEvEUlN3c104HalfEE_St5arrayIPcLm2EEEEviT0_T1_,"axG",@progbits,_ZN2at6native29vectorized_elementwise_kernelILi2EZZZNS0_16atan_kernel_cudaERNS_18TensorIteratorBaseEENKUlvE0_clEvENKUlvE1_clEvEUlN3c104HalfEE_St5arrayIPcLm2EEEEviT0_T1_,comdat
	.globl	_ZN2at6native29vectorized_elementwise_kernelILi2EZZZNS0_16atan_kernel_cudaERNS_18TensorIteratorBaseEENKUlvE0_clEvENKUlvE1_clEvEUlN3c104HalfEE_St5arrayIPcLm2EEEEviT0_T1_ ; -- Begin function _ZN2at6native29vectorized_elementwise_kernelILi2EZZZNS0_16atan_kernel_cudaERNS_18TensorIteratorBaseEENKUlvE0_clEvENKUlvE1_clEvEUlN3c104HalfEE_St5arrayIPcLm2EEEEviT0_T1_
	.p2align	8
	.type	_ZN2at6native29vectorized_elementwise_kernelILi2EZZZNS0_16atan_kernel_cudaERNS_18TensorIteratorBaseEENKUlvE0_clEvENKUlvE1_clEvEUlN3c104HalfEE_St5arrayIPcLm2EEEEviT0_T1_,@function
_ZN2at6native29vectorized_elementwise_kernelILi2EZZZNS0_16atan_kernel_cudaERNS_18TensorIteratorBaseEENKUlvE0_clEvENKUlvE1_clEvEUlN3c104HalfEE_St5arrayIPcLm2EEEEviT0_T1_: ; @_ZN2at6native29vectorized_elementwise_kernelILi2EZZZNS0_16atan_kernel_cudaERNS_18TensorIteratorBaseEENKUlvE0_clEvENKUlvE1_clEvEUlN3c104HalfEE_St5arrayIPcLm2EEEEviT0_T1_
; %bb.0:
	s_clause 0x1
	s_load_dword s0, s[4:5], 0x0
	s_load_dwordx4 s[8:11], s[4:5], 0x8
	s_lshl_b32 s12, s6, 11
	s_waitcnt lgkmcnt(0)
	s_sub_i32 s7, s0, s12
	s_mov_b32 s0, -1
	s_cmpk_gt_i32 s7, 0x7ff
	s_cbranch_scc0 .LBB19_2
; %bb.1:
	s_ashr_i32 s13, s12, 31
	v_lshlrev_b32_e32 v3, 2, v0
	s_lshl_b64 s[0:1], s[12:13], 1
	s_mov_b32 s13, 0x3b2d2a58
	s_add_u32 s2, s10, s0
	s_addc_u32 s3, s11, s1
	s_add_u32 s14, s8, s0
	s_clause 0x1
	global_load_dword v4, v3, s[2:3]
	global_load_dword v5, v3, s[2:3] offset:1024
	v_add_co_u32 v1, s2, s2, v3
	v_add_co_ci_u32_e64 v2, null, s3, 0, s2
	s_addc_u32 s15, s9, s1
	v_add_co_u32 v1, vcc_lo, 0x800, v1
	v_add_co_ci_u32_e64 v2, null, 0, v2, vcc_lo
	v_add_co_u32 v10, s0, s14, v3
	s_clause 0x1
	global_load_dword v6, v[1:2], off
	global_load_dword v1, v[1:2], off offset:1024
	v_add_co_ci_u32_e64 v11, null, s15, 0, s0
	s_waitcnt vmcnt(3)
	v_lshrrev_b32_e32 v2, 16, v4
	s_waitcnt vmcnt(2)
	v_lshrrev_b32_e32 v7, 16, v5
	v_cvt_f32_f16_e32 v8, v4
	v_cvt_f32_f16_e32 v9, v5
	v_cvt_f32_f16_e32 v13, v2
	v_cvt_f32_f16_e32 v14, v7
	v_rcp_f32_e64 v12, |v8|
	v_rcp_f32_e64 v15, |v9|
	v_cmp_gt_f32_e64 vcc_lo, |v8|, 1.0
	v_rcp_f32_e64 v18, |v13|
	v_rcp_f32_e64 v19, |v14|
	v_cmp_gt_f32_e64 s0, |v9|, 1.0
	s_waitcnt vmcnt(1)
	v_lshrrev_b32_e32 v16, 16, v6
	v_cvt_f32_f16_e32 v20, v6
	s_waitcnt vmcnt(0)
	v_lshrrev_b32_e32 v17, 16, v1
	v_cvt_f32_f16_e32 v21, v1
	v_cndmask_b32_e64 v8, |v8|, v12, vcc_lo
	v_cndmask_b32_e64 v9, |v9|, v15, s0
	v_rcp_f32_e64 v12, |v20|
	v_cvt_f32_f16_e32 v15, v16
	v_cmp_gt_f32_e64 s1, |v13|, 1.0
	v_cmp_gt_f32_e64 s2, |v14|, 1.0
	v_rcp_f32_e64 v22, |v21|
	v_cvt_f32_f16_e32 v23, v17
	v_mul_f32_e32 v24, v8, v8
	v_cndmask_b32_e64 v13, |v13|, v18, s1
	v_mul_f32_e32 v18, v9, v9
	v_cndmask_b32_e64 v14, |v14|, v19, s2
	v_rcp_f32_e64 v19, |v15|
	v_cmp_gt_f32_e64 s3, |v20|, 1.0
	v_rcp_f32_e64 v25, |v23|
	v_cmp_gt_f32_e64 s4, |v21|, 1.0
	v_fmaak_f32 v26, s13, v24, 0xbc7a590c
	v_mul_f32_e32 v27, v13, v13
	v_fmaak_f32 v28, s13, v18, 0xbc7a590c
	v_mul_f32_e32 v29, v14, v14
	v_cndmask_b32_e64 v12, |v20|, v12, s3
	v_cmp_gt_f32_e64 s5, |v15|, 1.0
	v_cndmask_b32_e64 v20, |v21|, v22, s4
	v_cmp_gt_f32_e64 s6, |v23|, 1.0
	v_fmaak_f32 v21, v24, v26, 0x3d29fb3f
	v_fmaak_f32 v22, s13, v27, 0xbc7a590c
	v_fmaak_f32 v26, v18, v28, 0x3d29fb3f
	v_fmaak_f32 v28, s13, v29, 0xbc7a590c
	v_mul_f32_e32 v30, v12, v12
	v_cndmask_b32_e64 v15, |v15|, v19, s5
	v_mul_f32_e32 v19, v20, v20
	v_cndmask_b32_e64 v23, |v23|, v25, s6
	v_fmaak_f32 v21, v24, v21, 0xbd97d4d7
	v_fmaak_f32 v22, v27, v22, 0x3d29fb3f
	;; [unrolled: 1-line block ×5, first 2 shown]
	v_mul_f32_e32 v31, v15, v15
	v_fmaak_f32 v32, s13, v19, 0xbc7a590c
	v_mul_f32_e32 v33, v23, v23
	v_fmaak_f32 v21, v24, v21, 0x3dd931b2
	v_fmaak_f32 v22, v27, v22, 0xbd97d4d7
	;; [unrolled: 1-line block ×32, first 2 shown]
	v_mul_f32_e32 v21, v24, v21
	v_fmaak_f32 v22, v27, v22, 0xbeaaaa62
	v_mul_f32_e32 v18, v18, v25
	v_fmaak_f32 v24, v29, v26, 0xbeaaaa62
	v_fmaak_f32 v25, v30, v28, 0x3e4cb8bf
	;; [unrolled: 1-line block ×5, first 2 shown]
	v_fmac_f32_e32 v8, v8, v21
	v_mul_f32_e32 v21, v27, v22
	v_fmac_f32_e32 v9, v9, v18
	v_mul_f32_e32 v18, v29, v24
	v_fmaak_f32 v22, v30, v25, 0xbeaaaa62
	v_fmaak_f32 v24, v31, v26, 0x3e4cb8bf
	;; [unrolled: 1-line block ×4, first 2 shown]
	v_fmac_f32_e32 v13, v13, v21
	v_sub_f32_e32 v21, 0x3fc90fdb, v9
	v_fmac_f32_e32 v14, v14, v18
	v_mul_f32_e32 v18, v30, v22
	v_fmaak_f32 v22, v31, v24, 0xbeaaaa62
	v_sub_f32_e32 v27, 0x3fc90fdb, v8
	v_mul_f32_e32 v19, v19, v25
	v_fmaak_f32 v24, v33, v26, 0xbeaaaa62
	v_cndmask_b32_e64 v9, v9, v21, s0
	v_fmac_f32_e32 v12, v12, v18
	v_mul_f32_e32 v18, v31, v22
	v_cndmask_b32_e32 v8, v8, v27, vcc_lo
	v_sub_f32_e32 v25, 0x3fc90fdb, v13
	v_fmac_f32_e32 v20, v20, v19
	v_mul_f32_e32 v19, v33, v24
	v_sub_f32_e32 v21, 0x3fc90fdb, v14
	v_cvt_f16_f32_e32 v9, v9
	v_fmac_f32_e32 v15, v15, v18
	v_cvt_f16_f32_e32 v8, v8
	v_cndmask_b32_e64 v13, v13, v25, s1
	v_fmac_f32_e32 v23, v23, v19
	v_cndmask_b32_e64 v14, v14, v21, s2
	v_sub_f32_e32 v21, 0x3fc90fdb, v12
	v_bfi_b32 v5, 0x7fff, v9, v5
	v_sub_f32_e32 v9, 0x3fc90fdb, v15
	v_sub_f32_e32 v18, 0x3fc90fdb, v20
	v_bfi_b32 v4, 0x7fff, v8, v4
	v_cvt_f16_f32_e32 v8, v13
	v_sub_f32_e32 v13, 0x3fc90fdb, v23
	v_cndmask_b32_e64 v12, v12, v21, s3
	v_cndmask_b32_e64 v9, v15, v9, s5
	;; [unrolled: 1-line block ×3, first 2 shown]
	v_cvt_f16_f32_e32 v14, v14
	v_cndmask_b32_e64 v13, v23, v13, s6
	v_bfi_b32 v8, 0x7fff, v8, v2
	v_cvt_f16_f32_e32 v2, v12
	v_cvt_f16_f32_e32 v9, v9
	;; [unrolled: 1-line block ×4, first 2 shown]
	v_bfi_b32 v7, 0x7fff, v14, v7
	v_bfi_b32 v6, 0x7fff, v2, v6
	;; [unrolled: 1-line block ×5, first 2 shown]
	v_add_co_u32 v1, vcc_lo, 0x800, v10
	v_pack_b32_f16 v4, v4, v8
	v_pack_b32_f16 v5, v5, v7
	v_add_co_ci_u32_e64 v2, null, 0, v11, vcc_lo
	v_pack_b32_f16 v6, v6, v9
	v_pack_b32_f16 v7, v12, v13
	s_mov_b32 s0, 0
	global_store_dword v3, v4, s[14:15]
	global_store_dword v3, v5, s[14:15] offset:1024
	global_store_dword v[1:2], v6, off
	global_store_dword v[1:2], v7, off offset:1024
.LBB19_2:
	s_andn2_b32 vcc_lo, exec_lo, s0
	s_cbranch_vccnz .LBB19_41
; %bb.3:
	v_cmp_gt_i32_e32 vcc_lo, s7, v0
	v_mov_b32_e32 v6, 0
	v_or_b32_e32 v1, s12, v0
	v_or_b32_e32 v3, 0x100, v0
	v_mov_b32_e32 v10, 0
	v_mov_b32_e32 v8, v0
	s_and_saveexec_b32 s1, vcc_lo
	s_cbranch_execz .LBB19_5
; %bb.4:
	v_mov_b32_e32 v2, 0
	v_or_b32_e32 v8, 0x100, v0
	v_lshlrev_b64 v[4:5], 1, v[1:2]
	v_add_co_u32 v4, s0, s10, v4
	v_add_co_ci_u32_e64 v5, null, s11, v5, s0
	global_load_ushort v2, v[4:5], off
	s_waitcnt vmcnt(0)
	v_cvt_f32_f16_e32 v10, v2
.LBB19_5:
	s_or_b32 exec_lo, exec_lo, s1
	s_mov_b32 s1, exec_lo
	v_cmpx_gt_i32_e64 s7, v8
	s_cbranch_execz .LBB19_7
; %bb.6:
	v_add_nc_u32_e32 v4, s12, v8
	v_mov_b32_e32 v5, 0
	v_add_nc_u32_e32 v8, 0x100, v8
	v_lshlrev_b64 v[4:5], 1, v[4:5]
	v_add_co_u32 v4, s0, s10, v4
	v_add_co_ci_u32_e64 v5, null, s11, v5, s0
	global_load_ushort v2, v[4:5], off
	s_waitcnt vmcnt(0)
	v_cvt_f32_f16_e32 v6, v2
.LBB19_7:
	s_or_b32 exec_lo, exec_lo, s1
	v_mov_b32_e32 v5, 0
	v_mov_b32_e32 v11, 0
	s_mov_b32 s1, exec_lo
	v_cmpx_gt_i32_e64 s7, v8
	s_cbranch_execz .LBB19_9
; %bb.8:
	v_add_nc_u32_e32 v11, s12, v8
	v_mov_b32_e32 v12, 0
	v_add_nc_u32_e32 v8, 0x100, v8
	v_lshlrev_b64 v[11:12], 1, v[11:12]
	v_add_co_u32 v11, s0, s10, v11
	v_add_co_ci_u32_e64 v12, null, s11, v12, s0
	global_load_ushort v2, v[11:12], off
	s_waitcnt vmcnt(0)
	v_cvt_f32_f16_e32 v11, v2
.LBB19_9:
	s_or_b32 exec_lo, exec_lo, s1
	s_mov_b32 s1, exec_lo
	v_cmpx_gt_i32_e64 s7, v8
	s_cbranch_execz .LBB19_11
; %bb.10:
	v_add_nc_u32_e32 v4, s12, v8
	v_mov_b32_e32 v5, 0
	v_add_nc_u32_e32 v8, 0x100, v8
	v_lshlrev_b64 v[4:5], 1, v[4:5]
	v_add_co_u32 v4, s0, s10, v4
	v_add_co_ci_u32_e64 v5, null, s11, v5, s0
	global_load_ushort v2, v[4:5], off
	s_waitcnt vmcnt(0)
	v_cvt_f32_f16_e32 v5, v2
.LBB19_11:
	s_or_b32 exec_lo, exec_lo, s1
	v_mov_b32_e32 v4, 0
	v_mov_b32_e32 v9, 0
	s_mov_b32 s1, exec_lo
	v_cmpx_gt_i32_e64 s7, v8
	s_cbranch_execz .LBB19_13
; %bb.12:
	v_add_nc_u32_e32 v12, s12, v8
	v_mov_b32_e32 v13, 0
	v_add_nc_u32_e32 v8, 0x100, v8
	v_lshlrev_b64 v[12:13], 1, v[12:13]
	v_add_co_u32 v12, s0, s10, v12
	v_add_co_ci_u32_e64 v13, null, s11, v13, s0
	global_load_ushort v2, v[12:13], off
	s_waitcnt vmcnt(0)
	v_cvt_f32_f16_e32 v9, v2
.LBB19_13:
	s_or_b32 exec_lo, exec_lo, s1
	s_mov_b32 s1, exec_lo
	v_cmpx_gt_i32_e64 s7, v8
	s_cbranch_execz .LBB19_15
; %bb.14:
	v_add_nc_u32_e32 v12, s12, v8
	v_mov_b32_e32 v13, 0
	v_add_nc_u32_e32 v8, 0x100, v8
	v_lshlrev_b64 v[12:13], 1, v[12:13]
	v_add_co_u32 v12, s0, s10, v12
	v_add_co_ci_u32_e64 v13, null, s11, v13, s0
	global_load_ushort v2, v[12:13], off
	s_waitcnt vmcnt(0)
	v_cvt_f32_f16_e32 v4, v2
.LBB19_15:
	s_or_b32 exec_lo, exec_lo, s1
	v_mov_b32_e32 v2, 0
	v_mov_b32_e32 v7, 0
	s_mov_b32 s1, exec_lo
	v_cmpx_gt_i32_e64 s7, v8
	s_cbranch_execz .LBB19_42
; %bb.16:
	v_add_nc_u32_e32 v12, s12, v8
	v_mov_b32_e32 v13, 0
	v_add_nc_u32_e32 v8, 0x100, v8
	v_lshlrev_b64 v[12:13], 1, v[12:13]
	v_add_co_u32 v12, s0, s10, v12
	v_add_co_ci_u32_e64 v13, null, s11, v13, s0
	global_load_ushort v7, v[12:13], off
	s_waitcnt vmcnt(0)
	v_cvt_f32_f16_e32 v7, v7
	s_or_b32 exec_lo, exec_lo, s1
	s_mov_b32 s1, exec_lo
	v_cmpx_gt_i32_e64 s7, v8
	s_cbranch_execnz .LBB19_43
.LBB19_17:
	s_or_b32 exec_lo, exec_lo, s1
                                        ; implicit-def: $vgpr8
	s_and_saveexec_b32 s1, vcc_lo
	s_cbranch_execz .LBB19_19
.LBB19_18:
	v_rcp_f32_e64 v8, |v10|
	v_cmp_gt_f32_e64 s0, |v10|, 1.0
	s_mov_b32 s2, 0x3b2d2a58
	v_cndmask_b32_e64 v8, |v10|, v8, s0
	v_lshrrev_b32_e32 v10, 16, v10
	v_mul_f32_e32 v12, v8, v8
	v_fmaak_f32 v13, s2, v12, 0xbc7a590c
	v_fmaak_f32 v13, v12, v13, 0x3d29fb3f
	;; [unrolled: 1-line block ×7, first 2 shown]
	v_mul_f32_e32 v12, v12, v13
	v_fmac_f32_e32 v8, v8, v12
	v_sub_f32_e32 v12, 0x3fc90fdb, v8
	v_cndmask_b32_e64 v8, v8, v12, s0
	v_cvt_f16_f32_e32 v8, v8
	v_bfi_b32 v8, 0x7fff, v8, v10
.LBB19_19:
	s_or_b32 exec_lo, exec_lo, s1
	s_mov_b32 s1, exec_lo
                                        ; implicit-def: $vgpr10
	v_cmpx_gt_i32_e64 s7, v3
	s_cbranch_execz .LBB19_21
; %bb.20:
	v_rcp_f32_e64 v10, |v6|
	v_cmp_gt_f32_e64 s0, |v6|, 1.0
	s_mov_b32 s2, 0x3b2d2a58
	v_cndmask_b32_e64 v10, |v6|, v10, s0
	v_lshrrev_b32_e32 v6, 16, v6
	v_mul_f32_e32 v12, v10, v10
	v_fmaak_f32 v13, s2, v12, 0xbc7a590c
	v_fmaak_f32 v13, v12, v13, 0x3d29fb3f
	;; [unrolled: 1-line block ×7, first 2 shown]
	v_mul_f32_e32 v12, v12, v13
	v_fmac_f32_e32 v10, v10, v12
	v_sub_f32_e32 v12, 0x3fc90fdb, v10
	v_cndmask_b32_e64 v10, v10, v12, s0
	v_cvt_f16_f32_e32 v10, v10
	v_bfi_b32 v10, 0x7fff, v10, v6
.LBB19_21:
	s_or_b32 exec_lo, exec_lo, s1
	v_or_b32_e32 v6, 0x200, v0
	v_cmp_gt_i32_e64 s0, s7, v6
                                        ; implicit-def: $vgpr6
	s_and_saveexec_b32 s1, s0
	s_cbranch_execz .LBB19_23
; %bb.22:
	v_rcp_f32_e64 v6, |v11|
	v_cmp_gt_f32_e64 s0, |v11|, 1.0
	s_mov_b32 s2, 0x3b2d2a58
	v_cndmask_b32_e64 v6, |v11|, v6, s0
	v_lshrrev_b32_e32 v11, 16, v11
	v_mul_f32_e32 v12, v6, v6
	v_fmaak_f32 v13, s2, v12, 0xbc7a590c
	v_fmaak_f32 v13, v12, v13, 0x3d29fb3f
	;; [unrolled: 1-line block ×7, first 2 shown]
	v_mul_f32_e32 v12, v12, v13
	v_fmac_f32_e32 v6, v6, v12
	v_sub_f32_e32 v12, 0x3fc90fdb, v6
	v_cndmask_b32_e64 v6, v6, v12, s0
	v_cvt_f16_f32_e32 v6, v6
	v_bfi_b32 v6, 0x7fff, v6, v11
.LBB19_23:
	s_or_b32 exec_lo, exec_lo, s1
	v_or_b32_e32 v11, 0x300, v0
	v_cmp_gt_i32_e64 s0, s7, v11
                                        ; implicit-def: $vgpr11
	s_and_saveexec_b32 s1, s0
	s_cbranch_execz .LBB19_25
; %bb.24:
	v_rcp_f32_e64 v11, |v5|
	v_cmp_gt_f32_e64 s0, |v5|, 1.0
	s_mov_b32 s2, 0x3b2d2a58
	v_cndmask_b32_e64 v11, |v5|, v11, s0
	v_lshrrev_b32_e32 v5, 16, v5
	v_mul_f32_e32 v12, v11, v11
	v_fmaak_f32 v13, s2, v12, 0xbc7a590c
	v_fmaak_f32 v13, v12, v13, 0x3d29fb3f
	;; [unrolled: 1-line block ×7, first 2 shown]
	v_mul_f32_e32 v12, v12, v13
	v_fmac_f32_e32 v11, v11, v12
	v_sub_f32_e32 v12, 0x3fc90fdb, v11
	v_cndmask_b32_e64 v11, v11, v12, s0
	v_cvt_f16_f32_e32 v11, v11
	v_bfi_b32 v11, 0x7fff, v11, v5
.LBB19_25:
	s_or_b32 exec_lo, exec_lo, s1
	v_or_b32_e32 v5, 0x400, v0
	v_cmp_gt_i32_e64 s0, s7, v5
                                        ; implicit-def: $vgpr5
	s_and_saveexec_b32 s1, s0
	s_cbranch_execz .LBB19_27
; %bb.26:
	v_rcp_f32_e64 v5, |v9|
	v_cmp_gt_f32_e64 s0, |v9|, 1.0
	s_mov_b32 s2, 0x3b2d2a58
	v_cndmask_b32_e64 v5, |v9|, v5, s0
	v_lshrrev_b32_e32 v9, 16, v9
	v_mul_f32_e32 v12, v5, v5
	v_fmaak_f32 v13, s2, v12, 0xbc7a590c
	v_fmaak_f32 v13, v12, v13, 0x3d29fb3f
	;; [unrolled: 1-line block ×7, first 2 shown]
	v_mul_f32_e32 v12, v12, v13
	v_fmac_f32_e32 v5, v5, v12
	v_sub_f32_e32 v12, 0x3fc90fdb, v5
	v_cndmask_b32_e64 v5, v5, v12, s0
	v_cvt_f16_f32_e32 v5, v5
	v_bfi_b32 v5, 0x7fff, v5, v9
.LBB19_27:
	s_or_b32 exec_lo, exec_lo, s1
	v_or_b32_e32 v9, 0x500, v0
	v_cmp_gt_i32_e64 s0, s7, v9
                                        ; implicit-def: $vgpr9
	s_and_saveexec_b32 s1, s0
	s_cbranch_execz .LBB19_29
; %bb.28:
	v_rcp_f32_e64 v9, |v4|
	v_cmp_gt_f32_e64 s0, |v4|, 1.0
	s_mov_b32 s2, 0x3b2d2a58
	v_cndmask_b32_e64 v9, |v4|, v9, s0
	v_lshrrev_b32_e32 v4, 16, v4
	v_mul_f32_e32 v12, v9, v9
	v_fmaak_f32 v13, s2, v12, 0xbc7a590c
	v_fmaak_f32 v13, v12, v13, 0x3d29fb3f
	;; [unrolled: 1-line block ×7, first 2 shown]
	v_mul_f32_e32 v12, v12, v13
	v_fmac_f32_e32 v9, v9, v12
	v_sub_f32_e32 v12, 0x3fc90fdb, v9
	v_cndmask_b32_e64 v9, v9, v12, s0
	v_cvt_f16_f32_e32 v9, v9
	v_bfi_b32 v9, 0x7fff, v9, v4
.LBB19_29:
	s_or_b32 exec_lo, exec_lo, s1
	v_or_b32_e32 v4, 0x600, v0
	v_cmp_gt_i32_e64 s0, s7, v4
                                        ; implicit-def: $vgpr4
	s_and_saveexec_b32 s1, s0
	s_cbranch_execz .LBB19_31
; %bb.30:
	v_rcp_f32_e64 v4, |v7|
	v_cmp_gt_f32_e64 s0, |v7|, 1.0
	s_mov_b32 s2, 0x3b2d2a58
	v_cndmask_b32_e64 v4, |v7|, v4, s0
	v_lshrrev_b32_e32 v7, 16, v7
	v_mul_f32_e32 v12, v4, v4
	v_fmaak_f32 v13, s2, v12, 0xbc7a590c
	v_fmaak_f32 v13, v12, v13, 0x3d29fb3f
	v_fmaak_f32 v13, v12, v13, 0xbd97d4d7
	v_fmaak_f32 v13, v12, v13, 0x3dd931b2
	v_fmaak_f32 v13, v12, v13, 0xbe1160e6
	v_fmaak_f32 v13, v12, v13, 0x3e4cb8bf
	v_fmaak_f32 v13, v12, v13, 0xbeaaaa62
	v_mul_f32_e32 v12, v12, v13
	v_fmac_f32_e32 v4, v4, v12
	v_sub_f32_e32 v12, 0x3fc90fdb, v4
	v_cndmask_b32_e64 v4, v4, v12, s0
	v_cvt_f16_f32_e32 v4, v4
	v_bfi_b32 v4, 0x7fff, v4, v7
.LBB19_31:
	s_or_b32 exec_lo, exec_lo, s1
	v_or_b32_e32 v7, 0x700, v0
	v_cmp_gt_i32_e64 s0, s7, v7
                                        ; implicit-def: $vgpr7
	s_and_saveexec_b32 s1, s0
	s_cbranch_execz .LBB19_44
; %bb.32:
	v_rcp_f32_e64 v7, |v2|
	v_cmp_gt_f32_e64 s0, |v2|, 1.0
	s_mov_b32 s2, 0x3b2d2a58
	v_cndmask_b32_e64 v7, |v2|, v7, s0
	v_lshrrev_b32_e32 v2, 16, v2
	v_mul_f32_e32 v12, v7, v7
	v_fmaak_f32 v13, s2, v12, 0xbc7a590c
	v_fmaak_f32 v13, v12, v13, 0x3d29fb3f
	;; [unrolled: 1-line block ×7, first 2 shown]
	v_mul_f32_e32 v12, v12, v13
	v_fmac_f32_e32 v7, v7, v12
	v_sub_f32_e32 v12, 0x3fc90fdb, v7
	v_cndmask_b32_e64 v7, v7, v12, s0
	v_cvt_f16_f32_e32 v7, v7
	v_bfi_b32 v7, 0x7fff, v7, v2
	s_or_b32 exec_lo, exec_lo, s1
	s_and_saveexec_b32 s0, vcc_lo
	s_xor_b32 s0, exec_lo, s0
	s_cbranch_execnz .LBB19_45
.LBB19_33:
	s_or_b32 exec_lo, exec_lo, s0
	s_mov_b32 s0, exec_lo
	v_cmpx_gt_i32_e64 s7, v0
	s_cbranch_execz .LBB19_46
.LBB19_34:
	v_add_nc_u32_e32 v1, s12, v0
	v_mov_b32_e32 v2, 0
	v_add_nc_u32_e32 v0, 0x100, v0
	v_lshlrev_b64 v[1:2], 1, v[1:2]
	v_add_co_u32 v1, vcc_lo, s8, v1
	v_add_co_ci_u32_e64 v2, null, s9, v2, vcc_lo
	global_store_short v[1:2], v10, off
	s_or_b32 exec_lo, exec_lo, s0
	s_mov_b32 s0, exec_lo
	v_cmpx_gt_i32_e64 s7, v0
	s_cbranch_execnz .LBB19_47
.LBB19_35:
	s_or_b32 exec_lo, exec_lo, s0
	s_mov_b32 s0, exec_lo
	v_cmpx_gt_i32_e64 s7, v0
	s_cbranch_execz .LBB19_48
.LBB19_36:
	v_add_nc_u32_e32 v1, s12, v0
	v_mov_b32_e32 v2, 0
	v_add_nc_u32_e32 v0, 0x100, v0
	v_lshlrev_b64 v[1:2], 1, v[1:2]
	v_add_co_u32 v1, vcc_lo, s8, v1
	v_add_co_ci_u32_e64 v2, null, s9, v2, vcc_lo
	global_store_short v[1:2], v11, off
	s_or_b32 exec_lo, exec_lo, s0
	s_mov_b32 s0, exec_lo
	v_cmpx_gt_i32_e64 s7, v0
	s_cbranch_execnz .LBB19_49
.LBB19_37:
	s_or_b32 exec_lo, exec_lo, s0
	s_mov_b32 s0, exec_lo
	v_cmpx_gt_i32_e64 s7, v0
	s_cbranch_execz .LBB19_50
.LBB19_38:
	v_add_nc_u32_e32 v1, s12, v0
	v_mov_b32_e32 v2, 0
	v_add_nc_u32_e32 v0, 0x100, v0
	v_lshlrev_b64 v[1:2], 1, v[1:2]
	v_add_co_u32 v1, vcc_lo, s8, v1
	v_add_co_ci_u32_e64 v2, null, s9, v2, vcc_lo
	global_store_short v[1:2], v9, off
	s_or_b32 exec_lo, exec_lo, s0
	s_mov_b32 s0, exec_lo
	v_cmpx_gt_i32_e64 s7, v0
	s_cbranch_execnz .LBB19_51
.LBB19_39:
	s_or_b32 exec_lo, exec_lo, s0
	s_mov_b32 s0, exec_lo
	v_cmpx_gt_i32_e64 s7, v0
	s_cbranch_execz .LBB19_41
.LBB19_40:
	v_add_nc_u32_e32 v0, s12, v0
	v_mov_b32_e32 v1, 0
	v_lshlrev_b64 v[0:1], 1, v[0:1]
	v_add_co_u32 v0, vcc_lo, s8, v0
	v_add_co_ci_u32_e64 v1, null, s9, v1, vcc_lo
	global_store_short v[0:1], v7, off
.LBB19_41:
	s_endpgm
.LBB19_42:
	s_or_b32 exec_lo, exec_lo, s1
	s_mov_b32 s1, exec_lo
	v_cmpx_gt_i32_e64 s7, v8
	s_cbranch_execz .LBB19_17
.LBB19_43:
	v_add_nc_u32_e32 v12, s12, v8
	v_mov_b32_e32 v13, 0
	v_lshlrev_b64 v[12:13], 1, v[12:13]
	v_add_co_u32 v12, s0, s10, v12
	v_add_co_ci_u32_e64 v13, null, s11, v13, s0
	global_load_ushort v2, v[12:13], off
	s_waitcnt vmcnt(0)
	v_cvt_f32_f16_e32 v2, v2
	s_or_b32 exec_lo, exec_lo, s1
                                        ; implicit-def: $vgpr8
	s_and_saveexec_b32 s1, vcc_lo
	s_cbranch_execz .LBB19_19
	s_branch .LBB19_18
.LBB19_44:
	s_or_b32 exec_lo, exec_lo, s1
	s_and_saveexec_b32 s0, vcc_lo
	s_xor_b32 s0, exec_lo, s0
	s_cbranch_execz .LBB19_33
.LBB19_45:
	v_mov_b32_e32 v2, 0
	v_lshlrev_b64 v[0:1], 1, v[1:2]
	v_add_co_u32 v12, vcc_lo, s8, v0
	v_add_co_ci_u32_e64 v13, null, s9, v1, vcc_lo
	v_mov_b32_e32 v0, v3
	global_store_short v[12:13], v8, off
	s_or_b32 exec_lo, exec_lo, s0
	s_mov_b32 s0, exec_lo
	v_cmpx_gt_i32_e64 s7, v0
	s_cbranch_execnz .LBB19_34
.LBB19_46:
	s_or_b32 exec_lo, exec_lo, s0
	s_mov_b32 s0, exec_lo
	v_cmpx_gt_i32_e64 s7, v0
	s_cbranch_execz .LBB19_35
.LBB19_47:
	v_add_nc_u32_e32 v1, s12, v0
	v_mov_b32_e32 v2, 0
	v_add_nc_u32_e32 v0, 0x100, v0
	v_lshlrev_b64 v[1:2], 1, v[1:2]
	v_add_co_u32 v1, vcc_lo, s8, v1
	v_add_co_ci_u32_e64 v2, null, s9, v2, vcc_lo
	global_store_short v[1:2], v6, off
	s_or_b32 exec_lo, exec_lo, s0
	s_mov_b32 s0, exec_lo
	v_cmpx_gt_i32_e64 s7, v0
	s_cbranch_execnz .LBB19_36
.LBB19_48:
	s_or_b32 exec_lo, exec_lo, s0
	s_mov_b32 s0, exec_lo
	v_cmpx_gt_i32_e64 s7, v0
	s_cbranch_execz .LBB19_37
.LBB19_49:
	v_add_nc_u32_e32 v1, s12, v0
	v_mov_b32_e32 v2, 0
	v_add_nc_u32_e32 v0, 0x100, v0
	v_lshlrev_b64 v[1:2], 1, v[1:2]
	v_add_co_u32 v1, vcc_lo, s8, v1
	v_add_co_ci_u32_e64 v2, null, s9, v2, vcc_lo
	global_store_short v[1:2], v5, off
	s_or_b32 exec_lo, exec_lo, s0
	s_mov_b32 s0, exec_lo
	v_cmpx_gt_i32_e64 s7, v0
	s_cbranch_execnz .LBB19_38
.LBB19_50:
	s_or_b32 exec_lo, exec_lo, s0
	s_mov_b32 s0, exec_lo
	v_cmpx_gt_i32_e64 s7, v0
	s_cbranch_execz .LBB19_39
.LBB19_51:
	v_add_nc_u32_e32 v1, s12, v0
	v_mov_b32_e32 v2, 0
	v_add_nc_u32_e32 v0, 0x100, v0
	v_lshlrev_b64 v[1:2], 1, v[1:2]
	v_add_co_u32 v1, vcc_lo, s8, v1
	v_add_co_ci_u32_e64 v2, null, s9, v2, vcc_lo
	global_store_short v[1:2], v4, off
	s_or_b32 exec_lo, exec_lo, s0
	s_mov_b32 s0, exec_lo
	v_cmpx_gt_i32_e64 s7, v0
	s_cbranch_execnz .LBB19_40
	s_branch .LBB19_41
	.section	.rodata,"a",@progbits
	.p2align	6, 0x0
	.amdhsa_kernel _ZN2at6native29vectorized_elementwise_kernelILi2EZZZNS0_16atan_kernel_cudaERNS_18TensorIteratorBaseEENKUlvE0_clEvENKUlvE1_clEvEUlN3c104HalfEE_St5arrayIPcLm2EEEEviT0_T1_
		.amdhsa_group_segment_fixed_size 0
		.amdhsa_private_segment_fixed_size 0
		.amdhsa_kernarg_size 24
		.amdhsa_user_sgpr_count 6
		.amdhsa_user_sgpr_private_segment_buffer 1
		.amdhsa_user_sgpr_dispatch_ptr 0
		.amdhsa_user_sgpr_queue_ptr 0
		.amdhsa_user_sgpr_kernarg_segment_ptr 1
		.amdhsa_user_sgpr_dispatch_id 0
		.amdhsa_user_sgpr_flat_scratch_init 0
		.amdhsa_user_sgpr_private_segment_size 0
		.amdhsa_wavefront_size32 1
		.amdhsa_uses_dynamic_stack 0
		.amdhsa_system_sgpr_private_segment_wavefront_offset 0
		.amdhsa_system_sgpr_workgroup_id_x 1
		.amdhsa_system_sgpr_workgroup_id_y 0
		.amdhsa_system_sgpr_workgroup_id_z 0
		.amdhsa_system_sgpr_workgroup_info 0
		.amdhsa_system_vgpr_workitem_id 0
		.amdhsa_next_free_vgpr 36
		.amdhsa_next_free_sgpr 16
		.amdhsa_reserve_vcc 1
		.amdhsa_reserve_flat_scratch 0
		.amdhsa_float_round_mode_32 0
		.amdhsa_float_round_mode_16_64 0
		.amdhsa_float_denorm_mode_32 3
		.amdhsa_float_denorm_mode_16_64 3
		.amdhsa_dx10_clamp 1
		.amdhsa_ieee_mode 1
		.amdhsa_fp16_overflow 0
		.amdhsa_workgroup_processor_mode 1
		.amdhsa_memory_ordered 1
		.amdhsa_forward_progress 1
		.amdhsa_shared_vgpr_count 0
		.amdhsa_exception_fp_ieee_invalid_op 0
		.amdhsa_exception_fp_denorm_src 0
		.amdhsa_exception_fp_ieee_div_zero 0
		.amdhsa_exception_fp_ieee_overflow 0
		.amdhsa_exception_fp_ieee_underflow 0
		.amdhsa_exception_fp_ieee_inexact 0
		.amdhsa_exception_int_div_zero 0
	.end_amdhsa_kernel
	.section	.text._ZN2at6native29vectorized_elementwise_kernelILi2EZZZNS0_16atan_kernel_cudaERNS_18TensorIteratorBaseEENKUlvE0_clEvENKUlvE1_clEvEUlN3c104HalfEE_St5arrayIPcLm2EEEEviT0_T1_,"axG",@progbits,_ZN2at6native29vectorized_elementwise_kernelILi2EZZZNS0_16atan_kernel_cudaERNS_18TensorIteratorBaseEENKUlvE0_clEvENKUlvE1_clEvEUlN3c104HalfEE_St5arrayIPcLm2EEEEviT0_T1_,comdat
.Lfunc_end19:
	.size	_ZN2at6native29vectorized_elementwise_kernelILi2EZZZNS0_16atan_kernel_cudaERNS_18TensorIteratorBaseEENKUlvE0_clEvENKUlvE1_clEvEUlN3c104HalfEE_St5arrayIPcLm2EEEEviT0_T1_, .Lfunc_end19-_ZN2at6native29vectorized_elementwise_kernelILi2EZZZNS0_16atan_kernel_cudaERNS_18TensorIteratorBaseEENKUlvE0_clEvENKUlvE1_clEvEUlN3c104HalfEE_St5arrayIPcLm2EEEEviT0_T1_
                                        ; -- End function
	.set _ZN2at6native29vectorized_elementwise_kernelILi2EZZZNS0_16atan_kernel_cudaERNS_18TensorIteratorBaseEENKUlvE0_clEvENKUlvE1_clEvEUlN3c104HalfEE_St5arrayIPcLm2EEEEviT0_T1_.num_vgpr, 36
	.set _ZN2at6native29vectorized_elementwise_kernelILi2EZZZNS0_16atan_kernel_cudaERNS_18TensorIteratorBaseEENKUlvE0_clEvENKUlvE1_clEvEUlN3c104HalfEE_St5arrayIPcLm2EEEEviT0_T1_.num_agpr, 0
	.set _ZN2at6native29vectorized_elementwise_kernelILi2EZZZNS0_16atan_kernel_cudaERNS_18TensorIteratorBaseEENKUlvE0_clEvENKUlvE1_clEvEUlN3c104HalfEE_St5arrayIPcLm2EEEEviT0_T1_.numbered_sgpr, 16
	.set _ZN2at6native29vectorized_elementwise_kernelILi2EZZZNS0_16atan_kernel_cudaERNS_18TensorIteratorBaseEENKUlvE0_clEvENKUlvE1_clEvEUlN3c104HalfEE_St5arrayIPcLm2EEEEviT0_T1_.num_named_barrier, 0
	.set _ZN2at6native29vectorized_elementwise_kernelILi2EZZZNS0_16atan_kernel_cudaERNS_18TensorIteratorBaseEENKUlvE0_clEvENKUlvE1_clEvEUlN3c104HalfEE_St5arrayIPcLm2EEEEviT0_T1_.private_seg_size, 0
	.set _ZN2at6native29vectorized_elementwise_kernelILi2EZZZNS0_16atan_kernel_cudaERNS_18TensorIteratorBaseEENKUlvE0_clEvENKUlvE1_clEvEUlN3c104HalfEE_St5arrayIPcLm2EEEEviT0_T1_.uses_vcc, 1
	.set _ZN2at6native29vectorized_elementwise_kernelILi2EZZZNS0_16atan_kernel_cudaERNS_18TensorIteratorBaseEENKUlvE0_clEvENKUlvE1_clEvEUlN3c104HalfEE_St5arrayIPcLm2EEEEviT0_T1_.uses_flat_scratch, 0
	.set _ZN2at6native29vectorized_elementwise_kernelILi2EZZZNS0_16atan_kernel_cudaERNS_18TensorIteratorBaseEENKUlvE0_clEvENKUlvE1_clEvEUlN3c104HalfEE_St5arrayIPcLm2EEEEviT0_T1_.has_dyn_sized_stack, 0
	.set _ZN2at6native29vectorized_elementwise_kernelILi2EZZZNS0_16atan_kernel_cudaERNS_18TensorIteratorBaseEENKUlvE0_clEvENKUlvE1_clEvEUlN3c104HalfEE_St5arrayIPcLm2EEEEviT0_T1_.has_recursion, 0
	.set _ZN2at6native29vectorized_elementwise_kernelILi2EZZZNS0_16atan_kernel_cudaERNS_18TensorIteratorBaseEENKUlvE0_clEvENKUlvE1_clEvEUlN3c104HalfEE_St5arrayIPcLm2EEEEviT0_T1_.has_indirect_call, 0
	.section	.AMDGPU.csdata,"",@progbits
; Kernel info:
; codeLenInByte = 3968
; TotalNumSgprs: 18
; NumVgprs: 36
; ScratchSize: 0
; MemoryBound: 0
; FloatMode: 240
; IeeeMode: 1
; LDSByteSize: 0 bytes/workgroup (compile time only)
; SGPRBlocks: 0
; VGPRBlocks: 4
; NumSGPRsForWavesPerEU: 18
; NumVGPRsForWavesPerEU: 36
; Occupancy: 16
; WaveLimiterHint : 1
; COMPUTE_PGM_RSRC2:SCRATCH_EN: 0
; COMPUTE_PGM_RSRC2:USER_SGPR: 6
; COMPUTE_PGM_RSRC2:TRAP_HANDLER: 0
; COMPUTE_PGM_RSRC2:TGID_X_EN: 1
; COMPUTE_PGM_RSRC2:TGID_Y_EN: 0
; COMPUTE_PGM_RSRC2:TGID_Z_EN: 0
; COMPUTE_PGM_RSRC2:TIDIG_COMP_CNT: 0
	.section	.text._ZN2at6native27unrolled_elementwise_kernelIZZZNS0_16atan_kernel_cudaERNS_18TensorIteratorBaseEENKUlvE0_clEvENKUlvE1_clEvEUlN3c104HalfEE_St5arrayIPcLm2EELi4E23TrivialOffsetCalculatorILi1EjESD_NS0_6memory15LoadWithoutCastENSE_16StoreWithoutCastEEEviT_T0_T2_T3_T4_T5_,"axG",@progbits,_ZN2at6native27unrolled_elementwise_kernelIZZZNS0_16atan_kernel_cudaERNS_18TensorIteratorBaseEENKUlvE0_clEvENKUlvE1_clEvEUlN3c104HalfEE_St5arrayIPcLm2EELi4E23TrivialOffsetCalculatorILi1EjESD_NS0_6memory15LoadWithoutCastENSE_16StoreWithoutCastEEEviT_T0_T2_T3_T4_T5_,comdat
	.globl	_ZN2at6native27unrolled_elementwise_kernelIZZZNS0_16atan_kernel_cudaERNS_18TensorIteratorBaseEENKUlvE0_clEvENKUlvE1_clEvEUlN3c104HalfEE_St5arrayIPcLm2EELi4E23TrivialOffsetCalculatorILi1EjESD_NS0_6memory15LoadWithoutCastENSE_16StoreWithoutCastEEEviT_T0_T2_T3_T4_T5_ ; -- Begin function _ZN2at6native27unrolled_elementwise_kernelIZZZNS0_16atan_kernel_cudaERNS_18TensorIteratorBaseEENKUlvE0_clEvENKUlvE1_clEvEUlN3c104HalfEE_St5arrayIPcLm2EELi4E23TrivialOffsetCalculatorILi1EjESD_NS0_6memory15LoadWithoutCastENSE_16StoreWithoutCastEEEviT_T0_T2_T3_T4_T5_
	.p2align	8
	.type	_ZN2at6native27unrolled_elementwise_kernelIZZZNS0_16atan_kernel_cudaERNS_18TensorIteratorBaseEENKUlvE0_clEvENKUlvE1_clEvEUlN3c104HalfEE_St5arrayIPcLm2EELi4E23TrivialOffsetCalculatorILi1EjESD_NS0_6memory15LoadWithoutCastENSE_16StoreWithoutCastEEEviT_T0_T2_T3_T4_T5_,@function
_ZN2at6native27unrolled_elementwise_kernelIZZZNS0_16atan_kernel_cudaERNS_18TensorIteratorBaseEENKUlvE0_clEvENKUlvE1_clEvEUlN3c104HalfEE_St5arrayIPcLm2EELi4E23TrivialOffsetCalculatorILi1EjESD_NS0_6memory15LoadWithoutCastENSE_16StoreWithoutCastEEEviT_T0_T2_T3_T4_T5_: ; @_ZN2at6native27unrolled_elementwise_kernelIZZZNS0_16atan_kernel_cudaERNS_18TensorIteratorBaseEENKUlvE0_clEvENKUlvE1_clEvEUlN3c104HalfEE_St5arrayIPcLm2EELi4E23TrivialOffsetCalculatorILi1EjESD_NS0_6memory15LoadWithoutCastENSE_16StoreWithoutCastEEEviT_T0_T2_T3_T4_T5_
; %bb.0:
	s_clause 0x1
	s_load_dword s0, s[4:5], 0x0
	s_load_dwordx4 s[8:11], s[4:5], 0x8
	s_lshl_b32 s1, s6, 10
	v_mov_b32_e32 v4, 0
	v_mov_b32_e32 v7, 0
	v_or_b32_e32 v1, s1, v0
	v_or_b32_e32 v3, 0x100, v0
	v_mov_b32_e32 v6, v0
	s_waitcnt lgkmcnt(0)
	s_sub_i32 s2, s0, s1
	v_cmp_gt_i32_e32 vcc_lo, s2, v0
	s_and_saveexec_b32 s3, vcc_lo
	s_cbranch_execz .LBB20_2
; %bb.1:
	v_mov_b32_e32 v2, 0
	v_lshlrev_b64 v[5:6], 1, v[1:2]
	v_add_co_u32 v5, s0, s10, v5
	v_add_co_ci_u32_e64 v6, null, s11, v6, s0
	global_load_ushort v2, v[5:6], off
	v_or_b32_e32 v6, 0x100, v0
	s_waitcnt vmcnt(0)
	v_cvt_f32_f16_e32 v7, v2
.LBB20_2:
	s_or_b32 exec_lo, exec_lo, s3
	s_mov_b32 s3, exec_lo
	v_cmpx_gt_i32_e64 s2, v6
	s_cbranch_execz .LBB20_4
; %bb.3:
	v_add_nc_u32_e32 v4, s1, v6
	v_mov_b32_e32 v5, 0
	v_add_nc_u32_e32 v6, 0x100, v6
	v_lshlrev_b64 v[4:5], 1, v[4:5]
	v_add_co_u32 v4, s0, s10, v4
	v_add_co_ci_u32_e64 v5, null, s11, v5, s0
	global_load_ushort v2, v[4:5], off
	s_waitcnt vmcnt(0)
	v_cvt_f32_f16_e32 v4, v2
.LBB20_4:
	s_or_b32 exec_lo, exec_lo, s3
	v_mov_b32_e32 v2, 0
	v_mov_b32_e32 v5, 0
	s_mov_b32 s3, exec_lo
	v_cmpx_gt_i32_e64 s2, v6
	s_cbranch_execz .LBB20_18
; %bb.5:
	v_add_nc_u32_e32 v8, s1, v6
	v_mov_b32_e32 v9, 0
	v_add_nc_u32_e32 v6, 0x100, v6
	v_lshlrev_b64 v[8:9], 1, v[8:9]
	v_add_co_u32 v8, s0, s10, v8
	v_add_co_ci_u32_e64 v9, null, s11, v9, s0
	global_load_ushort v5, v[8:9], off
	s_waitcnt vmcnt(0)
	v_cvt_f32_f16_e32 v5, v5
	s_or_b32 exec_lo, exec_lo, s3
	s_mov_b32 s3, exec_lo
	v_cmpx_gt_i32_e64 s2, v6
	s_cbranch_execnz .LBB20_19
.LBB20_6:
	s_or_b32 exec_lo, exec_lo, s3
                                        ; implicit-def: $vgpr6
	s_and_saveexec_b32 s3, vcc_lo
	s_cbranch_execz .LBB20_8
.LBB20_7:
	v_rcp_f32_e64 v6, |v7|
	v_cmp_gt_f32_e64 s0, |v7|, 1.0
	s_mov_b32 s4, 0x3b2d2a58
	v_cndmask_b32_e64 v6, |v7|, v6, s0
	v_lshrrev_b32_e32 v7, 16, v7
	v_mul_f32_e32 v8, v6, v6
	v_fmaak_f32 v9, s4, v8, 0xbc7a590c
	v_fmaak_f32 v9, v8, v9, 0x3d29fb3f
	v_fmaak_f32 v9, v8, v9, 0xbd97d4d7
	v_fmaak_f32 v9, v8, v9, 0x3dd931b2
	v_fmaak_f32 v9, v8, v9, 0xbe1160e6
	v_fmaak_f32 v9, v8, v9, 0x3e4cb8bf
	v_fmaak_f32 v9, v8, v9, 0xbeaaaa62
	v_mul_f32_e32 v8, v8, v9
	v_fmac_f32_e32 v6, v6, v8
	v_sub_f32_e32 v8, 0x3fc90fdb, v6
	v_cndmask_b32_e64 v6, v6, v8, s0
	v_cvt_f16_f32_e32 v6, v6
	v_bfi_b32 v6, 0x7fff, v6, v7
.LBB20_8:
	s_or_b32 exec_lo, exec_lo, s3
	s_mov_b32 s3, exec_lo
                                        ; implicit-def: $vgpr7
	v_cmpx_gt_i32_e64 s2, v3
	s_cbranch_execz .LBB20_10
; %bb.9:
	v_rcp_f32_e64 v7, |v4|
	v_cmp_gt_f32_e64 s0, |v4|, 1.0
	s_mov_b32 s4, 0x3b2d2a58
	v_cndmask_b32_e64 v7, |v4|, v7, s0
	v_lshrrev_b32_e32 v4, 16, v4
	v_mul_f32_e32 v8, v7, v7
	v_fmaak_f32 v9, s4, v8, 0xbc7a590c
	v_fmaak_f32 v9, v8, v9, 0x3d29fb3f
	;; [unrolled: 1-line block ×7, first 2 shown]
	v_mul_f32_e32 v8, v8, v9
	v_fmac_f32_e32 v7, v7, v8
	v_sub_f32_e32 v8, 0x3fc90fdb, v7
	v_cndmask_b32_e64 v7, v7, v8, s0
	v_cvt_f16_f32_e32 v7, v7
	v_bfi_b32 v7, 0x7fff, v7, v4
.LBB20_10:
	s_or_b32 exec_lo, exec_lo, s3
	v_or_b32_e32 v4, 0x200, v0
	v_cmp_gt_i32_e64 s0, s2, v4
                                        ; implicit-def: $vgpr4
	s_and_saveexec_b32 s3, s0
	s_cbranch_execz .LBB20_12
; %bb.11:
	v_rcp_f32_e64 v4, |v5|
	v_cmp_gt_f32_e64 s0, |v5|, 1.0
	s_mov_b32 s4, 0x3b2d2a58
	v_cndmask_b32_e64 v4, |v5|, v4, s0
	v_lshrrev_b32_e32 v5, 16, v5
	v_mul_f32_e32 v8, v4, v4
	v_fmaak_f32 v9, s4, v8, 0xbc7a590c
	v_fmaak_f32 v9, v8, v9, 0x3d29fb3f
	;; [unrolled: 1-line block ×7, first 2 shown]
	v_mul_f32_e32 v8, v8, v9
	v_fmac_f32_e32 v4, v4, v8
	v_sub_f32_e32 v8, 0x3fc90fdb, v4
	v_cndmask_b32_e64 v4, v4, v8, s0
	v_cvt_f16_f32_e32 v4, v4
	v_bfi_b32 v4, 0x7fff, v4, v5
.LBB20_12:
	s_or_b32 exec_lo, exec_lo, s3
	v_or_b32_e32 v5, 0x300, v0
	v_cmp_gt_i32_e64 s0, s2, v5
                                        ; implicit-def: $vgpr5
	s_and_saveexec_b32 s3, s0
	s_cbranch_execz .LBB20_20
; %bb.13:
	v_rcp_f32_e64 v5, |v2|
	v_cmp_gt_f32_e64 s0, |v2|, 1.0
	s_mov_b32 s4, 0x3b2d2a58
	v_cndmask_b32_e64 v5, |v2|, v5, s0
	v_lshrrev_b32_e32 v2, 16, v2
	v_mul_f32_e32 v8, v5, v5
	v_fmaak_f32 v9, s4, v8, 0xbc7a590c
	v_fmaak_f32 v9, v8, v9, 0x3d29fb3f
	;; [unrolled: 1-line block ×7, first 2 shown]
	v_mul_f32_e32 v8, v8, v9
	v_fmac_f32_e32 v5, v5, v8
	v_sub_f32_e32 v8, 0x3fc90fdb, v5
	v_cndmask_b32_e64 v5, v5, v8, s0
	v_cvt_f16_f32_e32 v5, v5
	v_bfi_b32 v5, 0x7fff, v5, v2
	s_or_b32 exec_lo, exec_lo, s3
	s_and_saveexec_b32 s0, vcc_lo
	s_xor_b32 s0, exec_lo, s0
	s_cbranch_execnz .LBB20_21
.LBB20_14:
	s_or_b32 exec_lo, exec_lo, s0
	s_mov_b32 s0, exec_lo
	v_cmpx_gt_i32_e64 s2, v0
	s_cbranch_execz .LBB20_22
.LBB20_15:
	v_add_nc_u32_e32 v1, s1, v0
	v_mov_b32_e32 v2, 0
	v_add_nc_u32_e32 v0, 0x100, v0
	v_lshlrev_b64 v[1:2], 1, v[1:2]
	v_add_co_u32 v1, vcc_lo, s8, v1
	v_add_co_ci_u32_e64 v2, null, s9, v2, vcc_lo
	global_store_short v[1:2], v7, off
	s_or_b32 exec_lo, exec_lo, s0
	s_mov_b32 s0, exec_lo
	v_cmpx_gt_i32_e64 s2, v0
	s_cbranch_execnz .LBB20_23
.LBB20_16:
	s_or_b32 exec_lo, exec_lo, s0
	s_mov_b32 s0, exec_lo
	v_cmpx_gt_i32_e64 s2, v0
	s_cbranch_execz .LBB20_24
.LBB20_17:
	v_add_nc_u32_e32 v0, s1, v0
	v_mov_b32_e32 v1, 0
	v_lshlrev_b64 v[0:1], 1, v[0:1]
	v_add_co_u32 v0, vcc_lo, s8, v0
	v_add_co_ci_u32_e64 v1, null, s9, v1, vcc_lo
	global_store_short v[0:1], v5, off
	s_endpgm
.LBB20_18:
	s_or_b32 exec_lo, exec_lo, s3
	s_mov_b32 s3, exec_lo
	v_cmpx_gt_i32_e64 s2, v6
	s_cbranch_execz .LBB20_6
.LBB20_19:
	v_add_nc_u32_e32 v8, s1, v6
	v_mov_b32_e32 v9, 0
	v_lshlrev_b64 v[8:9], 1, v[8:9]
	v_add_co_u32 v8, s0, s10, v8
	v_add_co_ci_u32_e64 v9, null, s11, v9, s0
	global_load_ushort v2, v[8:9], off
	s_waitcnt vmcnt(0)
	v_cvt_f32_f16_e32 v2, v2
	s_or_b32 exec_lo, exec_lo, s3
                                        ; implicit-def: $vgpr6
	s_and_saveexec_b32 s3, vcc_lo
	s_cbranch_execz .LBB20_8
	s_branch .LBB20_7
.LBB20_20:
	s_or_b32 exec_lo, exec_lo, s3
	s_and_saveexec_b32 s0, vcc_lo
	s_xor_b32 s0, exec_lo, s0
	s_cbranch_execz .LBB20_14
.LBB20_21:
	v_mov_b32_e32 v2, 0
	v_lshlrev_b64 v[0:1], 1, v[1:2]
	v_add_co_u32 v8, vcc_lo, s8, v0
	v_add_co_ci_u32_e64 v9, null, s9, v1, vcc_lo
	v_mov_b32_e32 v0, v3
	global_store_short v[8:9], v6, off
	s_or_b32 exec_lo, exec_lo, s0
	s_mov_b32 s0, exec_lo
	v_cmpx_gt_i32_e64 s2, v0
	s_cbranch_execnz .LBB20_15
.LBB20_22:
	s_or_b32 exec_lo, exec_lo, s0
	s_mov_b32 s0, exec_lo
	v_cmpx_gt_i32_e64 s2, v0
	s_cbranch_execz .LBB20_16
.LBB20_23:
	v_add_nc_u32_e32 v1, s1, v0
	v_mov_b32_e32 v2, 0
	v_add_nc_u32_e32 v0, 0x100, v0
	v_lshlrev_b64 v[1:2], 1, v[1:2]
	v_add_co_u32 v1, vcc_lo, s8, v1
	v_add_co_ci_u32_e64 v2, null, s9, v2, vcc_lo
	global_store_short v[1:2], v4, off
	s_or_b32 exec_lo, exec_lo, s0
	s_mov_b32 s0, exec_lo
	v_cmpx_gt_i32_e64 s2, v0
	s_cbranch_execnz .LBB20_17
.LBB20_24:
	s_endpgm
	.section	.rodata,"a",@progbits
	.p2align	6, 0x0
	.amdhsa_kernel _ZN2at6native27unrolled_elementwise_kernelIZZZNS0_16atan_kernel_cudaERNS_18TensorIteratorBaseEENKUlvE0_clEvENKUlvE1_clEvEUlN3c104HalfEE_St5arrayIPcLm2EELi4E23TrivialOffsetCalculatorILi1EjESD_NS0_6memory15LoadWithoutCastENSE_16StoreWithoutCastEEEviT_T0_T2_T3_T4_T5_
		.amdhsa_group_segment_fixed_size 0
		.amdhsa_private_segment_fixed_size 0
		.amdhsa_kernarg_size 28
		.amdhsa_user_sgpr_count 6
		.amdhsa_user_sgpr_private_segment_buffer 1
		.amdhsa_user_sgpr_dispatch_ptr 0
		.amdhsa_user_sgpr_queue_ptr 0
		.amdhsa_user_sgpr_kernarg_segment_ptr 1
		.amdhsa_user_sgpr_dispatch_id 0
		.amdhsa_user_sgpr_flat_scratch_init 0
		.amdhsa_user_sgpr_private_segment_size 0
		.amdhsa_wavefront_size32 1
		.amdhsa_uses_dynamic_stack 0
		.amdhsa_system_sgpr_private_segment_wavefront_offset 0
		.amdhsa_system_sgpr_workgroup_id_x 1
		.amdhsa_system_sgpr_workgroup_id_y 0
		.amdhsa_system_sgpr_workgroup_id_z 0
		.amdhsa_system_sgpr_workgroup_info 0
		.amdhsa_system_vgpr_workitem_id 0
		.amdhsa_next_free_vgpr 10
		.amdhsa_next_free_sgpr 12
		.amdhsa_reserve_vcc 1
		.amdhsa_reserve_flat_scratch 0
		.amdhsa_float_round_mode_32 0
		.amdhsa_float_round_mode_16_64 0
		.amdhsa_float_denorm_mode_32 3
		.amdhsa_float_denorm_mode_16_64 3
		.amdhsa_dx10_clamp 1
		.amdhsa_ieee_mode 1
		.amdhsa_fp16_overflow 0
		.amdhsa_workgroup_processor_mode 1
		.amdhsa_memory_ordered 1
		.amdhsa_forward_progress 1
		.amdhsa_shared_vgpr_count 0
		.amdhsa_exception_fp_ieee_invalid_op 0
		.amdhsa_exception_fp_denorm_src 0
		.amdhsa_exception_fp_ieee_div_zero 0
		.amdhsa_exception_fp_ieee_overflow 0
		.amdhsa_exception_fp_ieee_underflow 0
		.amdhsa_exception_fp_ieee_inexact 0
		.amdhsa_exception_int_div_zero 0
	.end_amdhsa_kernel
	.section	.text._ZN2at6native27unrolled_elementwise_kernelIZZZNS0_16atan_kernel_cudaERNS_18TensorIteratorBaseEENKUlvE0_clEvENKUlvE1_clEvEUlN3c104HalfEE_St5arrayIPcLm2EELi4E23TrivialOffsetCalculatorILi1EjESD_NS0_6memory15LoadWithoutCastENSE_16StoreWithoutCastEEEviT_T0_T2_T3_T4_T5_,"axG",@progbits,_ZN2at6native27unrolled_elementwise_kernelIZZZNS0_16atan_kernel_cudaERNS_18TensorIteratorBaseEENKUlvE0_clEvENKUlvE1_clEvEUlN3c104HalfEE_St5arrayIPcLm2EELi4E23TrivialOffsetCalculatorILi1EjESD_NS0_6memory15LoadWithoutCastENSE_16StoreWithoutCastEEEviT_T0_T2_T3_T4_T5_,comdat
.Lfunc_end20:
	.size	_ZN2at6native27unrolled_elementwise_kernelIZZZNS0_16atan_kernel_cudaERNS_18TensorIteratorBaseEENKUlvE0_clEvENKUlvE1_clEvEUlN3c104HalfEE_St5arrayIPcLm2EELi4E23TrivialOffsetCalculatorILi1EjESD_NS0_6memory15LoadWithoutCastENSE_16StoreWithoutCastEEEviT_T0_T2_T3_T4_T5_, .Lfunc_end20-_ZN2at6native27unrolled_elementwise_kernelIZZZNS0_16atan_kernel_cudaERNS_18TensorIteratorBaseEENKUlvE0_clEvENKUlvE1_clEvEUlN3c104HalfEE_St5arrayIPcLm2EELi4E23TrivialOffsetCalculatorILi1EjESD_NS0_6memory15LoadWithoutCastENSE_16StoreWithoutCastEEEviT_T0_T2_T3_T4_T5_
                                        ; -- End function
	.set _ZN2at6native27unrolled_elementwise_kernelIZZZNS0_16atan_kernel_cudaERNS_18TensorIteratorBaseEENKUlvE0_clEvENKUlvE1_clEvEUlN3c104HalfEE_St5arrayIPcLm2EELi4E23TrivialOffsetCalculatorILi1EjESD_NS0_6memory15LoadWithoutCastENSE_16StoreWithoutCastEEEviT_T0_T2_T3_T4_T5_.num_vgpr, 10
	.set _ZN2at6native27unrolled_elementwise_kernelIZZZNS0_16atan_kernel_cudaERNS_18TensorIteratorBaseEENKUlvE0_clEvENKUlvE1_clEvEUlN3c104HalfEE_St5arrayIPcLm2EELi4E23TrivialOffsetCalculatorILi1EjESD_NS0_6memory15LoadWithoutCastENSE_16StoreWithoutCastEEEviT_T0_T2_T3_T4_T5_.num_agpr, 0
	.set _ZN2at6native27unrolled_elementwise_kernelIZZZNS0_16atan_kernel_cudaERNS_18TensorIteratorBaseEENKUlvE0_clEvENKUlvE1_clEvEUlN3c104HalfEE_St5arrayIPcLm2EELi4E23TrivialOffsetCalculatorILi1EjESD_NS0_6memory15LoadWithoutCastENSE_16StoreWithoutCastEEEviT_T0_T2_T3_T4_T5_.numbered_sgpr, 12
	.set _ZN2at6native27unrolled_elementwise_kernelIZZZNS0_16atan_kernel_cudaERNS_18TensorIteratorBaseEENKUlvE0_clEvENKUlvE1_clEvEUlN3c104HalfEE_St5arrayIPcLm2EELi4E23TrivialOffsetCalculatorILi1EjESD_NS0_6memory15LoadWithoutCastENSE_16StoreWithoutCastEEEviT_T0_T2_T3_T4_T5_.num_named_barrier, 0
	.set _ZN2at6native27unrolled_elementwise_kernelIZZZNS0_16atan_kernel_cudaERNS_18TensorIteratorBaseEENKUlvE0_clEvENKUlvE1_clEvEUlN3c104HalfEE_St5arrayIPcLm2EELi4E23TrivialOffsetCalculatorILi1EjESD_NS0_6memory15LoadWithoutCastENSE_16StoreWithoutCastEEEviT_T0_T2_T3_T4_T5_.private_seg_size, 0
	.set _ZN2at6native27unrolled_elementwise_kernelIZZZNS0_16atan_kernel_cudaERNS_18TensorIteratorBaseEENKUlvE0_clEvENKUlvE1_clEvEUlN3c104HalfEE_St5arrayIPcLm2EELi4E23TrivialOffsetCalculatorILi1EjESD_NS0_6memory15LoadWithoutCastENSE_16StoreWithoutCastEEEviT_T0_T2_T3_T4_T5_.uses_vcc, 1
	.set _ZN2at6native27unrolled_elementwise_kernelIZZZNS0_16atan_kernel_cudaERNS_18TensorIteratorBaseEENKUlvE0_clEvENKUlvE1_clEvEUlN3c104HalfEE_St5arrayIPcLm2EELi4E23TrivialOffsetCalculatorILi1EjESD_NS0_6memory15LoadWithoutCastENSE_16StoreWithoutCastEEEviT_T0_T2_T3_T4_T5_.uses_flat_scratch, 0
	.set _ZN2at6native27unrolled_elementwise_kernelIZZZNS0_16atan_kernel_cudaERNS_18TensorIteratorBaseEENKUlvE0_clEvENKUlvE1_clEvEUlN3c104HalfEE_St5arrayIPcLm2EELi4E23TrivialOffsetCalculatorILi1EjESD_NS0_6memory15LoadWithoutCastENSE_16StoreWithoutCastEEEviT_T0_T2_T3_T4_T5_.has_dyn_sized_stack, 0
	.set _ZN2at6native27unrolled_elementwise_kernelIZZZNS0_16atan_kernel_cudaERNS_18TensorIteratorBaseEENKUlvE0_clEvENKUlvE1_clEvEUlN3c104HalfEE_St5arrayIPcLm2EELi4E23TrivialOffsetCalculatorILi1EjESD_NS0_6memory15LoadWithoutCastENSE_16StoreWithoutCastEEEviT_T0_T2_T3_T4_T5_.has_recursion, 0
	.set _ZN2at6native27unrolled_elementwise_kernelIZZZNS0_16atan_kernel_cudaERNS_18TensorIteratorBaseEENKUlvE0_clEvENKUlvE1_clEvEUlN3c104HalfEE_St5arrayIPcLm2EELi4E23TrivialOffsetCalculatorILi1EjESD_NS0_6memory15LoadWithoutCastENSE_16StoreWithoutCastEEEviT_T0_T2_T3_T4_T5_.has_indirect_call, 0
	.section	.AMDGPU.csdata,"",@progbits
; Kernel info:
; codeLenInByte = 1352
; TotalNumSgprs: 14
; NumVgprs: 10
; ScratchSize: 0
; MemoryBound: 0
; FloatMode: 240
; IeeeMode: 1
; LDSByteSize: 0 bytes/workgroup (compile time only)
; SGPRBlocks: 0
; VGPRBlocks: 1
; NumSGPRsForWavesPerEU: 14
; NumVGPRsForWavesPerEU: 10
; Occupancy: 16
; WaveLimiterHint : 0
; COMPUTE_PGM_RSRC2:SCRATCH_EN: 0
; COMPUTE_PGM_RSRC2:USER_SGPR: 6
; COMPUTE_PGM_RSRC2:TRAP_HANDLER: 0
; COMPUTE_PGM_RSRC2:TGID_X_EN: 1
; COMPUTE_PGM_RSRC2:TGID_Y_EN: 0
; COMPUTE_PGM_RSRC2:TGID_Z_EN: 0
; COMPUTE_PGM_RSRC2:TIDIG_COMP_CNT: 0
	.section	.text._ZN2at6native32elementwise_kernel_manual_unrollILi128ELi8EZNS0_22gpu_kernel_impl_nocastIZZZNS0_16atan_kernel_cudaERNS_18TensorIteratorBaseEENKUlvE0_clEvENKUlvE1_clEvEUlN3c104HalfEE_EEvS4_RKT_EUlibE_EEviT1_,"axG",@progbits,_ZN2at6native32elementwise_kernel_manual_unrollILi128ELi8EZNS0_22gpu_kernel_impl_nocastIZZZNS0_16atan_kernel_cudaERNS_18TensorIteratorBaseEENKUlvE0_clEvENKUlvE1_clEvEUlN3c104HalfEE_EEvS4_RKT_EUlibE_EEviT1_,comdat
	.globl	_ZN2at6native32elementwise_kernel_manual_unrollILi128ELi8EZNS0_22gpu_kernel_impl_nocastIZZZNS0_16atan_kernel_cudaERNS_18TensorIteratorBaseEENKUlvE0_clEvENKUlvE1_clEvEUlN3c104HalfEE_EEvS4_RKT_EUlibE_EEviT1_ ; -- Begin function _ZN2at6native32elementwise_kernel_manual_unrollILi128ELi8EZNS0_22gpu_kernel_impl_nocastIZZZNS0_16atan_kernel_cudaERNS_18TensorIteratorBaseEENKUlvE0_clEvENKUlvE1_clEvEUlN3c104HalfEE_EEvS4_RKT_EUlibE_EEviT1_
	.p2align	8
	.type	_ZN2at6native32elementwise_kernel_manual_unrollILi128ELi8EZNS0_22gpu_kernel_impl_nocastIZZZNS0_16atan_kernel_cudaERNS_18TensorIteratorBaseEENKUlvE0_clEvENKUlvE1_clEvEUlN3c104HalfEE_EEvS4_RKT_EUlibE_EEviT1_,@function
_ZN2at6native32elementwise_kernel_manual_unrollILi128ELi8EZNS0_22gpu_kernel_impl_nocastIZZZNS0_16atan_kernel_cudaERNS_18TensorIteratorBaseEENKUlvE0_clEvENKUlvE1_clEvEUlN3c104HalfEE_EEvS4_RKT_EUlibE_EEviT1_: ; @_ZN2at6native32elementwise_kernel_manual_unrollILi128ELi8EZNS0_22gpu_kernel_impl_nocastIZZZNS0_16atan_kernel_cudaERNS_18TensorIteratorBaseEENKUlvE0_clEvENKUlvE1_clEvEUlN3c104HalfEE_EEvS4_RKT_EUlibE_EEviT1_
; %bb.0:
	s_clause 0x1
	s_load_dword s22, s[4:5], 0x8
	s_load_dword s27, s[4:5], 0x0
	v_lshl_or_b32 v19, s6, 10, v0
	s_add_u32 s12, s4, 8
	s_addc_u32 s13, s5, 0
	s_mov_b32 s0, exec_lo
	v_or_b32_e32 v25, 0x380, v19
	s_waitcnt lgkmcnt(0)
	s_add_i32 s23, s22, -1
	s_cmp_gt_u32 s23, 1
	s_cselect_b32 s24, -1, 0
	v_cmpx_le_i32_e64 s27, v25
	s_xor_b32 s25, exec_lo, s0
	s_cbranch_execz .LBB21_7
; %bb.1:
	s_clause 0x3
	s_load_dwordx4 s[8:11], s[12:13], 0x4
	s_load_dwordx2 s[14:15], s[12:13], 0x14
	s_load_dwordx4 s[4:7], s[12:13], 0xc4
	s_load_dwordx4 s[0:3], s[12:13], 0x148
	s_cmp_lg_u32 s22, 0
	s_mov_b32 s30, exec_lo
	s_cselect_b32 s29, -1, 0
	s_add_u32 s16, s12, 0xc4
	s_addc_u32 s17, s13, 0
	s_min_u32 s28, s23, 15
	s_cmp_gt_u32 s22, 1
	s_cselect_b32 s26, -1, 0
	v_cmpx_gt_i32_e64 s27, v19
	s_cbranch_execz .LBB21_14
; %bb.2:
	s_andn2_b32 vcc_lo, exec_lo, s24
	s_cbranch_vccnz .LBB21_21
; %bb.3:
	s_andn2_b32 vcc_lo, exec_lo, s29
	s_cbranch_vccnz .LBB21_129
; %bb.4:
	s_add_i32 s33, s28, 1
	s_cmp_eq_u32 s23, 2
	s_cbranch_scc1 .LBB21_131
; %bb.5:
	v_mov_b32_e32 v2, 0
	v_mov_b32_e32 v0, 0
	;; [unrolled: 1-line block ×3, first 2 shown]
	s_and_b32 s31, s33, 28
	s_mov_b32 s34, 0
	s_mov_b64 s[18:19], s[12:13]
	s_mov_b64 s[20:21], s[16:17]
.LBB21_6:                               ; =>This Inner Loop Header: Depth=1
	s_clause 0x1
	s_load_dwordx8 s[36:43], s[18:19], 0x4
	s_load_dwordx4 s[52:55], s[18:19], 0x24
	s_load_dwordx8 s[44:51], s[20:21], 0x0
	s_add_u32 s18, s18, 48
	s_addc_u32 s19, s19, 0
	s_add_i32 s34, s34, 4
	s_add_u32 s20, s20, 32
	s_addc_u32 s21, s21, 0
	s_cmp_lg_u32 s31, s34
	s_waitcnt lgkmcnt(0)
	v_mul_hi_u32 v3, s37, v1
	v_add_nc_u32_e32 v3, v1, v3
	v_lshrrev_b32_e32 v3, s38, v3
	v_mul_hi_u32 v4, s40, v3
	v_mul_lo_u32 v6, v3, s36
	v_add_nc_u32_e32 v4, v3, v4
	v_sub_nc_u32_e32 v1, v1, v6
	v_lshrrev_b32_e32 v4, s41, v4
	v_mul_lo_u32 v6, v1, s44
	v_mul_lo_u32 v8, v1, s45
	v_mul_hi_u32 v5, s43, v4
	v_add_nc_u32_e32 v5, v4, v5
	v_lshrrev_b32_e32 v5, s52, v5
	v_mul_hi_u32 v7, s54, v5
	v_mul_lo_u32 v9, v5, s42
	v_add_nc_u32_e32 v1, v5, v7
	v_mul_lo_u32 v7, v4, s39
	v_sub_nc_u32_e32 v4, v4, v9
	v_lshrrev_b32_e32 v1, s55, v1
	v_mul_lo_u32 v9, v4, s48
	v_mul_lo_u32 v4, v4, s49
	v_sub_nc_u32_e32 v3, v3, v7
	v_mul_lo_u32 v10, v1, s53
	v_mul_lo_u32 v7, v3, s46
	;; [unrolled: 1-line block ×3, first 2 shown]
	v_sub_nc_u32_e32 v5, v5, v10
	v_add3_u32 v0, v6, v0, v7
	v_mul_lo_u32 v10, v5, s50
	v_mul_lo_u32 v5, v5, s51
	v_add3_u32 v2, v8, v2, v3
	v_add3_u32 v0, v9, v0, v10
	;; [unrolled: 1-line block ×3, first 2 shown]
	s_cbranch_scc1 .LBB21_6
	s_branch .LBB21_132
.LBB21_7:
	s_andn2_saveexec_b32 s0, s25
	s_cbranch_execz .LBB21_221
.LBB21_8:
	v_cndmask_b32_e64 v22, 0, 1, s24
	s_andn2_b32 vcc_lo, exec_lo, s24
	s_cbranch_vccnz .LBB21_20
; %bb.9:
	s_cmp_lg_u32 s22, 0
	s_mov_b32 s4, 0
	s_cbranch_scc0 .LBB21_23
; %bb.10:
	s_min_u32 s6, s23, 15
	s_add_i32 s6, s6, 1
	s_cmp_eq_u32 s23, 2
	s_cbranch_scc1 .LBB21_24
; %bb.11:
	v_mov_b32_e32 v2, 0
	v_mov_b32_e32 v0, 0
	;; [unrolled: 1-line block ×3, first 2 shown]
	s_and_b32 s5, s6, 28
	s_add_u32 s0, s12, 0xc4
	s_addc_u32 s1, s13, 0
	s_mov_b32 s7, 0
	s_mov_b64 s[2:3], s[12:13]
.LBB21_12:                              ; =>This Inner Loop Header: Depth=1
	s_clause 0x1
	s_load_dwordx8 s[24:31], s[2:3], 0x4
	s_load_dwordx4 s[8:11], s[2:3], 0x24
	s_load_dwordx8 s[36:43], s[0:1], 0x0
	s_add_u32 s2, s2, 48
	s_addc_u32 s3, s3, 0
	s_add_i32 s7, s7, 4
	s_add_u32 s0, s0, 32
	s_addc_u32 s1, s1, 0
	s_cmp_lg_u32 s5, s7
	s_waitcnt lgkmcnt(0)
	v_mul_hi_u32 v3, s25, v1
	v_add_nc_u32_e32 v3, v1, v3
	v_lshrrev_b32_e32 v3, s26, v3
	v_mul_hi_u32 v4, s28, v3
	v_mul_lo_u32 v6, v3, s24
	v_add_nc_u32_e32 v4, v3, v4
	v_sub_nc_u32_e32 v1, v1, v6
	v_lshrrev_b32_e32 v4, s29, v4
	v_mul_lo_u32 v6, v1, s36
	v_mul_lo_u32 v8, v1, s37
	v_mul_hi_u32 v5, s31, v4
	v_add_nc_u32_e32 v5, v4, v5
	v_lshrrev_b32_e32 v5, s8, v5
	v_mul_hi_u32 v7, s10, v5
	v_mul_lo_u32 v9, v5, s30
	v_add_nc_u32_e32 v1, v5, v7
	v_mul_lo_u32 v7, v4, s27
	v_sub_nc_u32_e32 v4, v4, v9
	v_lshrrev_b32_e32 v1, s11, v1
	v_mul_lo_u32 v9, v4, s40
	v_mul_lo_u32 v4, v4, s41
	v_sub_nc_u32_e32 v3, v3, v7
	v_mul_lo_u32 v10, v1, s9
	v_mul_lo_u32 v7, v3, s38
	v_mul_lo_u32 v3, v3, s39
	v_sub_nc_u32_e32 v5, v5, v10
	v_add3_u32 v0, v6, v0, v7
	v_mul_lo_u32 v10, v5, s42
	v_mul_lo_u32 v5, v5, s43
	v_add3_u32 v2, v8, v2, v3
	v_add3_u32 v0, v9, v0, v10
	;; [unrolled: 1-line block ×3, first 2 shown]
	s_cbranch_scc1 .LBB21_12
; %bb.13:
	s_and_b32 s6, s6, 3
	s_cmp_eq_u32 s6, 0
	s_cbranch_scc0 .LBB21_25
	s_branch .LBB21_27
.LBB21_14:
	s_or_b32 exec_lo, exec_lo, s30
	s_mov_b32 s30, exec_lo
	v_cmpx_gt_i32_e64 s27, v19
	s_cbranch_execz .LBB21_139
.LBB21_15:
	s_andn2_b32 vcc_lo, exec_lo, s24
	s_cbranch_vccnz .LBB21_22
; %bb.16:
	s_andn2_b32 vcc_lo, exec_lo, s29
	s_cbranch_vccnz .LBB21_130
; %bb.17:
	s_add_i32 s33, s28, 1
	s_cmp_eq_u32 s23, 2
	s_cbranch_scc1 .LBB21_147
; %bb.18:
	v_mov_b32_e32 v2, 0
	v_mov_b32_e32 v0, 0
	;; [unrolled: 1-line block ×3, first 2 shown]
	s_and_b32 s31, s33, 28
	s_mov_b32 s34, 0
	s_mov_b64 s[18:19], s[12:13]
	s_mov_b64 s[20:21], s[16:17]
.LBB21_19:                              ; =>This Inner Loop Header: Depth=1
	s_clause 0x1
	s_load_dwordx8 s[36:43], s[18:19], 0x4
	s_load_dwordx4 s[52:55], s[18:19], 0x24
	s_load_dwordx8 s[44:51], s[20:21], 0x0
	s_add_u32 s18, s18, 48
	s_addc_u32 s19, s19, 0
	s_add_i32 s34, s34, 4
	s_add_u32 s20, s20, 32
	s_addc_u32 s21, s21, 0
	s_cmp_eq_u32 s31, s34
	s_waitcnt lgkmcnt(0)
	v_mul_hi_u32 v3, s37, v1
	v_add_nc_u32_e32 v3, v1, v3
	v_lshrrev_b32_e32 v3, s38, v3
	v_mul_hi_u32 v4, s40, v3
	v_mul_lo_u32 v6, v3, s36
	v_add_nc_u32_e32 v4, v3, v4
	v_sub_nc_u32_e32 v1, v1, v6
	v_lshrrev_b32_e32 v4, s41, v4
	v_mul_lo_u32 v6, v1, s44
	v_mul_lo_u32 v8, v1, s45
	v_mul_hi_u32 v5, s43, v4
	v_add_nc_u32_e32 v5, v4, v5
	v_lshrrev_b32_e32 v5, s52, v5
	v_mul_hi_u32 v7, s54, v5
	v_mul_lo_u32 v9, v5, s42
	v_add_nc_u32_e32 v1, v5, v7
	v_mul_lo_u32 v7, v4, s39
	v_sub_nc_u32_e32 v4, v4, v9
	v_lshrrev_b32_e32 v1, s55, v1
	v_mul_lo_u32 v9, v4, s48
	v_mul_lo_u32 v4, v4, s49
	v_sub_nc_u32_e32 v3, v3, v7
	v_mul_lo_u32 v10, v1, s53
	v_mul_lo_u32 v7, v3, s46
	;; [unrolled: 1-line block ×3, first 2 shown]
	v_sub_nc_u32_e32 v5, v5, v10
	v_add3_u32 v0, v6, v0, v7
	v_mul_lo_u32 v10, v5, s50
	v_mul_lo_u32 v5, v5, s51
	v_add3_u32 v2, v8, v2, v3
	v_add3_u32 v0, v9, v0, v10
	v_add3_u32 v2, v4, v2, v5
	s_cbranch_scc0 .LBB21_19
	s_branch .LBB21_148
.LBB21_20:
	s_mov_b32 s4, -1
                                        ; implicit-def: $vgpr0
                                        ; implicit-def: $vgpr2
	s_branch .LBB21_27
.LBB21_21:
                                        ; implicit-def: $vgpr0
                                        ; implicit-def: $vgpr2
	s_branch .LBB21_136
.LBB21_22:
                                        ; implicit-def: $vgpr0
                                        ; implicit-def: $vgpr2
	s_branch .LBB21_152
.LBB21_23:
	v_mov_b32_e32 v0, 0
	v_mov_b32_e32 v2, 0
	s_branch .LBB21_27
.LBB21_24:
	v_mov_b32_e32 v0, 0
	v_mov_b32_e32 v2, 0
	;; [unrolled: 1-line block ×3, first 2 shown]
	s_mov_b32 s5, 0
	s_and_b32 s6, s6, 3
	s_cmp_eq_u32 s6, 0
	s_cbranch_scc1 .LBB21_27
.LBB21_25:
	s_lshl_b32 s0, s5, 3
	s_mul_i32 s2, s5, 12
	s_add_u32 s0, s12, s0
	s_addc_u32 s1, s13, 0
	s_add_u32 s0, s0, 0xc4
	s_addc_u32 s1, s1, 0
	;; [unrolled: 2-line block ×3, first 2 shown]
	.p2align	6
.LBB21_26:                              ; =>This Inner Loop Header: Depth=1
	s_clause 0x1
	s_load_dwordx2 s[8:9], s[2:3], 0x4
	s_load_dword s5, s[2:3], 0xc
	s_load_dwordx2 s[10:11], s[0:1], 0x0
	s_add_u32 s2, s2, 12
	s_addc_u32 s3, s3, 0
	s_add_u32 s0, s0, 8
	s_addc_u32 s1, s1, 0
	s_add_i32 s6, s6, -1
	s_cmp_lg_u32 s6, 0
	s_waitcnt lgkmcnt(0)
	v_mul_hi_u32 v3, s9, v1
	v_add_nc_u32_e32 v3, v1, v3
	v_lshrrev_b32_e32 v4, s5, v3
	v_mul_lo_u32 v3, v4, s8
	v_sub_nc_u32_e32 v3, v1, v3
	v_mad_u64_u32 v[0:1], null, v3, s10, v[0:1]
	v_mad_u64_u32 v[2:3], null, v3, s11, v[2:3]
	v_mov_b32_e32 v1, v4
	s_cbranch_scc1 .LBB21_26
.LBB21_27:
	s_andn2_b32 vcc_lo, exec_lo, s4
	s_cbranch_vccnz .LBB21_30
; %bb.28:
	s_clause 0x1
	s_load_dwordx4 s[0:3], s[12:13], 0x4
	s_load_dwordx2 s[4:5], s[12:13], 0xc4
	s_cmp_lt_u32 s22, 2
	s_waitcnt lgkmcnt(0)
	v_mul_hi_u32 v0, s1, v19
	v_add_nc_u32_e32 v0, v19, v0
	v_lshrrev_b32_e32 v1, s2, v0
	v_mul_lo_u32 v0, v1, s0
	v_sub_nc_u32_e32 v2, v19, v0
	v_mul_lo_u32 v0, v2, s4
	v_mul_lo_u32 v2, v2, s5
	s_cbranch_scc1 .LBB21_30
; %bb.29:
	s_clause 0x1
	s_load_dwordx4 s[0:3], s[12:13], 0x10
	s_load_dwordx2 s[4:5], s[12:13], 0xcc
	s_waitcnt lgkmcnt(0)
	v_mul_hi_u32 v3, s1, v1
	v_add_nc_u32_e32 v3, v1, v3
	v_lshrrev_b32_e32 v3, s2, v3
	v_mul_lo_u32 v3, v3, s0
	v_sub_nc_u32_e32 v3, v1, v3
	v_mad_u64_u32 v[0:1], null, v3, s4, v[0:1]
	v_mad_u64_u32 v[2:3], null, v3, s5, v[2:3]
.LBB21_30:
	v_cmp_ne_u32_e32 vcc_lo, 1, v22
	v_add_nc_u32_e32 v1, 0x80, v19
	s_cbranch_vccnz .LBB21_36
; %bb.31:
	s_cmp_lg_u32 s22, 0
	s_mov_b32 s4, 0
	s_cbranch_scc0 .LBB21_37
; %bb.32:
	s_min_u32 s6, s23, 15
	s_add_i32 s6, s6, 1
	s_cmp_eq_u32 s23, 2
	s_cbranch_scc1 .LBB21_38
; %bb.33:
	v_mov_b32_e32 v5, 0
	v_mov_b32_e32 v3, 0
	;; [unrolled: 1-line block ×3, first 2 shown]
	s_and_b32 s5, s6, 28
	s_add_u32 s0, s12, 0xc4
	s_addc_u32 s1, s13, 0
	s_mov_b32 s7, 0
	s_mov_b64 s[2:3], s[12:13]
.LBB21_34:                              ; =>This Inner Loop Header: Depth=1
	s_clause 0x1
	s_load_dwordx8 s[24:31], s[2:3], 0x4
	s_load_dwordx4 s[8:11], s[2:3], 0x24
	s_load_dwordx8 s[36:43], s[0:1], 0x0
	s_add_u32 s2, s2, 48
	s_addc_u32 s3, s3, 0
	s_add_i32 s7, s7, 4
	s_add_u32 s0, s0, 32
	s_addc_u32 s1, s1, 0
	s_cmp_lg_u32 s5, s7
	s_waitcnt lgkmcnt(0)
	v_mul_hi_u32 v6, s25, v4
	v_add_nc_u32_e32 v6, v4, v6
	v_lshrrev_b32_e32 v6, s26, v6
	v_mul_hi_u32 v7, s28, v6
	v_mul_lo_u32 v9, v6, s24
	v_add_nc_u32_e32 v7, v6, v7
	v_sub_nc_u32_e32 v4, v4, v9
	v_lshrrev_b32_e32 v7, s29, v7
	v_mul_lo_u32 v9, v4, s36
	v_mul_lo_u32 v11, v4, s37
	v_mul_hi_u32 v8, s31, v7
	v_add_nc_u32_e32 v8, v7, v8
	v_lshrrev_b32_e32 v8, s8, v8
	v_mul_hi_u32 v10, s10, v8
	v_mul_lo_u32 v12, v8, s30
	v_add_nc_u32_e32 v4, v8, v10
	v_mul_lo_u32 v10, v7, s27
	v_sub_nc_u32_e32 v7, v7, v12
	v_lshrrev_b32_e32 v4, s11, v4
	v_mul_lo_u32 v12, v7, s40
	v_mul_lo_u32 v7, v7, s41
	v_sub_nc_u32_e32 v6, v6, v10
	v_mul_lo_u32 v13, v4, s9
	v_mul_lo_u32 v10, v6, s38
	;; [unrolled: 1-line block ×3, first 2 shown]
	v_sub_nc_u32_e32 v8, v8, v13
	v_add3_u32 v3, v9, v3, v10
	v_mul_lo_u32 v13, v8, s42
	v_mul_lo_u32 v8, v8, s43
	v_add3_u32 v5, v11, v5, v6
	v_add3_u32 v3, v12, v3, v13
	;; [unrolled: 1-line block ×3, first 2 shown]
	s_cbranch_scc1 .LBB21_34
; %bb.35:
	s_and_b32 s6, s6, 3
	s_cmp_eq_u32 s6, 0
	s_cbranch_scc0 .LBB21_39
	s_branch .LBB21_41
.LBB21_36:
	s_mov_b32 s4, -1
                                        ; implicit-def: $vgpr3
                                        ; implicit-def: $vgpr5
	s_branch .LBB21_41
.LBB21_37:
	v_mov_b32_e32 v3, 0
	v_mov_b32_e32 v5, 0
	s_branch .LBB21_41
.LBB21_38:
	v_mov_b32_e32 v3, 0
	v_mov_b32_e32 v5, 0
	v_mov_b32_e32 v4, v1
	s_mov_b32 s5, 0
	s_and_b32 s6, s6, 3
	s_cmp_eq_u32 s6, 0
	s_cbranch_scc1 .LBB21_41
.LBB21_39:
	s_lshl_b32 s0, s5, 3
	s_mul_i32 s2, s5, 12
	s_add_u32 s0, s12, s0
	s_addc_u32 s1, s13, 0
	s_add_u32 s0, s0, 0xc4
	s_addc_u32 s1, s1, 0
	;; [unrolled: 2-line block ×3, first 2 shown]
	.p2align	6
.LBB21_40:                              ; =>This Inner Loop Header: Depth=1
	s_clause 0x1
	s_load_dwordx2 s[8:9], s[2:3], 0x4
	s_load_dword s5, s[2:3], 0xc
	s_load_dwordx2 s[10:11], s[0:1], 0x0
	s_add_u32 s2, s2, 12
	s_addc_u32 s3, s3, 0
	s_add_u32 s0, s0, 8
	s_addc_u32 s1, s1, 0
	s_add_i32 s6, s6, -1
	s_cmp_lg_u32 s6, 0
	s_waitcnt lgkmcnt(0)
	v_mul_hi_u32 v6, s9, v4
	v_add_nc_u32_e32 v6, v4, v6
	v_lshrrev_b32_e32 v7, s5, v6
	v_mul_lo_u32 v6, v7, s8
	v_sub_nc_u32_e32 v6, v4, v6
	v_mad_u64_u32 v[3:4], null, v6, s10, v[3:4]
	v_mad_u64_u32 v[5:6], null, v6, s11, v[5:6]
	v_mov_b32_e32 v4, v7
	s_cbranch_scc1 .LBB21_40
.LBB21_41:
	s_andn2_b32 vcc_lo, exec_lo, s4
	s_cbranch_vccnz .LBB21_44
; %bb.42:
	s_clause 0x1
	s_load_dwordx4 s[0:3], s[12:13], 0x4
	s_load_dwordx2 s[4:5], s[12:13], 0xc4
	s_cmp_lt_u32 s22, 2
	s_waitcnt lgkmcnt(0)
	v_mul_hi_u32 v3, s1, v1
	v_add_nc_u32_e32 v3, v1, v3
	v_lshrrev_b32_e32 v4, s2, v3
	v_mul_lo_u32 v3, v4, s0
	v_sub_nc_u32_e32 v1, v1, v3
	v_mul_lo_u32 v3, v1, s4
	v_mul_lo_u32 v5, v1, s5
	s_cbranch_scc1 .LBB21_44
; %bb.43:
	s_clause 0x1
	s_load_dwordx4 s[0:3], s[12:13], 0x10
	s_load_dwordx2 s[4:5], s[12:13], 0xcc
	s_waitcnt lgkmcnt(0)
	v_mul_hi_u32 v1, s1, v4
	v_add_nc_u32_e32 v1, v4, v1
	v_lshrrev_b32_e32 v1, s2, v1
	v_mul_lo_u32 v1, v1, s0
	v_sub_nc_u32_e32 v1, v4, v1
	v_mad_u64_u32 v[3:4], null, v1, s4, v[3:4]
	v_mad_u64_u32 v[5:6], null, v1, s5, v[5:6]
.LBB21_44:
	v_cmp_ne_u32_e32 vcc_lo, 1, v22
	v_add_nc_u32_e32 v1, 0x100, v19
	s_cbranch_vccnz .LBB21_50
; %bb.45:
	s_cmp_lg_u32 s22, 0
	s_mov_b32 s4, 0
	s_cbranch_scc0 .LBB21_51
; %bb.46:
	s_min_u32 s6, s23, 15
	s_add_i32 s6, s6, 1
	s_cmp_eq_u32 s23, 2
	s_cbranch_scc1 .LBB21_52
; %bb.47:
	v_mov_b32_e32 v8, 0
	v_mov_b32_e32 v6, 0
	;; [unrolled: 1-line block ×3, first 2 shown]
	s_and_b32 s5, s6, 28
	s_add_u32 s0, s12, 0xc4
	s_addc_u32 s1, s13, 0
	s_mov_b32 s7, 0
	s_mov_b64 s[2:3], s[12:13]
.LBB21_48:                              ; =>This Inner Loop Header: Depth=1
	s_clause 0x1
	s_load_dwordx8 s[24:31], s[2:3], 0x4
	s_load_dwordx4 s[8:11], s[2:3], 0x24
	s_load_dwordx8 s[36:43], s[0:1], 0x0
	s_add_u32 s2, s2, 48
	s_addc_u32 s3, s3, 0
	s_add_i32 s7, s7, 4
	s_add_u32 s0, s0, 32
	s_addc_u32 s1, s1, 0
	s_cmp_lg_u32 s5, s7
	s_waitcnt lgkmcnt(0)
	v_mul_hi_u32 v7, s25, v4
	v_add_nc_u32_e32 v7, v4, v7
	v_lshrrev_b32_e32 v7, s26, v7
	v_mul_hi_u32 v9, s28, v7
	v_mul_lo_u32 v11, v7, s24
	v_add_nc_u32_e32 v9, v7, v9
	v_sub_nc_u32_e32 v4, v4, v11
	v_lshrrev_b32_e32 v9, s29, v9
	v_mul_lo_u32 v11, v4, s36
	v_mul_lo_u32 v13, v4, s37
	v_mul_hi_u32 v10, s31, v9
	v_add_nc_u32_e32 v10, v9, v10
	v_lshrrev_b32_e32 v10, s8, v10
	v_mul_hi_u32 v12, s10, v10
	v_mul_lo_u32 v14, v10, s30
	v_add_nc_u32_e32 v4, v10, v12
	v_mul_lo_u32 v12, v9, s27
	v_sub_nc_u32_e32 v9, v9, v14
	v_lshrrev_b32_e32 v4, s11, v4
	v_mul_lo_u32 v14, v9, s40
	v_mul_lo_u32 v9, v9, s41
	v_sub_nc_u32_e32 v7, v7, v12
	v_mul_lo_u32 v15, v4, s9
	v_mul_lo_u32 v12, v7, s38
	v_mul_lo_u32 v7, v7, s39
	v_sub_nc_u32_e32 v10, v10, v15
	v_add3_u32 v6, v11, v6, v12
	v_mul_lo_u32 v15, v10, s42
	v_mul_lo_u32 v10, v10, s43
	v_add3_u32 v7, v13, v8, v7
	v_add3_u32 v6, v14, v6, v15
	;; [unrolled: 1-line block ×3, first 2 shown]
	s_cbranch_scc1 .LBB21_48
; %bb.49:
	s_and_b32 s6, s6, 3
	s_cmp_eq_u32 s6, 0
	s_cbranch_scc0 .LBB21_53
	s_branch .LBB21_55
.LBB21_50:
	s_mov_b32 s4, -1
                                        ; implicit-def: $vgpr6
                                        ; implicit-def: $vgpr8
	s_branch .LBB21_55
.LBB21_51:
	v_mov_b32_e32 v6, 0
	v_mov_b32_e32 v8, 0
	s_branch .LBB21_55
.LBB21_52:
	v_mov_b32_e32 v6, 0
	v_mov_b32_e32 v8, 0
	;; [unrolled: 1-line block ×3, first 2 shown]
	s_mov_b32 s5, 0
	s_and_b32 s6, s6, 3
	s_cmp_eq_u32 s6, 0
	s_cbranch_scc1 .LBB21_55
.LBB21_53:
	s_lshl_b32 s0, s5, 3
	s_mul_i32 s2, s5, 12
	s_add_u32 s0, s12, s0
	s_addc_u32 s1, s13, 0
	s_add_u32 s0, s0, 0xc4
	s_addc_u32 s1, s1, 0
	;; [unrolled: 2-line block ×3, first 2 shown]
	.p2align	6
.LBB21_54:                              ; =>This Inner Loop Header: Depth=1
	s_clause 0x1
	s_load_dwordx2 s[8:9], s[2:3], 0x4
	s_load_dword s5, s[2:3], 0xc
	s_load_dwordx2 s[10:11], s[0:1], 0x0
	s_add_u32 s2, s2, 12
	s_addc_u32 s3, s3, 0
	s_add_u32 s0, s0, 8
	s_addc_u32 s1, s1, 0
	s_add_i32 s6, s6, -1
	s_cmp_lg_u32 s6, 0
	s_waitcnt lgkmcnt(0)
	v_mul_hi_u32 v7, s9, v4
	v_add_nc_u32_e32 v7, v4, v7
	v_lshrrev_b32_e32 v10, s5, v7
	v_mul_lo_u32 v7, v10, s8
	v_sub_nc_u32_e32 v4, v4, v7
	v_mad_u64_u32 v[6:7], null, v4, s10, v[6:7]
	v_mad_u64_u32 v[8:9], null, v4, s11, v[8:9]
	v_mov_b32_e32 v4, v10
	s_cbranch_scc1 .LBB21_54
.LBB21_55:
	s_andn2_b32 vcc_lo, exec_lo, s4
	s_cbranch_vccnz .LBB21_58
; %bb.56:
	s_clause 0x1
	s_load_dwordx4 s[0:3], s[12:13], 0x4
	s_load_dwordx2 s[4:5], s[12:13], 0xc4
	s_cmp_lt_u32 s22, 2
	s_waitcnt lgkmcnt(0)
	v_mul_hi_u32 v4, s1, v1
	v_add_nc_u32_e32 v4, v1, v4
	v_lshrrev_b32_e32 v4, s2, v4
	v_mul_lo_u32 v6, v4, s0
	v_sub_nc_u32_e32 v1, v1, v6
	v_mul_lo_u32 v6, v1, s4
	v_mul_lo_u32 v8, v1, s5
	s_cbranch_scc1 .LBB21_58
; %bb.57:
	s_clause 0x1
	s_load_dwordx4 s[0:3], s[12:13], 0x10
	s_load_dwordx2 s[4:5], s[12:13], 0xcc
	s_waitcnt lgkmcnt(0)
	v_mul_hi_u32 v1, s1, v4
	v_add_nc_u32_e32 v1, v4, v1
	v_lshrrev_b32_e32 v1, s2, v1
	v_mul_lo_u32 v1, v1, s0
	v_sub_nc_u32_e32 v1, v4, v1
	v_mad_u64_u32 v[6:7], null, v1, s4, v[6:7]
	v_mad_u64_u32 v[8:9], null, v1, s5, v[8:9]
.LBB21_58:
	v_cmp_ne_u32_e32 vcc_lo, 1, v22
	v_add_nc_u32_e32 v1, 0x180, v19
	s_cbranch_vccnz .LBB21_64
; %bb.59:
	s_cmp_lg_u32 s22, 0
	s_mov_b32 s4, 0
	s_cbranch_scc0 .LBB21_65
; %bb.60:
	s_min_u32 s6, s23, 15
	s_add_i32 s6, s6, 1
	s_cmp_eq_u32 s23, 2
	s_cbranch_scc1 .LBB21_66
; %bb.61:
	v_mov_b32_e32 v11, 0
	v_mov_b32_e32 v9, 0
	;; [unrolled: 1-line block ×3, first 2 shown]
	s_and_b32 s5, s6, 28
	s_add_u32 s0, s12, 0xc4
	s_addc_u32 s1, s13, 0
	s_mov_b32 s7, 0
	s_mov_b64 s[2:3], s[12:13]
.LBB21_62:                              ; =>This Inner Loop Header: Depth=1
	s_clause 0x1
	s_load_dwordx8 s[24:31], s[2:3], 0x4
	s_load_dwordx4 s[8:11], s[2:3], 0x24
	s_load_dwordx8 s[36:43], s[0:1], 0x0
	s_add_u32 s2, s2, 48
	s_addc_u32 s3, s3, 0
	s_add_i32 s7, s7, 4
	s_add_u32 s0, s0, 32
	s_addc_u32 s1, s1, 0
	s_cmp_lg_u32 s5, s7
	s_waitcnt lgkmcnt(0)
	v_mul_hi_u32 v7, s25, v4
	v_add_nc_u32_e32 v7, v4, v7
	v_lshrrev_b32_e32 v7, s26, v7
	v_mul_hi_u32 v10, s28, v7
	v_mul_lo_u32 v13, v7, s24
	v_add_nc_u32_e32 v10, v7, v10
	v_sub_nc_u32_e32 v4, v4, v13
	v_lshrrev_b32_e32 v10, s29, v10
	v_mul_lo_u32 v13, v4, s36
	v_mul_lo_u32 v15, v4, s37
	v_mul_hi_u32 v12, s31, v10
	v_add_nc_u32_e32 v12, v10, v12
	v_lshrrev_b32_e32 v12, s8, v12
	v_mul_hi_u32 v14, s10, v12
	v_mul_lo_u32 v16, v12, s30
	v_add_nc_u32_e32 v4, v12, v14
	v_mul_lo_u32 v14, v10, s27
	v_sub_nc_u32_e32 v10, v10, v16
	v_lshrrev_b32_e32 v4, s11, v4
	v_mul_lo_u32 v16, v10, s40
	v_mul_lo_u32 v10, v10, s41
	v_sub_nc_u32_e32 v7, v7, v14
	v_mul_lo_u32 v17, v4, s9
	v_mul_lo_u32 v14, v7, s38
	;; [unrolled: 1-line block ×3, first 2 shown]
	v_sub_nc_u32_e32 v12, v12, v17
	v_add3_u32 v9, v13, v9, v14
	v_mul_lo_u32 v17, v12, s42
	v_mul_lo_u32 v12, v12, s43
	v_add3_u32 v7, v15, v11, v7
	v_add3_u32 v9, v16, v9, v17
	;; [unrolled: 1-line block ×3, first 2 shown]
	s_cbranch_scc1 .LBB21_62
; %bb.63:
	s_and_b32 s6, s6, 3
	s_cmp_eq_u32 s6, 0
	s_cbranch_scc0 .LBB21_67
	s_branch .LBB21_69
.LBB21_64:
	s_mov_b32 s4, -1
                                        ; implicit-def: $vgpr9
                                        ; implicit-def: $vgpr11
	s_branch .LBB21_69
.LBB21_65:
	v_mov_b32_e32 v9, 0
	v_mov_b32_e32 v11, 0
	s_branch .LBB21_69
.LBB21_66:
	v_mov_b32_e32 v9, 0
	v_mov_b32_e32 v11, 0
	v_mov_b32_e32 v4, v1
	s_mov_b32 s5, 0
	s_and_b32 s6, s6, 3
	s_cmp_eq_u32 s6, 0
	s_cbranch_scc1 .LBB21_69
.LBB21_67:
	s_lshl_b32 s0, s5, 3
	s_mul_i32 s2, s5, 12
	s_add_u32 s0, s12, s0
	s_addc_u32 s1, s13, 0
	s_add_u32 s0, s0, 0xc4
	s_addc_u32 s1, s1, 0
	;; [unrolled: 2-line block ×3, first 2 shown]
	.p2align	6
.LBB21_68:                              ; =>This Inner Loop Header: Depth=1
	s_clause 0x1
	s_load_dwordx2 s[8:9], s[2:3], 0x4
	s_load_dword s5, s[2:3], 0xc
	s_load_dwordx2 s[10:11], s[0:1], 0x0
	s_add_u32 s2, s2, 12
	s_addc_u32 s3, s3, 0
	s_add_u32 s0, s0, 8
	s_addc_u32 s1, s1, 0
	s_add_i32 s6, s6, -1
	s_cmp_lg_u32 s6, 0
	s_waitcnt lgkmcnt(0)
	v_mul_hi_u32 v7, s9, v4
	v_add_nc_u32_e32 v7, v4, v7
	v_lshrrev_b32_e32 v7, s5, v7
	v_mul_lo_u32 v10, v7, s8
	v_sub_nc_u32_e32 v4, v4, v10
	v_mad_u64_u32 v[9:10], null, v4, s10, v[9:10]
	v_mad_u64_u32 v[11:12], null, v4, s11, v[11:12]
	v_mov_b32_e32 v4, v7
	s_cbranch_scc1 .LBB21_68
.LBB21_69:
	s_andn2_b32 vcc_lo, exec_lo, s4
	s_cbranch_vccnz .LBB21_72
; %bb.70:
	s_clause 0x1
	s_load_dwordx4 s[0:3], s[12:13], 0x4
	s_load_dwordx2 s[4:5], s[12:13], 0xc4
	s_cmp_lt_u32 s22, 2
	s_waitcnt lgkmcnt(0)
	v_mul_hi_u32 v4, s1, v1
	v_add_nc_u32_e32 v4, v1, v4
	v_lshrrev_b32_e32 v4, s2, v4
	v_mul_lo_u32 v7, v4, s0
	v_sub_nc_u32_e32 v1, v1, v7
	v_mul_lo_u32 v9, v1, s4
	v_mul_lo_u32 v11, v1, s5
	s_cbranch_scc1 .LBB21_72
; %bb.71:
	s_clause 0x1
	s_load_dwordx4 s[0:3], s[12:13], 0x10
	s_load_dwordx2 s[4:5], s[12:13], 0xcc
	s_waitcnt lgkmcnt(0)
	v_mul_hi_u32 v1, s1, v4
	v_add_nc_u32_e32 v1, v4, v1
	v_lshrrev_b32_e32 v1, s2, v1
	v_mul_lo_u32 v1, v1, s0
	v_sub_nc_u32_e32 v1, v4, v1
	v_mad_u64_u32 v[9:10], null, v1, s4, v[9:10]
	v_mad_u64_u32 v[11:12], null, v1, s5, v[11:12]
.LBB21_72:
	v_cmp_ne_u32_e32 vcc_lo, 1, v22
	v_add_nc_u32_e32 v1, 0x200, v19
	s_cbranch_vccnz .LBB21_78
; %bb.73:
	s_cmp_lg_u32 s22, 0
	s_mov_b32 s4, 0
	s_cbranch_scc0 .LBB21_79
; %bb.74:
	s_min_u32 s6, s23, 15
	s_add_i32 s6, s6, 1
	s_cmp_eq_u32 s23, 2
	s_cbranch_scc1 .LBB21_80
; %bb.75:
	v_mov_b32_e32 v14, 0
	v_mov_b32_e32 v12, 0
	;; [unrolled: 1-line block ×3, first 2 shown]
	s_and_b32 s5, s6, 28
	s_add_u32 s0, s12, 0xc4
	s_addc_u32 s1, s13, 0
	s_mov_b32 s7, 0
	s_mov_b64 s[2:3], s[12:13]
.LBB21_76:                              ; =>This Inner Loop Header: Depth=1
	s_clause 0x1
	s_load_dwordx8 s[24:31], s[2:3], 0x4
	s_load_dwordx4 s[8:11], s[2:3], 0x24
	s_load_dwordx8 s[36:43], s[0:1], 0x0
	s_add_u32 s2, s2, 48
	s_addc_u32 s3, s3, 0
	s_add_i32 s7, s7, 4
	s_add_u32 s0, s0, 32
	s_addc_u32 s1, s1, 0
	s_cmp_lg_u32 s5, s7
	s_waitcnt lgkmcnt(0)
	v_mul_hi_u32 v7, s25, v4
	v_add_nc_u32_e32 v7, v4, v7
	v_lshrrev_b32_e32 v7, s26, v7
	v_mul_hi_u32 v10, s28, v7
	v_mul_lo_u32 v15, v7, s24
	v_add_nc_u32_e32 v10, v7, v10
	v_sub_nc_u32_e32 v4, v4, v15
	v_lshrrev_b32_e32 v10, s29, v10
	v_mul_lo_u32 v15, v4, s36
	v_mul_lo_u32 v17, v4, s37
	v_mul_hi_u32 v13, s31, v10
	v_add_nc_u32_e32 v13, v10, v13
	v_lshrrev_b32_e32 v13, s8, v13
	v_mul_hi_u32 v16, s10, v13
	v_mul_lo_u32 v18, v13, s30
	v_add_nc_u32_e32 v4, v13, v16
	v_mul_lo_u32 v16, v10, s27
	v_sub_nc_u32_e32 v10, v10, v18
	v_lshrrev_b32_e32 v4, s11, v4
	v_mul_lo_u32 v18, v10, s40
	v_mul_lo_u32 v10, v10, s41
	v_sub_nc_u32_e32 v7, v7, v16
	v_mul_lo_u32 v20, v4, s9
	v_mul_lo_u32 v16, v7, s38
	;; [unrolled: 1-line block ×3, first 2 shown]
	v_sub_nc_u32_e32 v13, v13, v20
	v_add3_u32 v12, v15, v12, v16
	v_mul_lo_u32 v20, v13, s42
	v_mul_lo_u32 v13, v13, s43
	v_add3_u32 v7, v17, v14, v7
	v_add3_u32 v12, v18, v12, v20
	;; [unrolled: 1-line block ×3, first 2 shown]
	s_cbranch_scc1 .LBB21_76
; %bb.77:
	s_and_b32 s6, s6, 3
	s_cmp_eq_u32 s6, 0
	s_cbranch_scc0 .LBB21_81
	s_branch .LBB21_83
.LBB21_78:
	s_mov_b32 s4, -1
                                        ; implicit-def: $vgpr12
                                        ; implicit-def: $vgpr14
	s_branch .LBB21_83
.LBB21_79:
	v_mov_b32_e32 v12, 0
	v_mov_b32_e32 v14, 0
	s_branch .LBB21_83
.LBB21_80:
	v_mov_b32_e32 v12, 0
	v_mov_b32_e32 v14, 0
	;; [unrolled: 1-line block ×3, first 2 shown]
	s_mov_b32 s5, 0
	s_and_b32 s6, s6, 3
	s_cmp_eq_u32 s6, 0
	s_cbranch_scc1 .LBB21_83
.LBB21_81:
	s_lshl_b32 s0, s5, 3
	s_mul_i32 s2, s5, 12
	s_add_u32 s0, s12, s0
	s_addc_u32 s1, s13, 0
	s_add_u32 s0, s0, 0xc4
	s_addc_u32 s1, s1, 0
	;; [unrolled: 2-line block ×3, first 2 shown]
	.p2align	6
.LBB21_82:                              ; =>This Inner Loop Header: Depth=1
	s_clause 0x1
	s_load_dwordx2 s[8:9], s[2:3], 0x4
	s_load_dword s5, s[2:3], 0xc
	s_load_dwordx2 s[10:11], s[0:1], 0x0
	s_add_u32 s2, s2, 12
	s_addc_u32 s3, s3, 0
	s_add_u32 s0, s0, 8
	s_addc_u32 s1, s1, 0
	s_add_i32 s6, s6, -1
	s_cmp_lg_u32 s6, 0
	s_waitcnt lgkmcnt(0)
	v_mul_hi_u32 v7, s9, v4
	v_add_nc_u32_e32 v7, v4, v7
	v_lshrrev_b32_e32 v7, s5, v7
	v_mul_lo_u32 v10, v7, s8
	v_sub_nc_u32_e32 v4, v4, v10
	v_mad_u64_u32 v[12:13], null, v4, s10, v[12:13]
	v_mad_u64_u32 v[14:15], null, v4, s11, v[14:15]
	v_mov_b32_e32 v4, v7
	s_cbranch_scc1 .LBB21_82
.LBB21_83:
	s_andn2_b32 vcc_lo, exec_lo, s4
	s_cbranch_vccnz .LBB21_86
; %bb.84:
	s_clause 0x1
	s_load_dwordx4 s[0:3], s[12:13], 0x4
	s_load_dwordx2 s[4:5], s[12:13], 0xc4
	s_cmp_lt_u32 s22, 2
	s_waitcnt lgkmcnt(0)
	v_mul_hi_u32 v4, s1, v1
	v_add_nc_u32_e32 v4, v1, v4
	v_lshrrev_b32_e32 v4, s2, v4
	v_mul_lo_u32 v7, v4, s0
	v_sub_nc_u32_e32 v1, v1, v7
	v_mul_lo_u32 v12, v1, s4
	v_mul_lo_u32 v14, v1, s5
	s_cbranch_scc1 .LBB21_86
; %bb.85:
	s_clause 0x1
	s_load_dwordx4 s[0:3], s[12:13], 0x10
	s_load_dwordx2 s[4:5], s[12:13], 0xcc
	s_waitcnt lgkmcnt(0)
	v_mul_hi_u32 v1, s1, v4
	v_add_nc_u32_e32 v1, v4, v1
	v_lshrrev_b32_e32 v1, s2, v1
	v_mul_lo_u32 v1, v1, s0
	v_sub_nc_u32_e32 v1, v4, v1
	v_mad_u64_u32 v[12:13], null, v1, s4, v[12:13]
	v_mad_u64_u32 v[14:15], null, v1, s5, v[14:15]
.LBB21_86:
	v_cmp_ne_u32_e32 vcc_lo, 1, v22
	v_add_nc_u32_e32 v1, 0x280, v19
	s_cbranch_vccnz .LBB21_92
; %bb.87:
	s_cmp_lg_u32 s22, 0
	s_mov_b32 s4, 0
	s_cbranch_scc0 .LBB21_93
; %bb.88:
	s_min_u32 s6, s23, 15
	s_add_i32 s6, s6, 1
	s_cmp_eq_u32 s23, 2
	s_cbranch_scc1 .LBB21_94
; %bb.89:
	v_mov_b32_e32 v17, 0
	v_mov_b32_e32 v15, 0
	;; [unrolled: 1-line block ×3, first 2 shown]
	s_and_b32 s5, s6, 28
	s_add_u32 s0, s12, 0xc4
	s_addc_u32 s1, s13, 0
	s_mov_b32 s7, 0
	s_mov_b64 s[2:3], s[12:13]
.LBB21_90:                              ; =>This Inner Loop Header: Depth=1
	s_clause 0x1
	s_load_dwordx8 s[24:31], s[2:3], 0x4
	s_load_dwordx4 s[8:11], s[2:3], 0x24
	s_load_dwordx8 s[36:43], s[0:1], 0x0
	s_add_u32 s2, s2, 48
	s_addc_u32 s3, s3, 0
	s_add_i32 s7, s7, 4
	s_add_u32 s0, s0, 32
	s_addc_u32 s1, s1, 0
	s_cmp_lg_u32 s5, s7
	s_waitcnt lgkmcnt(0)
	v_mul_hi_u32 v7, s25, v4
	v_add_nc_u32_e32 v7, v4, v7
	v_lshrrev_b32_e32 v7, s26, v7
	v_mul_hi_u32 v10, s28, v7
	v_mul_lo_u32 v16, v7, s24
	v_add_nc_u32_e32 v10, v7, v10
	v_sub_nc_u32_e32 v4, v4, v16
	v_lshrrev_b32_e32 v10, s29, v10
	v_mul_lo_u32 v16, v4, s36
	v_mul_lo_u32 v20, v4, s37
	v_mul_hi_u32 v13, s31, v10
	v_add_nc_u32_e32 v13, v10, v13
	v_lshrrev_b32_e32 v13, s8, v13
	v_mul_hi_u32 v18, s10, v13
	v_mul_lo_u32 v21, v13, s30
	v_add_nc_u32_e32 v4, v13, v18
	v_mul_lo_u32 v18, v10, s27
	v_sub_nc_u32_e32 v10, v10, v21
	v_lshrrev_b32_e32 v4, s11, v4
	v_mul_lo_u32 v21, v10, s40
	v_mul_lo_u32 v10, v10, s41
	v_sub_nc_u32_e32 v7, v7, v18
	v_mul_lo_u32 v23, v4, s9
	v_mul_lo_u32 v18, v7, s38
	;; [unrolled: 1-line block ×3, first 2 shown]
	v_sub_nc_u32_e32 v13, v13, v23
	v_add3_u32 v15, v16, v15, v18
	v_mul_lo_u32 v23, v13, s42
	v_mul_lo_u32 v13, v13, s43
	v_add3_u32 v7, v20, v17, v7
	v_add3_u32 v15, v21, v15, v23
	v_add3_u32 v17, v10, v7, v13
	s_cbranch_scc1 .LBB21_90
; %bb.91:
	s_and_b32 s6, s6, 3
	s_cmp_eq_u32 s6, 0
	s_cbranch_scc0 .LBB21_95
	s_branch .LBB21_97
.LBB21_92:
	s_mov_b32 s4, -1
                                        ; implicit-def: $vgpr15
                                        ; implicit-def: $vgpr17
	s_branch .LBB21_97
.LBB21_93:
	v_mov_b32_e32 v15, 0
	v_mov_b32_e32 v17, 0
	s_branch .LBB21_97
.LBB21_94:
	v_mov_b32_e32 v15, 0
	v_mov_b32_e32 v17, 0
	;; [unrolled: 1-line block ×3, first 2 shown]
	s_mov_b32 s5, 0
	s_and_b32 s6, s6, 3
	s_cmp_eq_u32 s6, 0
	s_cbranch_scc1 .LBB21_97
.LBB21_95:
	s_lshl_b32 s0, s5, 3
	s_mul_i32 s2, s5, 12
	s_add_u32 s0, s12, s0
	s_addc_u32 s1, s13, 0
	s_add_u32 s0, s0, 0xc4
	s_addc_u32 s1, s1, 0
	;; [unrolled: 2-line block ×3, first 2 shown]
	.p2align	6
.LBB21_96:                              ; =>This Inner Loop Header: Depth=1
	s_clause 0x1
	s_load_dwordx2 s[8:9], s[2:3], 0x4
	s_load_dword s5, s[2:3], 0xc
	s_load_dwordx2 s[10:11], s[0:1], 0x0
	s_add_u32 s2, s2, 12
	s_addc_u32 s3, s3, 0
	s_add_u32 s0, s0, 8
	s_addc_u32 s1, s1, 0
	s_add_i32 s6, s6, -1
	s_cmp_lg_u32 s6, 0
	s_waitcnt lgkmcnt(0)
	v_mul_hi_u32 v7, s9, v4
	v_add_nc_u32_e32 v7, v4, v7
	v_lshrrev_b32_e32 v7, s5, v7
	v_mul_lo_u32 v10, v7, s8
	v_sub_nc_u32_e32 v4, v4, v10
	v_mad_u64_u32 v[15:16], null, v4, s10, v[15:16]
	v_mad_u64_u32 v[17:18], null, v4, s11, v[17:18]
	v_mov_b32_e32 v4, v7
	s_cbranch_scc1 .LBB21_96
.LBB21_97:
	s_andn2_b32 vcc_lo, exec_lo, s4
	s_cbranch_vccnz .LBB21_100
; %bb.98:
	s_clause 0x1
	s_load_dwordx4 s[0:3], s[12:13], 0x4
	s_load_dwordx2 s[4:5], s[12:13], 0xc4
	s_cmp_lt_u32 s22, 2
	s_waitcnt lgkmcnt(0)
	v_mul_hi_u32 v4, s1, v1
	v_add_nc_u32_e32 v4, v1, v4
	v_lshrrev_b32_e32 v4, s2, v4
	v_mul_lo_u32 v7, v4, s0
	v_sub_nc_u32_e32 v1, v1, v7
	v_mul_lo_u32 v15, v1, s4
	v_mul_lo_u32 v17, v1, s5
	s_cbranch_scc1 .LBB21_100
; %bb.99:
	s_clause 0x1
	s_load_dwordx4 s[0:3], s[12:13], 0x10
	s_load_dwordx2 s[4:5], s[12:13], 0xcc
	s_waitcnt lgkmcnt(0)
	v_mul_hi_u32 v1, s1, v4
	v_add_nc_u32_e32 v1, v4, v1
	v_lshrrev_b32_e32 v1, s2, v1
	v_mul_lo_u32 v1, v1, s0
	v_sub_nc_u32_e32 v1, v4, v1
	v_mad_u64_u32 v[15:16], null, v1, s4, v[15:16]
	v_mad_u64_u32 v[17:18], null, v1, s5, v[17:18]
.LBB21_100:
	v_cmp_ne_u32_e32 vcc_lo, 1, v22
	v_add_nc_u32_e32 v1, 0x300, v19
	s_cbranch_vccnz .LBB21_106
; %bb.101:
	s_cmp_lg_u32 s22, 0
	s_mov_b32 s4, 0
	s_cbranch_scc0 .LBB21_107
; %bb.102:
	s_min_u32 s6, s23, 15
	s_add_i32 s6, s6, 1
	s_cmp_eq_u32 s23, 2
	s_cbranch_scc1 .LBB21_108
; %bb.103:
	v_mov_b32_e32 v20, 0
	v_mov_b32_e32 v18, 0
	;; [unrolled: 1-line block ×3, first 2 shown]
	s_and_b32 s5, s6, 28
	s_add_u32 s0, s12, 0xc4
	s_addc_u32 s1, s13, 0
	s_mov_b32 s7, 0
	s_mov_b64 s[2:3], s[12:13]
.LBB21_104:                             ; =>This Inner Loop Header: Depth=1
	s_clause 0x1
	s_load_dwordx8 s[24:31], s[2:3], 0x4
	s_load_dwordx4 s[8:11], s[2:3], 0x24
	s_load_dwordx8 s[36:43], s[0:1], 0x0
	s_add_u32 s2, s2, 48
	s_addc_u32 s3, s3, 0
	s_add_i32 s7, s7, 4
	s_add_u32 s0, s0, 32
	s_addc_u32 s1, s1, 0
	s_cmp_lg_u32 s5, s7
	s_waitcnt lgkmcnt(0)
	v_mul_hi_u32 v7, s25, v4
	v_add_nc_u32_e32 v7, v4, v7
	v_lshrrev_b32_e32 v7, s26, v7
	v_mul_hi_u32 v10, s28, v7
	v_mul_lo_u32 v16, v7, s24
	v_add_nc_u32_e32 v10, v7, v10
	v_sub_nc_u32_e32 v4, v4, v16
	v_lshrrev_b32_e32 v10, s29, v10
	v_mul_lo_u32 v16, v4, s36
	v_mul_lo_u32 v21, v4, s37
	v_mul_hi_u32 v13, s31, v10
	v_add_nc_u32_e32 v13, v10, v13
	v_lshrrev_b32_e32 v13, s8, v13
	v_mul_hi_u32 v19, s10, v13
	v_mul_lo_u32 v23, v13, s30
	v_add_nc_u32_e32 v4, v13, v19
	v_mul_lo_u32 v19, v10, s27
	v_sub_nc_u32_e32 v10, v10, v23
	v_lshrrev_b32_e32 v4, s11, v4
	v_mul_lo_u32 v23, v10, s40
	v_mul_lo_u32 v10, v10, s41
	v_sub_nc_u32_e32 v7, v7, v19
	v_mul_lo_u32 v24, v4, s9
	v_mul_lo_u32 v19, v7, s38
	;; [unrolled: 1-line block ×3, first 2 shown]
	v_sub_nc_u32_e32 v13, v13, v24
	v_add3_u32 v16, v16, v18, v19
	v_mul_lo_u32 v24, v13, s42
	v_mul_lo_u32 v13, v13, s43
	v_add3_u32 v7, v21, v20, v7
	v_add3_u32 v18, v23, v16, v24
	;; [unrolled: 1-line block ×3, first 2 shown]
	s_cbranch_scc1 .LBB21_104
; %bb.105:
	s_and_b32 s6, s6, 3
	s_cmp_eq_u32 s6, 0
	s_cbranch_scc0 .LBB21_109
	s_branch .LBB21_111
.LBB21_106:
	s_mov_b32 s4, -1
                                        ; implicit-def: $vgpr18
                                        ; implicit-def: $vgpr20
	s_branch .LBB21_111
.LBB21_107:
	v_mov_b32_e32 v18, 0
	v_mov_b32_e32 v20, 0
	s_branch .LBB21_111
.LBB21_108:
	v_mov_b32_e32 v18, 0
	v_mov_b32_e32 v20, 0
	;; [unrolled: 1-line block ×3, first 2 shown]
	s_mov_b32 s5, 0
	s_and_b32 s6, s6, 3
	s_cmp_eq_u32 s6, 0
	s_cbranch_scc1 .LBB21_111
.LBB21_109:
	s_lshl_b32 s0, s5, 3
	s_mul_i32 s2, s5, 12
	s_add_u32 s0, s12, s0
	s_addc_u32 s1, s13, 0
	s_add_u32 s0, s0, 0xc4
	s_addc_u32 s1, s1, 0
	;; [unrolled: 2-line block ×3, first 2 shown]
	.p2align	6
.LBB21_110:                             ; =>This Inner Loop Header: Depth=1
	s_clause 0x1
	s_load_dwordx2 s[8:9], s[2:3], 0x4
	s_load_dword s5, s[2:3], 0xc
	s_load_dwordx2 s[10:11], s[0:1], 0x0
	s_add_u32 s2, s2, 12
	s_addc_u32 s3, s3, 0
	s_add_u32 s0, s0, 8
	s_addc_u32 s1, s1, 0
	s_add_i32 s6, s6, -1
	s_cmp_lg_u32 s6, 0
	s_waitcnt lgkmcnt(0)
	v_mul_hi_u32 v7, s9, v4
	v_add_nc_u32_e32 v7, v4, v7
	v_lshrrev_b32_e32 v7, s5, v7
	v_mul_lo_u32 v10, v7, s8
	v_sub_nc_u32_e32 v4, v4, v10
	v_mad_u64_u32 v[18:19], null, v4, s10, v[18:19]
	v_mad_u64_u32 v[20:21], null, v4, s11, v[20:21]
	v_mov_b32_e32 v4, v7
	s_cbranch_scc1 .LBB21_110
.LBB21_111:
	s_andn2_b32 vcc_lo, exec_lo, s4
	s_cbranch_vccnz .LBB21_114
; %bb.112:
	s_clause 0x1
	s_load_dwordx4 s[0:3], s[12:13], 0x4
	s_load_dwordx2 s[4:5], s[12:13], 0xc4
	s_cmp_lt_u32 s22, 2
	s_waitcnt lgkmcnt(0)
	v_mul_hi_u32 v4, s1, v1
	v_add_nc_u32_e32 v4, v1, v4
	v_lshrrev_b32_e32 v4, s2, v4
	v_mul_lo_u32 v7, v4, s0
	v_sub_nc_u32_e32 v1, v1, v7
	v_mul_lo_u32 v18, v1, s4
	v_mul_lo_u32 v20, v1, s5
	s_cbranch_scc1 .LBB21_114
; %bb.113:
	s_clause 0x1
	s_load_dwordx4 s[0:3], s[12:13], 0x10
	s_load_dwordx2 s[4:5], s[12:13], 0xcc
	s_waitcnt lgkmcnt(0)
	v_mul_hi_u32 v1, s1, v4
	v_add_nc_u32_e32 v1, v4, v1
	v_lshrrev_b32_e32 v1, s2, v1
	v_mul_lo_u32 v1, v1, s0
	v_sub_nc_u32_e32 v1, v4, v1
	v_mad_u64_u32 v[18:19], null, v1, s4, v[18:19]
	v_mad_u64_u32 v[20:21], null, v1, s5, v[20:21]
.LBB21_114:
	v_cmp_ne_u32_e32 vcc_lo, 1, v22
	s_cbranch_vccnz .LBB21_120
; %bb.115:
	s_cmp_lg_u32 s22, 0
	s_mov_b32 s4, 0
	s_cbranch_scc0 .LBB21_121
; %bb.116:
	s_min_u32 s6, s23, 15
	s_add_i32 s6, s6, 1
	s_cmp_eq_u32 s23, 2
	s_cbranch_scc1 .LBB21_122
; %bb.117:
	v_mov_b32_e32 v23, 0
	v_mov_b32_e32 v21, 0
	;; [unrolled: 1-line block ×3, first 2 shown]
	s_and_b32 s5, s6, 28
	s_add_u32 s0, s12, 0xc4
	s_addc_u32 s1, s13, 0
	s_mov_b32 s7, 0
	s_mov_b64 s[2:3], s[12:13]
.LBB21_118:                             ; =>This Inner Loop Header: Depth=1
	s_clause 0x1
	s_load_dwordx8 s[24:31], s[2:3], 0x4
	s_load_dwordx4 s[8:11], s[2:3], 0x24
	s_load_dwordx8 s[36:43], s[0:1], 0x0
	s_add_u32 s2, s2, 48
	s_addc_u32 s3, s3, 0
	s_add_i32 s7, s7, 4
	s_add_u32 s0, s0, 32
	s_addc_u32 s1, s1, 0
	s_cmp_lg_u32 s5, s7
	s_waitcnt lgkmcnt(0)
	v_mul_hi_u32 v4, s25, v1
	v_add_nc_u32_e32 v4, v1, v4
	v_lshrrev_b32_e32 v4, s26, v4
	v_mul_hi_u32 v7, s28, v4
	v_mul_lo_u32 v13, v4, s24
	v_add_nc_u32_e32 v7, v4, v7
	v_sub_nc_u32_e32 v1, v1, v13
	v_lshrrev_b32_e32 v7, s29, v7
	v_mul_lo_u32 v13, v1, s36
	v_mul_lo_u32 v19, v1, s37
	v_mul_hi_u32 v10, s31, v7
	v_add_nc_u32_e32 v10, v7, v10
	v_lshrrev_b32_e32 v10, s8, v10
	v_mul_hi_u32 v16, s10, v10
	v_mul_lo_u32 v22, v10, s30
	v_add_nc_u32_e32 v1, v10, v16
	v_mul_lo_u32 v16, v7, s27
	v_sub_nc_u32_e32 v7, v7, v22
	v_lshrrev_b32_e32 v1, s11, v1
	v_mul_lo_u32 v22, v7, s40
	v_mul_lo_u32 v7, v7, s41
	v_sub_nc_u32_e32 v4, v4, v16
	v_mul_lo_u32 v24, v1, s9
	v_mul_lo_u32 v16, v4, s38
	;; [unrolled: 1-line block ×3, first 2 shown]
	v_sub_nc_u32_e32 v10, v10, v24
	v_add3_u32 v13, v13, v21, v16
	v_mul_lo_u32 v24, v10, s42
	v_mul_lo_u32 v10, v10, s43
	v_add3_u32 v4, v19, v23, v4
	v_add3_u32 v21, v22, v13, v24
	;; [unrolled: 1-line block ×3, first 2 shown]
	s_cbranch_scc1 .LBB21_118
; %bb.119:
	s_and_b32 s6, s6, 3
	s_cmp_eq_u32 s6, 0
	s_cbranch_scc0 .LBB21_123
	s_branch .LBB21_125
.LBB21_120:
	s_mov_b32 s4, -1
                                        ; implicit-def: $vgpr21
                                        ; implicit-def: $vgpr23
	s_branch .LBB21_125
.LBB21_121:
	v_mov_b32_e32 v21, 0
	v_mov_b32_e32 v23, 0
	s_branch .LBB21_125
.LBB21_122:
	v_mov_b32_e32 v21, 0
	v_mov_b32_e32 v23, 0
	;; [unrolled: 1-line block ×3, first 2 shown]
	s_mov_b32 s5, 0
	s_and_b32 s6, s6, 3
	s_cmp_eq_u32 s6, 0
	s_cbranch_scc1 .LBB21_125
.LBB21_123:
	s_lshl_b32 s0, s5, 3
	s_mul_i32 s2, s5, 12
	s_add_u32 s0, s12, s0
	s_addc_u32 s1, s13, 0
	s_add_u32 s0, s0, 0xc4
	s_addc_u32 s1, s1, 0
	;; [unrolled: 2-line block ×3, first 2 shown]
	.p2align	6
.LBB21_124:                             ; =>This Inner Loop Header: Depth=1
	s_clause 0x1
	s_load_dwordx2 s[8:9], s[2:3], 0x4
	s_load_dword s5, s[2:3], 0xc
	s_load_dwordx2 s[10:11], s[0:1], 0x0
	s_add_u32 s2, s2, 12
	s_addc_u32 s3, s3, 0
	s_add_u32 s0, s0, 8
	s_addc_u32 s1, s1, 0
	s_add_i32 s6, s6, -1
	s_cmp_lg_u32 s6, 0
	s_waitcnt lgkmcnt(0)
	v_mul_hi_u32 v4, s9, v1
	v_add_nc_u32_e32 v4, v1, v4
	v_lshrrev_b32_e32 v4, s5, v4
	v_mul_lo_u32 v7, v4, s8
	v_sub_nc_u32_e32 v1, v1, v7
	v_mad_u64_u32 v[21:22], null, v1, s10, v[21:22]
	v_mad_u64_u32 v[23:24], null, v1, s11, v[23:24]
	v_mov_b32_e32 v1, v4
	s_cbranch_scc1 .LBB21_124
.LBB21_125:
	s_andn2_b32 vcc_lo, exec_lo, s4
	s_cbranch_vccnz .LBB21_128
; %bb.126:
	s_clause 0x1
	s_load_dwordx4 s[0:3], s[12:13], 0x4
	s_load_dwordx2 s[4:5], s[12:13], 0xc4
	s_cmp_lt_u32 s22, 2
	s_waitcnt lgkmcnt(0)
	v_mul_hi_u32 v1, s1, v25
	v_add_nc_u32_e32 v1, v25, v1
	v_lshrrev_b32_e32 v1, s2, v1
	v_mul_lo_u32 v4, v1, s0
	v_sub_nc_u32_e32 v4, v25, v4
	v_mul_lo_u32 v21, v4, s4
	v_mul_lo_u32 v23, v4, s5
	s_cbranch_scc1 .LBB21_128
; %bb.127:
	s_clause 0x1
	s_load_dwordx4 s[0:3], s[12:13], 0x10
	s_load_dwordx2 s[4:5], s[12:13], 0xcc
	s_waitcnt lgkmcnt(0)
	v_mul_hi_u32 v4, s1, v1
	v_add_nc_u32_e32 v4, v1, v4
	v_lshrrev_b32_e32 v4, s2, v4
	v_mul_lo_u32 v4, v4, s0
	v_sub_nc_u32_e32 v1, v1, v4
	v_mad_u64_u32 v[21:22], null, v1, s4, v[21:22]
	v_mad_u64_u32 v[23:24], null, v1, s5, v[23:24]
.LBB21_128:
	s_load_dwordx4 s[8:11], s[12:13], 0x148
	s_mov_b32 s7, 0x3b2d2a58
	s_waitcnt lgkmcnt(0)
	s_clause 0x7
	global_load_ushort v1, v2, s[10:11]
	global_load_ushort v2, v5, s[10:11]
	;; [unrolled: 1-line block ×8, first 2 shown]
	s_waitcnt vmcnt(7)
	v_cvt_f32_f16_e32 v13, v1
	s_waitcnt vmcnt(6)
	v_cvt_f32_f16_e32 v14, v2
	;; [unrolled: 2-line block ×7, first 2 shown]
	v_rcp_f32_e64 v23, |v13|
	s_waitcnt vmcnt(0)
	v_cvt_f32_f16_e32 v24, v11
	v_rcp_f32_e64 v25, |v14|
	v_rcp_f32_e64 v26, |v16|
	v_rcp_f32_e64 v27, |v17|
	v_rcp_f32_e64 v28, |v19|
	v_rcp_f32_e64 v29, |v20|
	v_rcp_f32_e64 v30, |v22|
	v_rcp_f32_e64 v31, |v24|
	v_cmp_gt_f32_e64 vcc_lo, |v13|, 1.0
	v_cmp_gt_f32_e64 s0, |v14|, 1.0
	v_cmp_gt_f32_e64 s1, |v16|, 1.0
	;; [unrolled: 1-line block ×4, first 2 shown]
	v_cndmask_b32_e64 v13, |v13|, v23, vcc_lo
	v_cmp_gt_f32_e64 s4, |v20|, 1.0
	v_cmp_gt_f32_e64 s5, |v22|, 1.0
	;; [unrolled: 1-line block ×3, first 2 shown]
	v_cndmask_b32_e64 v14, |v14|, v25, s0
	v_cndmask_b32_e64 v16, |v16|, v26, s1
	v_cndmask_b32_e64 v17, |v17|, v27, s2
	v_cndmask_b32_e64 v19, |v19|, v28, s3
	v_cndmask_b32_e64 v20, |v20|, v29, s4
	v_cndmask_b32_e64 v22, |v22|, v30, s5
	v_cndmask_b32_e64 v23, |v24|, v31, s6
	v_mul_f32_e32 v24, v13, v13
	v_mul_f32_e32 v25, v14, v14
	;; [unrolled: 1-line block ×8, first 2 shown]
	v_fmaak_f32 v32, s7, v24, 0xbc7a590c
	v_fmaak_f32 v33, s7, v25, 0xbc7a590c
	;; [unrolled: 1-line block ×56, first 2 shown]
	v_mul_f32_e32 v24, v24, v32
	v_mul_f32_e32 v25, v25, v33
	;; [unrolled: 1-line block ×8, first 2 shown]
	v_fmac_f32_e32 v13, v13, v24
	v_fmac_f32_e32 v14, v14, v25
	v_fmac_f32_e32 v16, v16, v26
	v_fmac_f32_e32 v17, v17, v27
	v_fmac_f32_e32 v19, v19, v28
	v_fmac_f32_e32 v20, v20, v29
	v_fmac_f32_e32 v22, v22, v30
	v_fmac_f32_e32 v23, v23, v31
	v_sub_f32_e32 v24, 0x3fc90fdb, v13
	v_sub_f32_e32 v25, 0x3fc90fdb, v14
	;; [unrolled: 1-line block ×8, first 2 shown]
	v_cndmask_b32_e32 v13, v13, v24, vcc_lo
	v_cndmask_b32_e64 v14, v14, v25, s0
	v_cndmask_b32_e64 v16, v16, v26, s1
	;; [unrolled: 1-line block ×7, first 2 shown]
	v_cvt_f16_f32_e32 v13, v13
	v_cvt_f16_f32_e32 v14, v14
	;; [unrolled: 1-line block ×8, first 2 shown]
	v_bfi_b32 v1, 0x7fff, v13, v1
	v_bfi_b32 v2, 0x7fff, v14, v2
	;; [unrolled: 1-line block ×8, first 2 shown]
	global_store_short v0, v1, s[8:9]
	global_store_short v3, v2, s[8:9]
	;; [unrolled: 1-line block ×8, first 2 shown]
	s_endpgm
.LBB21_129:
	v_mov_b32_e32 v0, 0
	v_mov_b32_e32 v2, 0
	s_branch .LBB21_135
.LBB21_130:
	v_mov_b32_e32 v0, 0
	v_mov_b32_e32 v2, 0
	s_branch .LBB21_151
.LBB21_131:
	v_mov_b32_e32 v0, 0
	v_mov_b32_e32 v2, 0
	;; [unrolled: 1-line block ×3, first 2 shown]
	s_mov_b32 s31, 0
.LBB21_132:
	s_and_b32 s33, s33, 3
	s_cmp_eq_u32 s33, 0
	s_cbranch_scc1 .LBB21_135
; %bb.133:
	s_lshl_b32 s18, s31, 3
	s_mul_i32 s20, s31, 12
	s_add_u32 s18, s12, s18
	s_addc_u32 s19, s13, 0
	s_add_u32 s18, s18, 0xc4
	s_addc_u32 s19, s19, 0
	;; [unrolled: 2-line block ×3, first 2 shown]
	.p2align	6
.LBB21_134:                             ; =>This Inner Loop Header: Depth=1
	s_clause 0x1
	s_load_dwordx2 s[34:35], s[20:21], 0x4
	s_load_dword s31, s[20:21], 0xc
	s_load_dwordx2 s[36:37], s[18:19], 0x0
	s_add_u32 s20, s20, 12
	s_addc_u32 s21, s21, 0
	s_add_u32 s18, s18, 8
	s_addc_u32 s19, s19, 0
	s_add_i32 s33, s33, -1
	s_cmp_lg_u32 s33, 0
	s_waitcnt lgkmcnt(0)
	v_mul_hi_u32 v3, s35, v1
	v_add_nc_u32_e32 v3, v1, v3
	v_lshrrev_b32_e32 v4, s31, v3
	v_mul_lo_u32 v3, v4, s34
	v_sub_nc_u32_e32 v3, v1, v3
	v_mad_u64_u32 v[0:1], null, v3, s36, v[0:1]
	v_mad_u64_u32 v[2:3], null, v3, s37, v[2:3]
	v_mov_b32_e32 v1, v4
	s_cbranch_scc1 .LBB21_134
.LBB21_135:
	s_cbranch_execnz .LBB21_138
.LBB21_136:
	s_waitcnt lgkmcnt(0)
	v_mul_hi_u32 v0, s9, v19
	s_andn2_b32 vcc_lo, exec_lo, s26
	v_add_nc_u32_e32 v0, v19, v0
	v_lshrrev_b32_e32 v1, s10, v0
	v_mul_lo_u32 v0, v1, s8
	v_sub_nc_u32_e32 v2, v19, v0
	v_mul_lo_u32 v0, v2, s4
	v_mul_lo_u32 v2, v2, s5
	s_cbranch_vccnz .LBB21_138
; %bb.137:
	v_mul_hi_u32 v3, s14, v1
	v_add_nc_u32_e32 v3, v1, v3
	v_lshrrev_b32_e32 v3, s15, v3
	v_mul_lo_u32 v3, v3, s11
	v_sub_nc_u32_e32 v3, v1, v3
	v_mad_u64_u32 v[0:1], null, v3, s6, v[0:1]
	v_mad_u64_u32 v[2:3], null, v3, s7, v[2:3]
.LBB21_138:
	s_waitcnt lgkmcnt(0)
	global_load_ushort v1, v2, s[2:3]
	s_mov_b32 s18, 0x3b2d2a58
	v_add_nc_u32_e32 v19, 0x80, v19
	s_waitcnt vmcnt(0)
	v_cvt_f32_f16_e32 v2, v1
	v_rcp_f32_e64 v3, |v2|
	v_cmp_gt_f32_e64 vcc_lo, |v2|, 1.0
	v_cndmask_b32_e64 v2, |v2|, v3, vcc_lo
	v_mul_f32_e32 v3, v2, v2
	v_fmaak_f32 v4, s18, v3, 0xbc7a590c
	v_fmaak_f32 v4, v3, v4, 0x3d29fb3f
	;; [unrolled: 1-line block ×7, first 2 shown]
	v_mul_f32_e32 v3, v3, v4
	v_fmac_f32_e32 v2, v2, v3
	v_sub_f32_e32 v3, 0x3fc90fdb, v2
	v_cndmask_b32_e32 v2, v2, v3, vcc_lo
	v_cvt_f16_f32_e32 v2, v2
	v_bfi_b32 v1, 0x7fff, v2, v1
	global_store_short v0, v1, s[0:1]
	s_or_b32 exec_lo, exec_lo, s30
	s_mov_b32 s30, exec_lo
	v_cmpx_gt_i32_e64 s27, v19
	s_cbranch_execnz .LBB21_15
.LBB21_139:
	s_or_b32 exec_lo, exec_lo, s30
	s_mov_b32 s30, exec_lo
	v_cmpx_gt_i32_e64 s27, v19
	s_cbranch_execz .LBB21_155
.LBB21_140:
	s_andn2_b32 vcc_lo, exec_lo, s24
	s_cbranch_vccnz .LBB21_145
; %bb.141:
	s_andn2_b32 vcc_lo, exec_lo, s29
	s_cbranch_vccnz .LBB21_146
; %bb.142:
	s_add_i32 s33, s28, 1
	s_cmp_eq_u32 s23, 2
	s_cbranch_scc1 .LBB21_163
; %bb.143:
	v_mov_b32_e32 v2, 0
	v_mov_b32_e32 v0, 0
	;; [unrolled: 1-line block ×3, first 2 shown]
	s_and_b32 s31, s33, 28
	s_mov_b32 s34, 0
	s_mov_b64 s[18:19], s[12:13]
	s_mov_b64 s[20:21], s[16:17]
.LBB21_144:                             ; =>This Inner Loop Header: Depth=1
	s_clause 0x1
	s_load_dwordx8 s[36:43], s[18:19], 0x4
	s_load_dwordx4 s[52:55], s[18:19], 0x24
	s_load_dwordx8 s[44:51], s[20:21], 0x0
	s_add_u32 s18, s18, 48
	s_addc_u32 s19, s19, 0
	s_add_i32 s34, s34, 4
	s_add_u32 s20, s20, 32
	s_addc_u32 s21, s21, 0
	s_cmp_eq_u32 s31, s34
	s_waitcnt lgkmcnt(0)
	v_mul_hi_u32 v3, s37, v1
	v_add_nc_u32_e32 v3, v1, v3
	v_lshrrev_b32_e32 v3, s38, v3
	v_mul_hi_u32 v4, s40, v3
	v_mul_lo_u32 v6, v3, s36
	v_add_nc_u32_e32 v4, v3, v4
	v_sub_nc_u32_e32 v1, v1, v6
	v_lshrrev_b32_e32 v4, s41, v4
	v_mul_lo_u32 v6, v1, s44
	v_mul_lo_u32 v8, v1, s45
	v_mul_hi_u32 v5, s43, v4
	v_add_nc_u32_e32 v5, v4, v5
	v_lshrrev_b32_e32 v5, s52, v5
	v_mul_hi_u32 v7, s54, v5
	v_mul_lo_u32 v9, v5, s42
	v_add_nc_u32_e32 v1, v5, v7
	v_mul_lo_u32 v7, v4, s39
	v_sub_nc_u32_e32 v4, v4, v9
	v_lshrrev_b32_e32 v1, s55, v1
	v_mul_lo_u32 v9, v4, s48
	v_mul_lo_u32 v4, v4, s49
	v_sub_nc_u32_e32 v3, v3, v7
	v_mul_lo_u32 v10, v1, s53
	v_mul_lo_u32 v7, v3, s46
	v_mul_lo_u32 v3, v3, s47
	v_sub_nc_u32_e32 v5, v5, v10
	v_add3_u32 v0, v6, v0, v7
	v_mul_lo_u32 v10, v5, s50
	v_mul_lo_u32 v5, v5, s51
	v_add3_u32 v2, v8, v2, v3
	v_add3_u32 v0, v9, v0, v10
	;; [unrolled: 1-line block ×3, first 2 shown]
	s_cbranch_scc0 .LBB21_144
	s_branch .LBB21_164
.LBB21_145:
                                        ; implicit-def: $vgpr0
                                        ; implicit-def: $vgpr2
	s_branch .LBB21_168
.LBB21_146:
	v_mov_b32_e32 v0, 0
	v_mov_b32_e32 v2, 0
	s_branch .LBB21_167
.LBB21_147:
	v_mov_b32_e32 v0, 0
	v_mov_b32_e32 v2, 0
	;; [unrolled: 1-line block ×3, first 2 shown]
	s_mov_b32 s31, 0
.LBB21_148:
	s_and_b32 s33, s33, 3
	s_cmp_eq_u32 s33, 0
	s_cbranch_scc1 .LBB21_151
; %bb.149:
	s_lshl_b32 s18, s31, 3
	s_mul_i32 s20, s31, 12
	s_add_u32 s18, s12, s18
	s_addc_u32 s19, s13, 0
	s_add_u32 s18, s18, 0xc4
	s_addc_u32 s19, s19, 0
	;; [unrolled: 2-line block ×3, first 2 shown]
	.p2align	6
.LBB21_150:                             ; =>This Inner Loop Header: Depth=1
	s_clause 0x1
	s_load_dwordx2 s[34:35], s[20:21], 0x4
	s_load_dword s31, s[20:21], 0xc
	s_load_dwordx2 s[36:37], s[18:19], 0x0
	s_add_u32 s20, s20, 12
	s_addc_u32 s21, s21, 0
	s_add_u32 s18, s18, 8
	s_addc_u32 s19, s19, 0
	s_add_i32 s33, s33, -1
	s_cmp_lg_u32 s33, 0
	s_waitcnt lgkmcnt(0)
	v_mul_hi_u32 v3, s35, v1
	v_add_nc_u32_e32 v3, v1, v3
	v_lshrrev_b32_e32 v4, s31, v3
	v_mul_lo_u32 v3, v4, s34
	v_sub_nc_u32_e32 v3, v1, v3
	v_mad_u64_u32 v[0:1], null, v3, s36, v[0:1]
	v_mad_u64_u32 v[2:3], null, v3, s37, v[2:3]
	v_mov_b32_e32 v1, v4
	s_cbranch_scc1 .LBB21_150
.LBB21_151:
	s_cbranch_execnz .LBB21_154
.LBB21_152:
	s_waitcnt lgkmcnt(0)
	v_mul_hi_u32 v0, s9, v19
	s_andn2_b32 vcc_lo, exec_lo, s26
	v_add_nc_u32_e32 v0, v19, v0
	v_lshrrev_b32_e32 v1, s10, v0
	v_mul_lo_u32 v0, v1, s8
	v_sub_nc_u32_e32 v2, v19, v0
	v_mul_lo_u32 v0, v2, s4
	v_mul_lo_u32 v2, v2, s5
	s_cbranch_vccnz .LBB21_154
; %bb.153:
	v_mul_hi_u32 v3, s14, v1
	v_add_nc_u32_e32 v3, v1, v3
	v_lshrrev_b32_e32 v3, s15, v3
	v_mul_lo_u32 v3, v3, s11
	v_sub_nc_u32_e32 v3, v1, v3
	v_mad_u64_u32 v[0:1], null, v3, s6, v[0:1]
	v_mad_u64_u32 v[2:3], null, v3, s7, v[2:3]
.LBB21_154:
	s_waitcnt lgkmcnt(0)
	global_load_ushort v1, v2, s[2:3]
	s_mov_b32 s18, 0x3b2d2a58
	v_add_nc_u32_e32 v19, 0x80, v19
	s_waitcnt vmcnt(0)
	v_cvt_f32_f16_e32 v2, v1
	v_rcp_f32_e64 v3, |v2|
	v_cmp_gt_f32_e64 vcc_lo, |v2|, 1.0
	v_cndmask_b32_e64 v2, |v2|, v3, vcc_lo
	v_mul_f32_e32 v3, v2, v2
	v_fmaak_f32 v4, s18, v3, 0xbc7a590c
	v_fmaak_f32 v4, v3, v4, 0x3d29fb3f
	;; [unrolled: 1-line block ×7, first 2 shown]
	v_mul_f32_e32 v3, v3, v4
	v_fmac_f32_e32 v2, v2, v3
	v_sub_f32_e32 v3, 0x3fc90fdb, v2
	v_cndmask_b32_e32 v2, v2, v3, vcc_lo
	v_cvt_f16_f32_e32 v2, v2
	v_bfi_b32 v1, 0x7fff, v2, v1
	global_store_short v0, v1, s[0:1]
	s_or_b32 exec_lo, exec_lo, s30
	s_mov_b32 s30, exec_lo
	v_cmpx_gt_i32_e64 s27, v19
	s_cbranch_execnz .LBB21_140
.LBB21_155:
	s_or_b32 exec_lo, exec_lo, s30
	s_mov_b32 s30, exec_lo
	v_cmpx_gt_i32_e64 s27, v19
	s_cbranch_execz .LBB21_171
.LBB21_156:
	s_andn2_b32 vcc_lo, exec_lo, s24
	s_cbranch_vccnz .LBB21_161
; %bb.157:
	s_andn2_b32 vcc_lo, exec_lo, s29
	s_cbranch_vccnz .LBB21_162
; %bb.158:
	s_add_i32 s33, s28, 1
	s_cmp_eq_u32 s23, 2
	s_cbranch_scc1 .LBB21_179
; %bb.159:
	v_mov_b32_e32 v2, 0
	v_mov_b32_e32 v0, 0
	;; [unrolled: 1-line block ×3, first 2 shown]
	s_and_b32 s31, s33, 28
	s_mov_b32 s34, 0
	s_mov_b64 s[18:19], s[12:13]
	s_mov_b64 s[20:21], s[16:17]
.LBB21_160:                             ; =>This Inner Loop Header: Depth=1
	s_clause 0x1
	s_load_dwordx8 s[36:43], s[18:19], 0x4
	s_load_dwordx4 s[52:55], s[18:19], 0x24
	s_load_dwordx8 s[44:51], s[20:21], 0x0
	s_add_u32 s18, s18, 48
	s_addc_u32 s19, s19, 0
	s_add_i32 s34, s34, 4
	s_add_u32 s20, s20, 32
	s_addc_u32 s21, s21, 0
	s_cmp_eq_u32 s31, s34
	s_waitcnt lgkmcnt(0)
	v_mul_hi_u32 v3, s37, v1
	v_add_nc_u32_e32 v3, v1, v3
	v_lshrrev_b32_e32 v3, s38, v3
	v_mul_hi_u32 v4, s40, v3
	v_mul_lo_u32 v6, v3, s36
	v_add_nc_u32_e32 v4, v3, v4
	v_sub_nc_u32_e32 v1, v1, v6
	v_lshrrev_b32_e32 v4, s41, v4
	v_mul_lo_u32 v6, v1, s44
	v_mul_lo_u32 v8, v1, s45
	v_mul_hi_u32 v5, s43, v4
	v_add_nc_u32_e32 v5, v4, v5
	v_lshrrev_b32_e32 v5, s52, v5
	v_mul_hi_u32 v7, s54, v5
	v_mul_lo_u32 v9, v5, s42
	v_add_nc_u32_e32 v1, v5, v7
	v_mul_lo_u32 v7, v4, s39
	v_sub_nc_u32_e32 v4, v4, v9
	v_lshrrev_b32_e32 v1, s55, v1
	v_mul_lo_u32 v9, v4, s48
	v_mul_lo_u32 v4, v4, s49
	v_sub_nc_u32_e32 v3, v3, v7
	v_mul_lo_u32 v10, v1, s53
	v_mul_lo_u32 v7, v3, s46
	v_mul_lo_u32 v3, v3, s47
	v_sub_nc_u32_e32 v5, v5, v10
	v_add3_u32 v0, v6, v0, v7
	v_mul_lo_u32 v10, v5, s50
	v_mul_lo_u32 v5, v5, s51
	v_add3_u32 v2, v8, v2, v3
	v_add3_u32 v0, v9, v0, v10
	;; [unrolled: 1-line block ×3, first 2 shown]
	s_cbranch_scc0 .LBB21_160
	s_branch .LBB21_180
.LBB21_161:
                                        ; implicit-def: $vgpr0
                                        ; implicit-def: $vgpr2
	s_branch .LBB21_184
.LBB21_162:
	v_mov_b32_e32 v0, 0
	v_mov_b32_e32 v2, 0
	s_branch .LBB21_183
.LBB21_163:
	v_mov_b32_e32 v0, 0
	v_mov_b32_e32 v2, 0
	;; [unrolled: 1-line block ×3, first 2 shown]
	s_mov_b32 s31, 0
.LBB21_164:
	s_and_b32 s33, s33, 3
	s_cmp_eq_u32 s33, 0
	s_cbranch_scc1 .LBB21_167
; %bb.165:
	s_lshl_b32 s18, s31, 3
	s_mul_i32 s20, s31, 12
	s_add_u32 s18, s12, s18
	s_addc_u32 s19, s13, 0
	s_add_u32 s18, s18, 0xc4
	s_addc_u32 s19, s19, 0
	;; [unrolled: 2-line block ×3, first 2 shown]
	.p2align	6
.LBB21_166:                             ; =>This Inner Loop Header: Depth=1
	s_clause 0x1
	s_load_dwordx2 s[34:35], s[20:21], 0x4
	s_load_dword s31, s[20:21], 0xc
	s_load_dwordx2 s[36:37], s[18:19], 0x0
	s_add_u32 s20, s20, 12
	s_addc_u32 s21, s21, 0
	s_add_u32 s18, s18, 8
	s_addc_u32 s19, s19, 0
	s_add_i32 s33, s33, -1
	s_cmp_lg_u32 s33, 0
	s_waitcnt lgkmcnt(0)
	v_mul_hi_u32 v3, s35, v1
	v_add_nc_u32_e32 v3, v1, v3
	v_lshrrev_b32_e32 v4, s31, v3
	v_mul_lo_u32 v3, v4, s34
	v_sub_nc_u32_e32 v3, v1, v3
	v_mad_u64_u32 v[0:1], null, v3, s36, v[0:1]
	v_mad_u64_u32 v[2:3], null, v3, s37, v[2:3]
	v_mov_b32_e32 v1, v4
	s_cbranch_scc1 .LBB21_166
.LBB21_167:
	s_cbranch_execnz .LBB21_170
.LBB21_168:
	s_waitcnt lgkmcnt(0)
	v_mul_hi_u32 v0, s9, v19
	s_andn2_b32 vcc_lo, exec_lo, s26
	v_add_nc_u32_e32 v0, v19, v0
	v_lshrrev_b32_e32 v1, s10, v0
	v_mul_lo_u32 v0, v1, s8
	v_sub_nc_u32_e32 v2, v19, v0
	v_mul_lo_u32 v0, v2, s4
	v_mul_lo_u32 v2, v2, s5
	s_cbranch_vccnz .LBB21_170
; %bb.169:
	v_mul_hi_u32 v3, s14, v1
	v_add_nc_u32_e32 v3, v1, v3
	v_lshrrev_b32_e32 v3, s15, v3
	v_mul_lo_u32 v3, v3, s11
	v_sub_nc_u32_e32 v3, v1, v3
	v_mad_u64_u32 v[0:1], null, v3, s6, v[0:1]
	v_mad_u64_u32 v[2:3], null, v3, s7, v[2:3]
.LBB21_170:
	s_waitcnt lgkmcnt(0)
	global_load_ushort v1, v2, s[2:3]
	s_mov_b32 s18, 0x3b2d2a58
	v_add_nc_u32_e32 v19, 0x80, v19
	s_waitcnt vmcnt(0)
	v_cvt_f32_f16_e32 v2, v1
	v_rcp_f32_e64 v3, |v2|
	v_cmp_gt_f32_e64 vcc_lo, |v2|, 1.0
	v_cndmask_b32_e64 v2, |v2|, v3, vcc_lo
	v_mul_f32_e32 v3, v2, v2
	v_fmaak_f32 v4, s18, v3, 0xbc7a590c
	v_fmaak_f32 v4, v3, v4, 0x3d29fb3f
	;; [unrolled: 1-line block ×7, first 2 shown]
	v_mul_f32_e32 v3, v3, v4
	v_fmac_f32_e32 v2, v2, v3
	v_sub_f32_e32 v3, 0x3fc90fdb, v2
	v_cndmask_b32_e32 v2, v2, v3, vcc_lo
	v_cvt_f16_f32_e32 v2, v2
	v_bfi_b32 v1, 0x7fff, v2, v1
	global_store_short v0, v1, s[0:1]
	s_or_b32 exec_lo, exec_lo, s30
	s_mov_b32 s30, exec_lo
	v_cmpx_gt_i32_e64 s27, v19
	s_cbranch_execnz .LBB21_156
.LBB21_171:
	s_or_b32 exec_lo, exec_lo, s30
	s_mov_b32 s30, exec_lo
	v_cmpx_gt_i32_e64 s27, v19
	s_cbranch_execz .LBB21_187
.LBB21_172:
	s_andn2_b32 vcc_lo, exec_lo, s24
	s_cbranch_vccnz .LBB21_177
; %bb.173:
	s_andn2_b32 vcc_lo, exec_lo, s29
	s_cbranch_vccnz .LBB21_178
; %bb.174:
	s_add_i32 s33, s28, 1
	s_cmp_eq_u32 s23, 2
	s_cbranch_scc1 .LBB21_195
; %bb.175:
	v_mov_b32_e32 v2, 0
	v_mov_b32_e32 v0, 0
	v_mov_b32_e32 v1, v19
	s_and_b32 s31, s33, 28
	s_mov_b32 s34, 0
	s_mov_b64 s[18:19], s[12:13]
	s_mov_b64 s[20:21], s[16:17]
.LBB21_176:                             ; =>This Inner Loop Header: Depth=1
	s_clause 0x1
	s_load_dwordx8 s[36:43], s[18:19], 0x4
	s_load_dwordx4 s[52:55], s[18:19], 0x24
	s_load_dwordx8 s[44:51], s[20:21], 0x0
	s_add_u32 s18, s18, 48
	s_addc_u32 s19, s19, 0
	s_add_i32 s34, s34, 4
	s_add_u32 s20, s20, 32
	s_addc_u32 s21, s21, 0
	s_cmp_eq_u32 s31, s34
	s_waitcnt lgkmcnt(0)
	v_mul_hi_u32 v3, s37, v1
	v_add_nc_u32_e32 v3, v1, v3
	v_lshrrev_b32_e32 v3, s38, v3
	v_mul_hi_u32 v4, s40, v3
	v_mul_lo_u32 v6, v3, s36
	v_add_nc_u32_e32 v4, v3, v4
	v_sub_nc_u32_e32 v1, v1, v6
	v_lshrrev_b32_e32 v4, s41, v4
	v_mul_lo_u32 v6, v1, s44
	v_mul_lo_u32 v8, v1, s45
	v_mul_hi_u32 v5, s43, v4
	v_add_nc_u32_e32 v5, v4, v5
	v_lshrrev_b32_e32 v5, s52, v5
	v_mul_hi_u32 v7, s54, v5
	v_mul_lo_u32 v9, v5, s42
	v_add_nc_u32_e32 v1, v5, v7
	v_mul_lo_u32 v7, v4, s39
	v_sub_nc_u32_e32 v4, v4, v9
	v_lshrrev_b32_e32 v1, s55, v1
	v_mul_lo_u32 v9, v4, s48
	v_mul_lo_u32 v4, v4, s49
	v_sub_nc_u32_e32 v3, v3, v7
	v_mul_lo_u32 v10, v1, s53
	v_mul_lo_u32 v7, v3, s46
	;; [unrolled: 1-line block ×3, first 2 shown]
	v_sub_nc_u32_e32 v5, v5, v10
	v_add3_u32 v0, v6, v0, v7
	v_mul_lo_u32 v10, v5, s50
	v_mul_lo_u32 v5, v5, s51
	v_add3_u32 v2, v8, v2, v3
	v_add3_u32 v0, v9, v0, v10
	;; [unrolled: 1-line block ×3, first 2 shown]
	s_cbranch_scc0 .LBB21_176
	s_branch .LBB21_196
.LBB21_177:
                                        ; implicit-def: $vgpr0
                                        ; implicit-def: $vgpr2
	s_branch .LBB21_200
.LBB21_178:
	v_mov_b32_e32 v0, 0
	v_mov_b32_e32 v2, 0
	s_branch .LBB21_199
.LBB21_179:
	v_mov_b32_e32 v0, 0
	v_mov_b32_e32 v2, 0
	;; [unrolled: 1-line block ×3, first 2 shown]
	s_mov_b32 s31, 0
.LBB21_180:
	s_and_b32 s33, s33, 3
	s_cmp_eq_u32 s33, 0
	s_cbranch_scc1 .LBB21_183
; %bb.181:
	s_lshl_b32 s18, s31, 3
	s_mul_i32 s20, s31, 12
	s_add_u32 s18, s12, s18
	s_addc_u32 s19, s13, 0
	s_add_u32 s18, s18, 0xc4
	s_addc_u32 s19, s19, 0
	;; [unrolled: 2-line block ×3, first 2 shown]
	.p2align	6
.LBB21_182:                             ; =>This Inner Loop Header: Depth=1
	s_clause 0x1
	s_load_dwordx2 s[34:35], s[20:21], 0x4
	s_load_dword s31, s[20:21], 0xc
	s_load_dwordx2 s[36:37], s[18:19], 0x0
	s_add_u32 s20, s20, 12
	s_addc_u32 s21, s21, 0
	s_add_u32 s18, s18, 8
	s_addc_u32 s19, s19, 0
	s_add_i32 s33, s33, -1
	s_cmp_lg_u32 s33, 0
	s_waitcnt lgkmcnt(0)
	v_mul_hi_u32 v3, s35, v1
	v_add_nc_u32_e32 v3, v1, v3
	v_lshrrev_b32_e32 v4, s31, v3
	v_mul_lo_u32 v3, v4, s34
	v_sub_nc_u32_e32 v3, v1, v3
	v_mad_u64_u32 v[0:1], null, v3, s36, v[0:1]
	v_mad_u64_u32 v[2:3], null, v3, s37, v[2:3]
	v_mov_b32_e32 v1, v4
	s_cbranch_scc1 .LBB21_182
.LBB21_183:
	s_cbranch_execnz .LBB21_186
.LBB21_184:
	s_waitcnt lgkmcnt(0)
	v_mul_hi_u32 v0, s9, v19
	s_andn2_b32 vcc_lo, exec_lo, s26
	v_add_nc_u32_e32 v0, v19, v0
	v_lshrrev_b32_e32 v1, s10, v0
	v_mul_lo_u32 v0, v1, s8
	v_sub_nc_u32_e32 v2, v19, v0
	v_mul_lo_u32 v0, v2, s4
	v_mul_lo_u32 v2, v2, s5
	s_cbranch_vccnz .LBB21_186
; %bb.185:
	v_mul_hi_u32 v3, s14, v1
	v_add_nc_u32_e32 v3, v1, v3
	v_lshrrev_b32_e32 v3, s15, v3
	v_mul_lo_u32 v3, v3, s11
	v_sub_nc_u32_e32 v3, v1, v3
	v_mad_u64_u32 v[0:1], null, v3, s6, v[0:1]
	v_mad_u64_u32 v[2:3], null, v3, s7, v[2:3]
.LBB21_186:
	s_waitcnt lgkmcnt(0)
	global_load_ushort v1, v2, s[2:3]
	s_mov_b32 s18, 0x3b2d2a58
	v_add_nc_u32_e32 v19, 0x80, v19
	s_waitcnt vmcnt(0)
	v_cvt_f32_f16_e32 v2, v1
	v_rcp_f32_e64 v3, |v2|
	v_cmp_gt_f32_e64 vcc_lo, |v2|, 1.0
	v_cndmask_b32_e64 v2, |v2|, v3, vcc_lo
	v_mul_f32_e32 v3, v2, v2
	v_fmaak_f32 v4, s18, v3, 0xbc7a590c
	v_fmaak_f32 v4, v3, v4, 0x3d29fb3f
	;; [unrolled: 1-line block ×7, first 2 shown]
	v_mul_f32_e32 v3, v3, v4
	v_fmac_f32_e32 v2, v2, v3
	v_sub_f32_e32 v3, 0x3fc90fdb, v2
	v_cndmask_b32_e32 v2, v2, v3, vcc_lo
	v_cvt_f16_f32_e32 v2, v2
	v_bfi_b32 v1, 0x7fff, v2, v1
	global_store_short v0, v1, s[0:1]
	s_or_b32 exec_lo, exec_lo, s30
	s_mov_b32 s30, exec_lo
	v_cmpx_gt_i32_e64 s27, v19
	s_cbranch_execnz .LBB21_172
.LBB21_187:
	s_or_b32 exec_lo, exec_lo, s30
	s_mov_b32 s30, exec_lo
	v_cmpx_gt_i32_e64 s27, v19
	s_cbranch_execz .LBB21_203
.LBB21_188:
	s_andn2_b32 vcc_lo, exec_lo, s24
	s_cbranch_vccnz .LBB21_193
; %bb.189:
	s_andn2_b32 vcc_lo, exec_lo, s29
	s_cbranch_vccnz .LBB21_194
; %bb.190:
	s_add_i32 s33, s28, 1
	s_cmp_eq_u32 s23, 2
	s_cbranch_scc1 .LBB21_211
; %bb.191:
	v_mov_b32_e32 v2, 0
	v_mov_b32_e32 v0, 0
	;; [unrolled: 1-line block ×3, first 2 shown]
	s_and_b32 s31, s33, 28
	s_mov_b32 s34, 0
	s_mov_b64 s[18:19], s[12:13]
	s_mov_b64 s[20:21], s[16:17]
.LBB21_192:                             ; =>This Inner Loop Header: Depth=1
	s_clause 0x1
	s_load_dwordx8 s[36:43], s[18:19], 0x4
	s_load_dwordx4 s[52:55], s[18:19], 0x24
	s_load_dwordx8 s[44:51], s[20:21], 0x0
	s_add_u32 s18, s18, 48
	s_addc_u32 s19, s19, 0
	s_add_i32 s34, s34, 4
	s_add_u32 s20, s20, 32
	s_addc_u32 s21, s21, 0
	s_cmp_eq_u32 s31, s34
	s_waitcnt lgkmcnt(0)
	v_mul_hi_u32 v3, s37, v1
	v_add_nc_u32_e32 v3, v1, v3
	v_lshrrev_b32_e32 v3, s38, v3
	v_mul_hi_u32 v4, s40, v3
	v_mul_lo_u32 v6, v3, s36
	v_add_nc_u32_e32 v4, v3, v4
	v_sub_nc_u32_e32 v1, v1, v6
	v_lshrrev_b32_e32 v4, s41, v4
	v_mul_lo_u32 v6, v1, s44
	v_mul_lo_u32 v8, v1, s45
	v_mul_hi_u32 v5, s43, v4
	v_add_nc_u32_e32 v5, v4, v5
	v_lshrrev_b32_e32 v5, s52, v5
	v_mul_hi_u32 v7, s54, v5
	v_mul_lo_u32 v9, v5, s42
	v_add_nc_u32_e32 v1, v5, v7
	v_mul_lo_u32 v7, v4, s39
	v_sub_nc_u32_e32 v4, v4, v9
	v_lshrrev_b32_e32 v1, s55, v1
	v_mul_lo_u32 v9, v4, s48
	v_mul_lo_u32 v4, v4, s49
	v_sub_nc_u32_e32 v3, v3, v7
	v_mul_lo_u32 v10, v1, s53
	v_mul_lo_u32 v7, v3, s46
	;; [unrolled: 1-line block ×3, first 2 shown]
	v_sub_nc_u32_e32 v5, v5, v10
	v_add3_u32 v0, v6, v0, v7
	v_mul_lo_u32 v10, v5, s50
	v_mul_lo_u32 v5, v5, s51
	v_add3_u32 v2, v8, v2, v3
	v_add3_u32 v0, v9, v0, v10
	;; [unrolled: 1-line block ×3, first 2 shown]
	s_cbranch_scc0 .LBB21_192
	s_branch .LBB21_212
.LBB21_193:
                                        ; implicit-def: $vgpr0
                                        ; implicit-def: $vgpr2
	s_branch .LBB21_216
.LBB21_194:
	v_mov_b32_e32 v0, 0
	v_mov_b32_e32 v2, 0
	s_branch .LBB21_215
.LBB21_195:
	v_mov_b32_e32 v0, 0
	v_mov_b32_e32 v2, 0
	v_mov_b32_e32 v1, v19
	s_mov_b32 s31, 0
.LBB21_196:
	s_and_b32 s33, s33, 3
	s_cmp_eq_u32 s33, 0
	s_cbranch_scc1 .LBB21_199
; %bb.197:
	s_lshl_b32 s18, s31, 3
	s_mul_i32 s20, s31, 12
	s_add_u32 s18, s12, s18
	s_addc_u32 s19, s13, 0
	s_add_u32 s18, s18, 0xc4
	s_addc_u32 s19, s19, 0
	;; [unrolled: 2-line block ×3, first 2 shown]
	.p2align	6
.LBB21_198:                             ; =>This Inner Loop Header: Depth=1
	s_clause 0x1
	s_load_dwordx2 s[34:35], s[20:21], 0x4
	s_load_dword s31, s[20:21], 0xc
	s_load_dwordx2 s[36:37], s[18:19], 0x0
	s_add_u32 s20, s20, 12
	s_addc_u32 s21, s21, 0
	s_add_u32 s18, s18, 8
	s_addc_u32 s19, s19, 0
	s_add_i32 s33, s33, -1
	s_cmp_lg_u32 s33, 0
	s_waitcnt lgkmcnt(0)
	v_mul_hi_u32 v3, s35, v1
	v_add_nc_u32_e32 v3, v1, v3
	v_lshrrev_b32_e32 v4, s31, v3
	v_mul_lo_u32 v3, v4, s34
	v_sub_nc_u32_e32 v3, v1, v3
	v_mad_u64_u32 v[0:1], null, v3, s36, v[0:1]
	v_mad_u64_u32 v[2:3], null, v3, s37, v[2:3]
	v_mov_b32_e32 v1, v4
	s_cbranch_scc1 .LBB21_198
.LBB21_199:
	s_cbranch_execnz .LBB21_202
.LBB21_200:
	s_waitcnt lgkmcnt(0)
	v_mul_hi_u32 v0, s9, v19
	s_andn2_b32 vcc_lo, exec_lo, s26
	v_add_nc_u32_e32 v0, v19, v0
	v_lshrrev_b32_e32 v1, s10, v0
	v_mul_lo_u32 v0, v1, s8
	v_sub_nc_u32_e32 v2, v19, v0
	v_mul_lo_u32 v0, v2, s4
	v_mul_lo_u32 v2, v2, s5
	s_cbranch_vccnz .LBB21_202
; %bb.201:
	v_mul_hi_u32 v3, s14, v1
	v_add_nc_u32_e32 v3, v1, v3
	v_lshrrev_b32_e32 v3, s15, v3
	v_mul_lo_u32 v3, v3, s11
	v_sub_nc_u32_e32 v3, v1, v3
	v_mad_u64_u32 v[0:1], null, v3, s6, v[0:1]
	v_mad_u64_u32 v[2:3], null, v3, s7, v[2:3]
.LBB21_202:
	s_waitcnt lgkmcnt(0)
	global_load_ushort v1, v2, s[2:3]
	s_mov_b32 s18, 0x3b2d2a58
	v_add_nc_u32_e32 v19, 0x80, v19
	s_waitcnt vmcnt(0)
	v_cvt_f32_f16_e32 v2, v1
	v_rcp_f32_e64 v3, |v2|
	v_cmp_gt_f32_e64 vcc_lo, |v2|, 1.0
	v_cndmask_b32_e64 v2, |v2|, v3, vcc_lo
	v_mul_f32_e32 v3, v2, v2
	v_fmaak_f32 v4, s18, v3, 0xbc7a590c
	v_fmaak_f32 v4, v3, v4, 0x3d29fb3f
	;; [unrolled: 1-line block ×7, first 2 shown]
	v_mul_f32_e32 v3, v3, v4
	v_fmac_f32_e32 v2, v2, v3
	v_sub_f32_e32 v3, 0x3fc90fdb, v2
	v_cndmask_b32_e32 v2, v2, v3, vcc_lo
	v_cvt_f16_f32_e32 v2, v2
	v_bfi_b32 v1, 0x7fff, v2, v1
	global_store_short v0, v1, s[0:1]
	s_or_b32 exec_lo, exec_lo, s30
	s_mov_b32 s30, exec_lo
	v_cmpx_gt_i32_e64 s27, v19
	s_cbranch_execnz .LBB21_188
.LBB21_203:
	s_or_b32 exec_lo, exec_lo, s30
	s_mov_b32 s30, exec_lo
	v_cmpx_gt_i32_e64 s27, v19
	s_cbranch_execz .LBB21_219
.LBB21_204:
	s_andn2_b32 vcc_lo, exec_lo, s24
	s_cbranch_vccnz .LBB21_209
; %bb.205:
	s_andn2_b32 vcc_lo, exec_lo, s29
	s_cbranch_vccnz .LBB21_210
; %bb.206:
	s_add_i32 s33, s28, 1
	s_cmp_eq_u32 s23, 2
	s_cbranch_scc1 .LBB21_222
; %bb.207:
	v_mov_b32_e32 v2, 0
	v_mov_b32_e32 v0, 0
	;; [unrolled: 1-line block ×3, first 2 shown]
	s_and_b32 s31, s33, 28
	s_mov_b32 s34, 0
	s_mov_b64 s[18:19], s[12:13]
	s_mov_b64 s[20:21], s[16:17]
.LBB21_208:                             ; =>This Inner Loop Header: Depth=1
	s_clause 0x1
	s_load_dwordx8 s[36:43], s[18:19], 0x4
	s_load_dwordx4 s[52:55], s[18:19], 0x24
	s_load_dwordx8 s[44:51], s[20:21], 0x0
	s_add_u32 s18, s18, 48
	s_addc_u32 s19, s19, 0
	s_add_i32 s34, s34, 4
	s_add_u32 s20, s20, 32
	s_addc_u32 s21, s21, 0
	s_cmp_eq_u32 s31, s34
	s_waitcnt lgkmcnt(0)
	v_mul_hi_u32 v3, s37, v1
	v_add_nc_u32_e32 v3, v1, v3
	v_lshrrev_b32_e32 v3, s38, v3
	v_mul_hi_u32 v4, s40, v3
	v_mul_lo_u32 v6, v3, s36
	v_add_nc_u32_e32 v4, v3, v4
	v_sub_nc_u32_e32 v1, v1, v6
	v_lshrrev_b32_e32 v4, s41, v4
	v_mul_lo_u32 v6, v1, s44
	v_mul_lo_u32 v8, v1, s45
	v_mul_hi_u32 v5, s43, v4
	v_add_nc_u32_e32 v5, v4, v5
	v_lshrrev_b32_e32 v5, s52, v5
	v_mul_hi_u32 v7, s54, v5
	v_mul_lo_u32 v9, v5, s42
	v_add_nc_u32_e32 v1, v5, v7
	v_mul_lo_u32 v7, v4, s39
	v_sub_nc_u32_e32 v4, v4, v9
	v_lshrrev_b32_e32 v1, s55, v1
	v_mul_lo_u32 v9, v4, s48
	v_mul_lo_u32 v4, v4, s49
	v_sub_nc_u32_e32 v3, v3, v7
	v_mul_lo_u32 v10, v1, s53
	v_mul_lo_u32 v7, v3, s46
	;; [unrolled: 1-line block ×3, first 2 shown]
	v_sub_nc_u32_e32 v5, v5, v10
	v_add3_u32 v0, v6, v0, v7
	v_mul_lo_u32 v10, v5, s50
	v_mul_lo_u32 v5, v5, s51
	v_add3_u32 v2, v8, v2, v3
	v_add3_u32 v0, v9, v0, v10
	;; [unrolled: 1-line block ×3, first 2 shown]
	s_cbranch_scc0 .LBB21_208
	s_branch .LBB21_223
.LBB21_209:
                                        ; implicit-def: $vgpr0
                                        ; implicit-def: $vgpr2
	s_branch .LBB21_227
.LBB21_210:
	v_mov_b32_e32 v0, 0
	v_mov_b32_e32 v2, 0
	s_branch .LBB21_226
.LBB21_211:
	v_mov_b32_e32 v0, 0
	v_mov_b32_e32 v2, 0
	;; [unrolled: 1-line block ×3, first 2 shown]
	s_mov_b32 s31, 0
.LBB21_212:
	s_and_b32 s33, s33, 3
	s_cmp_eq_u32 s33, 0
	s_cbranch_scc1 .LBB21_215
; %bb.213:
	s_lshl_b32 s18, s31, 3
	s_mul_i32 s20, s31, 12
	s_add_u32 s18, s12, s18
	s_addc_u32 s19, s13, 0
	s_add_u32 s18, s18, 0xc4
	s_addc_u32 s19, s19, 0
	;; [unrolled: 2-line block ×3, first 2 shown]
	.p2align	6
.LBB21_214:                             ; =>This Inner Loop Header: Depth=1
	s_clause 0x1
	s_load_dwordx2 s[34:35], s[20:21], 0x4
	s_load_dword s31, s[20:21], 0xc
	s_load_dwordx2 s[36:37], s[18:19], 0x0
	s_add_u32 s20, s20, 12
	s_addc_u32 s21, s21, 0
	s_add_u32 s18, s18, 8
	s_addc_u32 s19, s19, 0
	s_add_i32 s33, s33, -1
	s_cmp_lg_u32 s33, 0
	s_waitcnt lgkmcnt(0)
	v_mul_hi_u32 v3, s35, v1
	v_add_nc_u32_e32 v3, v1, v3
	v_lshrrev_b32_e32 v4, s31, v3
	v_mul_lo_u32 v3, v4, s34
	v_sub_nc_u32_e32 v3, v1, v3
	v_mad_u64_u32 v[0:1], null, v3, s36, v[0:1]
	v_mad_u64_u32 v[2:3], null, v3, s37, v[2:3]
	v_mov_b32_e32 v1, v4
	s_cbranch_scc1 .LBB21_214
.LBB21_215:
	s_cbranch_execnz .LBB21_218
.LBB21_216:
	s_waitcnt lgkmcnt(0)
	v_mul_hi_u32 v0, s9, v19
	s_andn2_b32 vcc_lo, exec_lo, s26
	v_add_nc_u32_e32 v0, v19, v0
	v_lshrrev_b32_e32 v1, s10, v0
	v_mul_lo_u32 v0, v1, s8
	v_sub_nc_u32_e32 v2, v19, v0
	v_mul_lo_u32 v0, v2, s4
	v_mul_lo_u32 v2, v2, s5
	s_cbranch_vccnz .LBB21_218
; %bb.217:
	v_mul_hi_u32 v3, s14, v1
	v_add_nc_u32_e32 v3, v1, v3
	v_lshrrev_b32_e32 v3, s15, v3
	v_mul_lo_u32 v3, v3, s11
	v_sub_nc_u32_e32 v3, v1, v3
	v_mad_u64_u32 v[0:1], null, v3, s6, v[0:1]
	v_mad_u64_u32 v[2:3], null, v3, s7, v[2:3]
.LBB21_218:
	s_waitcnt lgkmcnt(0)
	global_load_ushort v1, v2, s[2:3]
	s_mov_b32 s18, 0x3b2d2a58
	v_add_nc_u32_e32 v19, 0x80, v19
	s_waitcnt vmcnt(0)
	v_cvt_f32_f16_e32 v2, v1
	v_rcp_f32_e64 v3, |v2|
	v_cmp_gt_f32_e64 vcc_lo, |v2|, 1.0
	v_cndmask_b32_e64 v2, |v2|, v3, vcc_lo
	v_mul_f32_e32 v3, v2, v2
	v_fmaak_f32 v4, s18, v3, 0xbc7a590c
	v_fmaak_f32 v4, v3, v4, 0x3d29fb3f
	;; [unrolled: 1-line block ×7, first 2 shown]
	v_mul_f32_e32 v3, v3, v4
	v_fmac_f32_e32 v2, v2, v3
	v_sub_f32_e32 v3, 0x3fc90fdb, v2
	v_cndmask_b32_e32 v2, v2, v3, vcc_lo
	v_cvt_f16_f32_e32 v2, v2
	v_bfi_b32 v1, 0x7fff, v2, v1
	global_store_short v0, v1, s[0:1]
	s_or_b32 exec_lo, exec_lo, s30
	s_mov_b32 s30, exec_lo
	v_cmpx_gt_i32_e64 s27, v19
	s_cbranch_execnz .LBB21_204
.LBB21_219:
	s_or_b32 exec_lo, exec_lo, s30
	s_mov_b32 s20, exec_lo
	v_cmpx_gt_i32_e64 s27, v19
	s_cbranch_execnz .LBB21_230
.LBB21_220:
	s_or_b32 exec_lo, exec_lo, s20
                                        ; implicit-def: $vgpr25
                                        ; implicit-def: $vgpr19
	s_waitcnt lgkmcnt(0)
	s_andn2_saveexec_b32 s0, s25
	s_cbranch_execnz .LBB21_8
.LBB21_221:
	s_endpgm
.LBB21_222:
	v_mov_b32_e32 v0, 0
	v_mov_b32_e32 v2, 0
	v_mov_b32_e32 v1, v19
	s_mov_b32 s31, 0
.LBB21_223:
	s_and_b32 s33, s33, 3
	s_cmp_eq_u32 s33, 0
	s_cbranch_scc1 .LBB21_226
; %bb.224:
	s_lshl_b32 s18, s31, 3
	s_mul_i32 s20, s31, 12
	s_add_u32 s18, s12, s18
	s_addc_u32 s19, s13, 0
	s_add_u32 s18, s18, 0xc4
	s_addc_u32 s19, s19, 0
	;; [unrolled: 2-line block ×3, first 2 shown]
	.p2align	6
.LBB21_225:                             ; =>This Inner Loop Header: Depth=1
	s_clause 0x1
	s_load_dwordx2 s[34:35], s[20:21], 0x4
	s_load_dword s31, s[20:21], 0xc
	s_load_dwordx2 s[36:37], s[18:19], 0x0
	s_add_u32 s20, s20, 12
	s_addc_u32 s21, s21, 0
	s_add_u32 s18, s18, 8
	s_addc_u32 s19, s19, 0
	s_add_i32 s33, s33, -1
	s_cmp_lg_u32 s33, 0
	s_waitcnt lgkmcnt(0)
	v_mul_hi_u32 v3, s35, v1
	v_add_nc_u32_e32 v3, v1, v3
	v_lshrrev_b32_e32 v4, s31, v3
	v_mul_lo_u32 v3, v4, s34
	v_sub_nc_u32_e32 v3, v1, v3
	v_mad_u64_u32 v[0:1], null, v3, s36, v[0:1]
	v_mad_u64_u32 v[2:3], null, v3, s37, v[2:3]
	v_mov_b32_e32 v1, v4
	s_cbranch_scc1 .LBB21_225
.LBB21_226:
	s_cbranch_execnz .LBB21_229
.LBB21_227:
	s_waitcnt lgkmcnt(0)
	v_mul_hi_u32 v0, s9, v19
	s_andn2_b32 vcc_lo, exec_lo, s26
	v_add_nc_u32_e32 v0, v19, v0
	v_lshrrev_b32_e32 v1, s10, v0
	v_mul_lo_u32 v0, v1, s8
	v_sub_nc_u32_e32 v2, v19, v0
	v_mul_lo_u32 v0, v2, s4
	v_mul_lo_u32 v2, v2, s5
	s_cbranch_vccnz .LBB21_229
; %bb.228:
	v_mul_hi_u32 v3, s14, v1
	v_add_nc_u32_e32 v3, v1, v3
	v_lshrrev_b32_e32 v3, s15, v3
	v_mul_lo_u32 v3, v3, s11
	v_sub_nc_u32_e32 v3, v1, v3
	v_mad_u64_u32 v[0:1], null, v3, s6, v[0:1]
	v_mad_u64_u32 v[2:3], null, v3, s7, v[2:3]
.LBB21_229:
	s_waitcnt lgkmcnt(0)
	global_load_ushort v1, v2, s[2:3]
	s_mov_b32 s18, 0x3b2d2a58
	v_add_nc_u32_e32 v19, 0x80, v19
	s_waitcnt vmcnt(0)
	v_cvt_f32_f16_e32 v2, v1
	v_rcp_f32_e64 v3, |v2|
	v_cmp_gt_f32_e64 vcc_lo, |v2|, 1.0
	v_cndmask_b32_e64 v2, |v2|, v3, vcc_lo
	v_mul_f32_e32 v3, v2, v2
	v_fmaak_f32 v4, s18, v3, 0xbc7a590c
	v_fmaak_f32 v4, v3, v4, 0x3d29fb3f
	;; [unrolled: 1-line block ×7, first 2 shown]
	v_mul_f32_e32 v3, v3, v4
	v_fmac_f32_e32 v2, v2, v3
	v_sub_f32_e32 v3, 0x3fc90fdb, v2
	v_cndmask_b32_e32 v2, v2, v3, vcc_lo
	v_cvt_f16_f32_e32 v2, v2
	v_bfi_b32 v1, 0x7fff, v2, v1
	global_store_short v0, v1, s[0:1]
	s_or_b32 exec_lo, exec_lo, s30
	s_mov_b32 s20, exec_lo
	v_cmpx_gt_i32_e64 s27, v19
	s_cbranch_execz .LBB21_220
.LBB21_230:
	s_andn2_b32 vcc_lo, exec_lo, s24
	s_cbranch_vccnz .LBB21_235
; %bb.231:
	s_andn2_b32 vcc_lo, exec_lo, s29
	s_cbranch_vccnz .LBB21_236
; %bb.232:
	s_add_i32 s28, s28, 1
	s_cmp_eq_u32 s23, 2
	s_cbranch_scc1 .LBB21_237
; %bb.233:
	v_mov_b32_e32 v2, 0
	v_mov_b32_e32 v0, 0
	;; [unrolled: 1-line block ×3, first 2 shown]
	s_and_b32 s21, s28, 28
	s_mov_b32 s27, 0
	s_mov_b64 s[18:19], s[12:13]
.LBB21_234:                             ; =>This Inner Loop Header: Depth=1
	s_clause 0x1
	s_load_dwordx8 s[36:43], s[18:19], 0x4
	s_load_dwordx4 s[52:55], s[18:19], 0x24
	s_load_dwordx8 s[44:51], s[16:17], 0x0
	s_add_u32 s18, s18, 48
	s_addc_u32 s19, s19, 0
	s_add_i32 s27, s27, 4
	s_add_u32 s16, s16, 32
	s_addc_u32 s17, s17, 0
	s_cmp_eq_u32 s21, s27
	s_waitcnt lgkmcnt(0)
	v_mul_hi_u32 v3, s37, v1
	v_add_nc_u32_e32 v3, v1, v3
	v_lshrrev_b32_e32 v3, s38, v3
	v_mul_hi_u32 v4, s40, v3
	v_mul_lo_u32 v6, v3, s36
	v_add_nc_u32_e32 v4, v3, v4
	v_sub_nc_u32_e32 v1, v1, v6
	v_lshrrev_b32_e32 v4, s41, v4
	v_mul_lo_u32 v6, v1, s44
	v_mul_lo_u32 v8, v1, s45
	v_mul_hi_u32 v5, s43, v4
	v_add_nc_u32_e32 v5, v4, v5
	v_lshrrev_b32_e32 v5, s52, v5
	v_mul_hi_u32 v7, s54, v5
	v_mul_lo_u32 v9, v5, s42
	v_add_nc_u32_e32 v1, v5, v7
	v_mul_lo_u32 v7, v4, s39
	v_sub_nc_u32_e32 v4, v4, v9
	v_lshrrev_b32_e32 v1, s55, v1
	v_mul_lo_u32 v9, v4, s48
	v_mul_lo_u32 v4, v4, s49
	v_sub_nc_u32_e32 v3, v3, v7
	v_mul_lo_u32 v10, v1, s53
	v_mul_lo_u32 v7, v3, s46
	;; [unrolled: 1-line block ×3, first 2 shown]
	v_sub_nc_u32_e32 v5, v5, v10
	v_add3_u32 v0, v6, v0, v7
	v_mul_lo_u32 v10, v5, s50
	v_mul_lo_u32 v5, v5, s51
	v_add3_u32 v2, v8, v2, v3
	v_add3_u32 v0, v9, v0, v10
	;; [unrolled: 1-line block ×3, first 2 shown]
	s_cbranch_scc0 .LBB21_234
	s_branch .LBB21_238
.LBB21_235:
                                        ; implicit-def: $vgpr0
                                        ; implicit-def: $vgpr2
	s_branch .LBB21_242
.LBB21_236:
	v_mov_b32_e32 v0, 0
	v_mov_b32_e32 v2, 0
	s_branch .LBB21_241
.LBB21_237:
	v_mov_b32_e32 v0, 0
	v_mov_b32_e32 v2, 0
	;; [unrolled: 1-line block ×3, first 2 shown]
	s_mov_b32 s21, 0
.LBB21_238:
	s_and_b32 s27, s28, 3
	s_cmp_eq_u32 s27, 0
	s_cbranch_scc1 .LBB21_241
; %bb.239:
	s_lshl_b32 s16, s21, 3
	s_mul_i32 s18, s21, 12
	s_add_u32 s16, s12, s16
	s_addc_u32 s17, s13, 0
	s_add_u32 s16, s16, 0xc4
	s_addc_u32 s17, s17, 0
	;; [unrolled: 2-line block ×3, first 2 shown]
	.p2align	6
.LBB21_240:                             ; =>This Inner Loop Header: Depth=1
	s_clause 0x1
	s_load_dwordx2 s[28:29], s[18:19], 0x4
	s_load_dword s21, s[18:19], 0xc
	s_load_dwordx2 s[30:31], s[16:17], 0x0
	s_add_u32 s18, s18, 12
	s_addc_u32 s19, s19, 0
	s_add_u32 s16, s16, 8
	s_addc_u32 s17, s17, 0
	s_add_i32 s27, s27, -1
	s_cmp_lg_u32 s27, 0
	s_waitcnt lgkmcnt(0)
	v_mul_hi_u32 v3, s29, v1
	v_add_nc_u32_e32 v3, v1, v3
	v_lshrrev_b32_e32 v4, s21, v3
	v_mul_lo_u32 v3, v4, s28
	v_sub_nc_u32_e32 v3, v1, v3
	v_mad_u64_u32 v[0:1], null, v3, s30, v[0:1]
	v_mad_u64_u32 v[2:3], null, v3, s31, v[2:3]
	v_mov_b32_e32 v1, v4
	s_cbranch_scc1 .LBB21_240
.LBB21_241:
	s_cbranch_execnz .LBB21_244
.LBB21_242:
	s_waitcnt lgkmcnt(0)
	v_mul_hi_u32 v0, s9, v19
	s_andn2_b32 vcc_lo, exec_lo, s26
	v_add_nc_u32_e32 v0, v19, v0
	v_lshrrev_b32_e32 v1, s10, v0
	v_mul_lo_u32 v0, v1, s8
	v_sub_nc_u32_e32 v2, v19, v0
	v_mul_lo_u32 v0, v2, s4
	v_mul_lo_u32 v2, v2, s5
	s_cbranch_vccnz .LBB21_244
; %bb.243:
	v_mul_hi_u32 v3, s14, v1
	v_add_nc_u32_e32 v3, v1, v3
	v_lshrrev_b32_e32 v3, s15, v3
	v_mul_lo_u32 v3, v3, s11
	v_sub_nc_u32_e32 v3, v1, v3
	v_mad_u64_u32 v[0:1], null, v3, s6, v[0:1]
	v_mad_u64_u32 v[2:3], null, v3, s7, v[2:3]
.LBB21_244:
	s_waitcnt lgkmcnt(0)
	global_load_ushort v1, v2, s[2:3]
	s_mov_b32 s2, 0x3b2d2a58
	s_waitcnt vmcnt(0)
	v_cvt_f32_f16_e32 v2, v1
	v_rcp_f32_e64 v3, |v2|
	v_cmp_gt_f32_e64 vcc_lo, |v2|, 1.0
	v_cndmask_b32_e64 v2, |v2|, v3, vcc_lo
	v_mul_f32_e32 v3, v2, v2
	v_fmaak_f32 v4, s2, v3, 0xbc7a590c
	v_fmaak_f32 v4, v3, v4, 0x3d29fb3f
	v_fmaak_f32 v4, v3, v4, 0xbd97d4d7
	v_fmaak_f32 v4, v3, v4, 0x3dd931b2
	v_fmaak_f32 v4, v3, v4, 0xbe1160e6
	v_fmaak_f32 v4, v3, v4, 0x3e4cb8bf
	v_fmaak_f32 v4, v3, v4, 0xbeaaaa62
	v_mul_f32_e32 v3, v3, v4
	v_fmac_f32_e32 v2, v2, v3
	v_sub_f32_e32 v3, 0x3fc90fdb, v2
	v_cndmask_b32_e32 v2, v2, v3, vcc_lo
	v_cvt_f16_f32_e32 v2, v2
	v_bfi_b32 v1, 0x7fff, v2, v1
	global_store_short v0, v1, s[0:1]
	s_or_b32 exec_lo, exec_lo, s20
                                        ; implicit-def: $vgpr25
                                        ; implicit-def: $vgpr19
	s_andn2_saveexec_b32 s0, s25
	s_cbranch_execz .LBB21_221
	s_branch .LBB21_8
	.section	.rodata,"a",@progbits
	.p2align	6, 0x0
	.amdhsa_kernel _ZN2at6native32elementwise_kernel_manual_unrollILi128ELi8EZNS0_22gpu_kernel_impl_nocastIZZZNS0_16atan_kernel_cudaERNS_18TensorIteratorBaseEENKUlvE0_clEvENKUlvE1_clEvEUlN3c104HalfEE_EEvS4_RKT_EUlibE_EEviT1_
		.amdhsa_group_segment_fixed_size 0
		.amdhsa_private_segment_fixed_size 0
		.amdhsa_kernarg_size 360
		.amdhsa_user_sgpr_count 6
		.amdhsa_user_sgpr_private_segment_buffer 1
		.amdhsa_user_sgpr_dispatch_ptr 0
		.amdhsa_user_sgpr_queue_ptr 0
		.amdhsa_user_sgpr_kernarg_segment_ptr 1
		.amdhsa_user_sgpr_dispatch_id 0
		.amdhsa_user_sgpr_flat_scratch_init 0
		.amdhsa_user_sgpr_private_segment_size 0
		.amdhsa_wavefront_size32 1
		.amdhsa_uses_dynamic_stack 0
		.amdhsa_system_sgpr_private_segment_wavefront_offset 0
		.amdhsa_system_sgpr_workgroup_id_x 1
		.amdhsa_system_sgpr_workgroup_id_y 0
		.amdhsa_system_sgpr_workgroup_id_z 0
		.amdhsa_system_sgpr_workgroup_info 0
		.amdhsa_system_vgpr_workitem_id 0
		.amdhsa_next_free_vgpr 40
		.amdhsa_next_free_sgpr 56
		.amdhsa_reserve_vcc 1
		.amdhsa_reserve_flat_scratch 0
		.amdhsa_float_round_mode_32 0
		.amdhsa_float_round_mode_16_64 0
		.amdhsa_float_denorm_mode_32 3
		.amdhsa_float_denorm_mode_16_64 3
		.amdhsa_dx10_clamp 1
		.amdhsa_ieee_mode 1
		.amdhsa_fp16_overflow 0
		.amdhsa_workgroup_processor_mode 1
		.amdhsa_memory_ordered 1
		.amdhsa_forward_progress 1
		.amdhsa_shared_vgpr_count 0
		.amdhsa_exception_fp_ieee_invalid_op 0
		.amdhsa_exception_fp_denorm_src 0
		.amdhsa_exception_fp_ieee_div_zero 0
		.amdhsa_exception_fp_ieee_overflow 0
		.amdhsa_exception_fp_ieee_underflow 0
		.amdhsa_exception_fp_ieee_inexact 0
		.amdhsa_exception_int_div_zero 0
	.end_amdhsa_kernel
	.section	.text._ZN2at6native32elementwise_kernel_manual_unrollILi128ELi8EZNS0_22gpu_kernel_impl_nocastIZZZNS0_16atan_kernel_cudaERNS_18TensorIteratorBaseEENKUlvE0_clEvENKUlvE1_clEvEUlN3c104HalfEE_EEvS4_RKT_EUlibE_EEviT1_,"axG",@progbits,_ZN2at6native32elementwise_kernel_manual_unrollILi128ELi8EZNS0_22gpu_kernel_impl_nocastIZZZNS0_16atan_kernel_cudaERNS_18TensorIteratorBaseEENKUlvE0_clEvENKUlvE1_clEvEUlN3c104HalfEE_EEvS4_RKT_EUlibE_EEviT1_,comdat
.Lfunc_end21:
	.size	_ZN2at6native32elementwise_kernel_manual_unrollILi128ELi8EZNS0_22gpu_kernel_impl_nocastIZZZNS0_16atan_kernel_cudaERNS_18TensorIteratorBaseEENKUlvE0_clEvENKUlvE1_clEvEUlN3c104HalfEE_EEvS4_RKT_EUlibE_EEviT1_, .Lfunc_end21-_ZN2at6native32elementwise_kernel_manual_unrollILi128ELi8EZNS0_22gpu_kernel_impl_nocastIZZZNS0_16atan_kernel_cudaERNS_18TensorIteratorBaseEENKUlvE0_clEvENKUlvE1_clEvEUlN3c104HalfEE_EEvS4_RKT_EUlibE_EEviT1_
                                        ; -- End function
	.set _ZN2at6native32elementwise_kernel_manual_unrollILi128ELi8EZNS0_22gpu_kernel_impl_nocastIZZZNS0_16atan_kernel_cudaERNS_18TensorIteratorBaseEENKUlvE0_clEvENKUlvE1_clEvEUlN3c104HalfEE_EEvS4_RKT_EUlibE_EEviT1_.num_vgpr, 40
	.set _ZN2at6native32elementwise_kernel_manual_unrollILi128ELi8EZNS0_22gpu_kernel_impl_nocastIZZZNS0_16atan_kernel_cudaERNS_18TensorIteratorBaseEENKUlvE0_clEvENKUlvE1_clEvEUlN3c104HalfEE_EEvS4_RKT_EUlibE_EEviT1_.num_agpr, 0
	.set _ZN2at6native32elementwise_kernel_manual_unrollILi128ELi8EZNS0_22gpu_kernel_impl_nocastIZZZNS0_16atan_kernel_cudaERNS_18TensorIteratorBaseEENKUlvE0_clEvENKUlvE1_clEvEUlN3c104HalfEE_EEvS4_RKT_EUlibE_EEviT1_.numbered_sgpr, 56
	.set _ZN2at6native32elementwise_kernel_manual_unrollILi128ELi8EZNS0_22gpu_kernel_impl_nocastIZZZNS0_16atan_kernel_cudaERNS_18TensorIteratorBaseEENKUlvE0_clEvENKUlvE1_clEvEUlN3c104HalfEE_EEvS4_RKT_EUlibE_EEviT1_.num_named_barrier, 0
	.set _ZN2at6native32elementwise_kernel_manual_unrollILi128ELi8EZNS0_22gpu_kernel_impl_nocastIZZZNS0_16atan_kernel_cudaERNS_18TensorIteratorBaseEENKUlvE0_clEvENKUlvE1_clEvEUlN3c104HalfEE_EEvS4_RKT_EUlibE_EEviT1_.private_seg_size, 0
	.set _ZN2at6native32elementwise_kernel_manual_unrollILi128ELi8EZNS0_22gpu_kernel_impl_nocastIZZZNS0_16atan_kernel_cudaERNS_18TensorIteratorBaseEENKUlvE0_clEvENKUlvE1_clEvEUlN3c104HalfEE_EEvS4_RKT_EUlibE_EEviT1_.uses_vcc, 1
	.set _ZN2at6native32elementwise_kernel_manual_unrollILi128ELi8EZNS0_22gpu_kernel_impl_nocastIZZZNS0_16atan_kernel_cudaERNS_18TensorIteratorBaseEENKUlvE0_clEvENKUlvE1_clEvEUlN3c104HalfEE_EEvS4_RKT_EUlibE_EEviT1_.uses_flat_scratch, 0
	.set _ZN2at6native32elementwise_kernel_manual_unrollILi128ELi8EZNS0_22gpu_kernel_impl_nocastIZZZNS0_16atan_kernel_cudaERNS_18TensorIteratorBaseEENKUlvE0_clEvENKUlvE1_clEvEUlN3c104HalfEE_EEvS4_RKT_EUlibE_EEviT1_.has_dyn_sized_stack, 0
	.set _ZN2at6native32elementwise_kernel_manual_unrollILi128ELi8EZNS0_22gpu_kernel_impl_nocastIZZZNS0_16atan_kernel_cudaERNS_18TensorIteratorBaseEENKUlvE0_clEvENKUlvE1_clEvEUlN3c104HalfEE_EEvS4_RKT_EUlibE_EEviT1_.has_recursion, 0
	.set _ZN2at6native32elementwise_kernel_manual_unrollILi128ELi8EZNS0_22gpu_kernel_impl_nocastIZZZNS0_16atan_kernel_cudaERNS_18TensorIteratorBaseEENKUlvE0_clEvENKUlvE1_clEvEUlN3c104HalfEE_EEvS4_RKT_EUlibE_EEviT1_.has_indirect_call, 0
	.section	.AMDGPU.csdata,"",@progbits
; Kernel info:
; codeLenInByte = 14144
; TotalNumSgprs: 58
; NumVgprs: 40
; ScratchSize: 0
; MemoryBound: 0
; FloatMode: 240
; IeeeMode: 1
; LDSByteSize: 0 bytes/workgroup (compile time only)
; SGPRBlocks: 0
; VGPRBlocks: 4
; NumSGPRsForWavesPerEU: 58
; NumVGPRsForWavesPerEU: 40
; Occupancy: 16
; WaveLimiterHint : 1
; COMPUTE_PGM_RSRC2:SCRATCH_EN: 0
; COMPUTE_PGM_RSRC2:USER_SGPR: 6
; COMPUTE_PGM_RSRC2:TRAP_HANDLER: 0
; COMPUTE_PGM_RSRC2:TGID_X_EN: 1
; COMPUTE_PGM_RSRC2:TGID_Y_EN: 0
; COMPUTE_PGM_RSRC2:TGID_Z_EN: 0
; COMPUTE_PGM_RSRC2:TIDIG_COMP_CNT: 0
	.section	.text._ZN2at6native32elementwise_kernel_manual_unrollILi128ELi4EZNS0_15gpu_kernel_implIZZZNS0_16atan_kernel_cudaERNS_18TensorIteratorBaseEENKUlvE0_clEvENKUlvE1_clEvEUlN3c104HalfEE_EEvS4_RKT_EUlibE_EEviT1_,"axG",@progbits,_ZN2at6native32elementwise_kernel_manual_unrollILi128ELi4EZNS0_15gpu_kernel_implIZZZNS0_16atan_kernel_cudaERNS_18TensorIteratorBaseEENKUlvE0_clEvENKUlvE1_clEvEUlN3c104HalfEE_EEvS4_RKT_EUlibE_EEviT1_,comdat
	.globl	_ZN2at6native32elementwise_kernel_manual_unrollILi128ELi4EZNS0_15gpu_kernel_implIZZZNS0_16atan_kernel_cudaERNS_18TensorIteratorBaseEENKUlvE0_clEvENKUlvE1_clEvEUlN3c104HalfEE_EEvS4_RKT_EUlibE_EEviT1_ ; -- Begin function _ZN2at6native32elementwise_kernel_manual_unrollILi128ELi4EZNS0_15gpu_kernel_implIZZZNS0_16atan_kernel_cudaERNS_18TensorIteratorBaseEENKUlvE0_clEvENKUlvE1_clEvEUlN3c104HalfEE_EEvS4_RKT_EUlibE_EEviT1_
	.p2align	8
	.type	_ZN2at6native32elementwise_kernel_manual_unrollILi128ELi4EZNS0_15gpu_kernel_implIZZZNS0_16atan_kernel_cudaERNS_18TensorIteratorBaseEENKUlvE0_clEvENKUlvE1_clEvEUlN3c104HalfEE_EEvS4_RKT_EUlibE_EEviT1_,@function
_ZN2at6native32elementwise_kernel_manual_unrollILi128ELi4EZNS0_15gpu_kernel_implIZZZNS0_16atan_kernel_cudaERNS_18TensorIteratorBaseEENKUlvE0_clEvENKUlvE1_clEvEUlN3c104HalfEE_EEvS4_RKT_EUlibE_EEviT1_: ; @_ZN2at6native32elementwise_kernel_manual_unrollILi128ELi4EZNS0_15gpu_kernel_implIZZZNS0_16atan_kernel_cudaERNS_18TensorIteratorBaseEENKUlvE0_clEvENKUlvE1_clEvEUlN3c104HalfEE_EEvS4_RKT_EUlibE_EEviT1_
; %bb.0:
	v_mov_b32_e32 v1, 0
	s_clause 0x2
	s_load_dword s12, s[4:5], 0x0
	s_load_dwordx2 s[2:3], s[4:5], 0x18
	s_load_dwordx4 s[8:11], s[4:5], 0x8
	v_lshl_or_b32 v2, s6, 9, v0
	s_mov_b32 s7, 0
	global_load_ushort v1, v1, s[4:5] offset:33
	s_mov_b32 s4, 0
	v_or_b32_e32 v0, 0x180, v2
	s_waitcnt vmcnt(0)
	v_readfirstlane_b32 s1, v1
	s_and_b32 s0, 0xffff, s1
	s_lshr_b32 s5, s0, 8
	s_mov_b32 s0, exec_lo
	s_waitcnt lgkmcnt(0)
	v_cmpx_le_i32_e64 s12, v0
	s_xor_b32 s6, exec_lo, s0
	s_cbranch_execz .LBB22_1031
; %bb.1:
	s_mov_b32 s17, -1
	s_mov_b32 s15, 0
	s_mov_b32 s13, 0
	s_mov_b32 s14, exec_lo
	v_cmpx_gt_i32_e64 s12, v2
	s_cbranch_execz .LBB22_252
; %bb.2:
	v_mul_lo_u32 v0, v2, s3
	s_and_b32 s0, 0xffff, s5
	s_cmp_lt_i32 s0, 11
	v_ashrrev_i32_e32 v1, 31, v0
	v_add_co_u32 v0, vcc_lo, s10, v0
	v_add_co_ci_u32_e64 v1, null, s11, v1, vcc_lo
	s_cbranch_scc1 .LBB22_9
; %bb.3:
	s_cmp_gt_i32 s0, 25
	s_cbranch_scc0 .LBB22_18
; %bb.4:
	s_cmp_gt_i32 s0, 28
	s_cbranch_scc0 .LBB22_21
	;; [unrolled: 3-line block ×4, first 2 shown]
; %bb.7:
	s_cmp_eq_u32 s0, 46
	s_mov_b32 s16, 0
	s_cbranch_scc0 .LBB22_27
; %bb.8:
	global_load_dword v3, v[0:1], off
	s_mov_b32 s7, -1
	s_waitcnt vmcnt(0)
	v_lshlrev_b32_e32 v3, 16, v3
	v_cvt_f16_f32_e32 v3, v3
	s_branch .LBB22_29
.LBB22_9:
                                        ; implicit-def: $vgpr3
	s_cbranch_execnz .LBB22_202
.LBB22_10:
	s_andn2_b32 vcc_lo, exec_lo, s7
	s_cbranch_vccnz .LBB22_249
.LBB22_11:
	s_waitcnt vmcnt(0)
	v_cvt_f32_f16_e32 v0, v3
	s_mov_b32 s0, 0x3b2d2a58
	s_and_b32 s7, s1, 0xff
	s_cmp_lt_i32 s7, 11
	v_rcp_f32_e64 v1, |v0|
	v_cmp_gt_f32_e64 vcc_lo, |v0|, 1.0
	v_cndmask_b32_e64 v0, |v0|, v1, vcc_lo
	v_mul_f32_e32 v1, v0, v0
	v_fmaak_f32 v4, s0, v1, 0xbc7a590c
	v_fmaak_f32 v4, v1, v4, 0x3d29fb3f
	;; [unrolled: 1-line block ×7, first 2 shown]
	v_mul_f32_e32 v1, v1, v4
	v_mul_lo_u32 v4, v2, s2
	v_fmac_f32_e32 v0, v0, v1
	v_sub_f32_e32 v1, 0x3fc90fdb, v0
	v_cndmask_b32_e32 v0, v0, v1, vcc_lo
	v_ashrrev_i32_e32 v1, 31, v4
	v_cvt_f16_f32_e32 v5, v0
	v_add_co_u32 v0, vcc_lo, s8, v4
	v_add_co_ci_u32_e64 v1, null, s9, v1, vcc_lo
	v_bfi_b32 v3, 0x7fff, v5, v3
	s_cbranch_scc1 .LBB22_19
; %bb.12:
	s_and_b32 s16, 0xffff, s7
	s_cmp_gt_i32 s16, 25
	s_cbranch_scc0 .LBB22_22
; %bb.13:
	s_cmp_gt_i32 s16, 28
	s_cbranch_scc0 .LBB22_24
; %bb.14:
	;; [unrolled: 3-line block ×4, first 2 shown]
	s_mov_b32 s18, 0
	s_mov_b32 s0, -1
	s_cmp_eq_u32 s16, 46
	s_mov_b32 s17, 0
	s_cbranch_scc0 .LBB22_33
; %bb.17:
	v_cvt_f32_f16_e32 v4, v3
	v_cmp_o_f16_e32 vcc_lo, v3, v3
	s_mov_b32 s17, -1
	s_mov_b32 s0, 0
	v_bfe_u32 v5, v4, 16, 1
	v_add3_u32 v4, v4, v5, 0x7fff
	v_mov_b32_e32 v5, 0x7fc0
	v_cndmask_b32_sdwa v4, v5, v4, vcc_lo dst_sel:DWORD dst_unused:UNUSED_PAD src0_sel:DWORD src1_sel:WORD_1
	global_store_dword v[0:1], v4, off
	s_branch .LBB22_33
.LBB22_18:
                                        ; implicit-def: $vgpr3
	s_cbranch_execnz .LBB22_167
	s_branch .LBB22_201
.LBB22_19:
	s_mov_b32 s0, 0
	s_mov_b32 s17, 0
	s_cbranch_execnz .LBB22_102
.LBB22_20:
	s_andn2_b32 vcc_lo, exec_lo, s17
	s_cbranch_vccnz .LBB22_250
	s_branch .LBB22_140
.LBB22_21:
	s_mov_b32 s16, -1
                                        ; implicit-def: $vgpr3
	s_branch .LBB22_148
.LBB22_22:
	s_mov_b32 s18, -1
	s_mov_b32 s0, 0
	s_mov_b32 s17, 0
	s_branch .LBB22_60
.LBB22_23:
	s_mov_b32 s16, -1
                                        ; implicit-def: $vgpr3
	s_branch .LBB22_143
.LBB22_24:
	s_mov_b32 s18, -1
	s_mov_b32 s0, 0
	s_mov_b32 s17, 0
	s_branch .LBB22_43
.LBB22_25:
	s_mov_b32 s16, -1
	s_branch .LBB22_28
.LBB22_26:
	s_mov_b32 s18, -1
	s_mov_b32 s0, 0
	s_mov_b32 s17, 0
	s_branch .LBB22_39
.LBB22_27:
	s_mov_b32 s13, -1
.LBB22_28:
                                        ; implicit-def: $vgpr3
.LBB22_29:
	s_and_b32 vcc_lo, exec_lo, s16
	s_cbranch_vccz .LBB22_142
; %bb.30:
	s_cmp_eq_u32 s0, 44
	s_cbranch_scc0 .LBB22_141
; %bb.31:
	global_load_ubyte v3, v[0:1], off
	s_mov_b32 s13, 0
	s_mov_b32 s7, -1
	s_waitcnt vmcnt(0)
	v_lshlrev_b32_e32 v4, 23, v3
	v_cmp_ne_u32_e32 vcc_lo, 0xff, v3
	v_cvt_f16_f32_e32 v4, v4
	v_cndmask_b32_e32 v4, 0x7e00, v4, vcc_lo
	v_cmp_ne_u32_e32 vcc_lo, 0, v3
	v_cndmask_b32_e32 v3, 0, v4, vcc_lo
	s_branch .LBB22_142
.LBB22_32:
	s_mov_b32 s18, -1
	s_mov_b32 s0, 0
	s_mov_b32 s17, 0
.LBB22_33:
	s_and_b32 vcc_lo, exec_lo, s18
	s_cbranch_vccz .LBB22_38
; %bb.34:
	s_cmp_eq_u32 s16, 44
	s_mov_b32 s0, -1
	s_cbranch_scc0 .LBB22_38
; %bb.35:
	v_cvt_f32_f16_e32 v4, v3
	v_mov_b32_e32 v5, 0xff
	s_mov_b32 s17, exec_lo
	v_bfe_u32 v6, v4, 23, 8
	v_cmpx_ne_u32_e32 0xff, v6
	s_cbranch_execz .LBB22_37
; %bb.36:
	v_and_b32_e32 v5, 0x400000, v4
	v_and_or_b32 v6, 0x3fffff, v4, v6
	v_lshrrev_b32_e32 v4, 23, v4
	v_cmp_ne_u32_e32 vcc_lo, 0, v5
	v_cmp_ne_u32_e64 s0, 0, v6
	s_and_b32 s0, vcc_lo, s0
	v_cndmask_b32_e64 v5, 0, 1, s0
	v_add_nc_u32_e32 v5, v4, v5
.LBB22_37:
	s_or_b32 exec_lo, exec_lo, s17
	s_mov_b32 s17, -1
	s_mov_b32 s0, 0
	global_store_byte v[0:1], v5, off
.LBB22_38:
	s_mov_b32 s18, 0
.LBB22_39:
	s_and_b32 vcc_lo, exec_lo, s18
	s_cbranch_vccz .LBB22_42
; %bb.40:
	s_cmp_eq_u32 s16, 29
	s_mov_b32 s0, -1
	s_cbranch_scc0 .LBB22_42
; %bb.41:
	v_cvt_f32_f16_e32 v4, v3
	v_mov_b32_e32 v5, 0
	s_mov_b32 s17, -1
	s_mov_b32 s0, 0
	s_mov_b32 s18, 0
	v_cvt_u32_f32_e32 v4, v4
	global_store_dwordx2 v[0:1], v[4:5], off
	s_branch .LBB22_43
.LBB22_42:
	s_mov_b32 s18, 0
.LBB22_43:
	s_and_b32 vcc_lo, exec_lo, s18
	s_cbranch_vccz .LBB22_59
; %bb.44:
	s_cmp_lt_i32 s16, 27
	s_mov_b32 s17, -1
	s_cbranch_scc1 .LBB22_50
; %bb.45:
	s_cmp_gt_i32 s16, 27
	s_cbranch_scc0 .LBB22_47
; %bb.46:
	v_cvt_f32_f16_e32 v4, v3
	s_mov_b32 s17, 0
	v_cvt_u32_f32_e32 v4, v4
	global_store_dword v[0:1], v4, off
.LBB22_47:
	s_andn2_b32 vcc_lo, exec_lo, s17
	s_cbranch_vccnz .LBB22_49
; %bb.48:
	v_cvt_u16_f16_e32 v4, v3
	global_store_short v[0:1], v4, off
.LBB22_49:
	s_mov_b32 s17, 0
.LBB22_50:
	s_andn2_b32 vcc_lo, exec_lo, s17
	s_cbranch_vccnz .LBB22_58
; %bb.51:
	v_cvt_f32_f16_e32 v4, v3
	v_mov_b32_e32 v6, 0x80
	s_mov_b32 s17, exec_lo
	v_and_b32_e32 v5, 0x7fffffff, v4
	v_cmpx_gt_u32_e32 0x43800000, v5
	s_cbranch_execz .LBB22_57
; %bb.52:
	v_cmp_lt_u32_e32 vcc_lo, 0x3bffffff, v5
	s_mov_b32 s18, 0
                                        ; implicit-def: $vgpr5
	s_and_saveexec_b32 s19, vcc_lo
	s_xor_b32 s19, exec_lo, s19
	s_cbranch_execz .LBB22_279
; %bb.53:
	v_bfe_u32 v5, v4, 20, 1
	s_mov_b32 s18, exec_lo
	v_add3_u32 v5, v4, v5, 0x487ffff
	v_lshrrev_b32_e32 v5, 20, v5
	s_andn2_saveexec_b32 s19, s19
	s_cbranch_execnz .LBB22_280
.LBB22_54:
	s_or_b32 exec_lo, exec_lo, s19
	v_mov_b32_e32 v6, 0
	s_and_saveexec_b32 s19, s18
.LBB22_55:
	v_lshrrev_b32_e32 v4, 24, v4
	v_and_or_b32 v6, 0x80, v4, v5
.LBB22_56:
	s_or_b32 exec_lo, exec_lo, s19
.LBB22_57:
	s_or_b32 exec_lo, exec_lo, s17
	global_store_byte v[0:1], v6, off
.LBB22_58:
	s_mov_b32 s17, -1
.LBB22_59:
	s_mov_b32 s18, 0
.LBB22_60:
	s_and_b32 vcc_lo, exec_lo, s18
	s_cbranch_vccz .LBB22_101
; %bb.61:
	s_cmp_gt_i32 s16, 22
	s_mov_b32 s18, -1
	s_cbranch_scc0 .LBB22_93
; %bb.62:
	s_cmp_lt_i32 s16, 24
	s_mov_b32 s17, -1
	s_cbranch_scc1 .LBB22_82
; %bb.63:
	s_cmp_gt_i32 s16, 24
	s_cbranch_scc0 .LBB22_71
; %bb.64:
	v_cvt_f32_f16_e32 v4, v3
	v_mov_b32_e32 v6, 0x80
	s_mov_b32 s17, exec_lo
	v_and_b32_e32 v5, 0x7fffffff, v4
	v_cmpx_gt_u32_e32 0x47800000, v5
	s_cbranch_execz .LBB22_70
; %bb.65:
	v_cmp_lt_u32_e32 vcc_lo, 0x37ffffff, v5
	s_mov_b32 s18, 0
                                        ; implicit-def: $vgpr5
	s_and_saveexec_b32 s19, vcc_lo
	s_xor_b32 s19, exec_lo, s19
	s_cbranch_execz .LBB22_283
; %bb.66:
	v_bfe_u32 v5, v4, 21, 1
	s_mov_b32 s18, exec_lo
	v_add3_u32 v5, v4, v5, 0x88fffff
	v_lshrrev_b32_e32 v5, 21, v5
	s_andn2_saveexec_b32 s19, s19
	s_cbranch_execnz .LBB22_284
.LBB22_67:
	s_or_b32 exec_lo, exec_lo, s19
	v_mov_b32_e32 v6, 0
	s_and_saveexec_b32 s19, s18
.LBB22_68:
	v_lshrrev_b32_e32 v4, 24, v4
	v_and_or_b32 v6, 0x80, v4, v5
.LBB22_69:
	s_or_b32 exec_lo, exec_lo, s19
.LBB22_70:
	s_or_b32 exec_lo, exec_lo, s17
	s_mov_b32 s17, 0
	global_store_byte v[0:1], v6, off
.LBB22_71:
	s_and_b32 vcc_lo, exec_lo, s17
	s_cbranch_vccz .LBB22_81
; %bb.72:
	v_cvt_f32_f16_e32 v4, v3
	s_mov_b32 s17, exec_lo
                                        ; implicit-def: $vgpr5
	v_and_b32_e32 v6, 0x7fffffff, v4
	v_cmpx_gt_u32_e32 0x43f00000, v6
	s_xor_b32 s17, exec_lo, s17
	s_cbranch_execz .LBB22_78
; %bb.73:
	s_mov_b32 s18, exec_lo
                                        ; implicit-def: $vgpr5
	v_cmpx_lt_u32_e32 0x3c7fffff, v6
	s_xor_b32 s18, exec_lo, s18
; %bb.74:
	v_bfe_u32 v5, v4, 20, 1
	v_add3_u32 v5, v4, v5, 0x407ffff
	v_and_b32_e32 v6, 0xff00000, v5
	v_lshrrev_b32_e32 v5, 20, v5
	v_cmp_ne_u32_e32 vcc_lo, 0x7f00000, v6
	v_cndmask_b32_e32 v5, 0x7e, v5, vcc_lo
; %bb.75:
	s_andn2_saveexec_b32 s18, s18
; %bb.76:
	v_add_f32_e64 v5, 0x46800000, |v4|
; %bb.77:
	s_or_b32 exec_lo, exec_lo, s18
                                        ; implicit-def: $vgpr6
.LBB22_78:
	s_andn2_saveexec_b32 s17, s17
; %bb.79:
	v_mov_b32_e32 v5, 0x7f
	v_cmp_lt_u32_e32 vcc_lo, 0x7f800000, v6
	v_cndmask_b32_e32 v5, 0x7e, v5, vcc_lo
; %bb.80:
	s_or_b32 exec_lo, exec_lo, s17
	v_lshrrev_b32_e32 v4, 24, v4
	v_and_or_b32 v4, 0x80, v4, v5
	global_store_byte v[0:1], v4, off
.LBB22_81:
	s_mov_b32 s17, 0
.LBB22_82:
	s_andn2_b32 vcc_lo, exec_lo, s17
	s_cbranch_vccnz .LBB22_92
; %bb.83:
	v_cvt_f32_f16_e32 v4, v3
	s_mov_b32 s17, exec_lo
                                        ; implicit-def: $vgpr5
	v_and_b32_e32 v6, 0x7fffffff, v4
	v_cmpx_gt_u32_e32 0x47800000, v6
	s_xor_b32 s17, exec_lo, s17
	s_cbranch_execz .LBB22_89
; %bb.84:
	s_mov_b32 s18, exec_lo
                                        ; implicit-def: $vgpr5
	v_cmpx_lt_u32_e32 0x387fffff, v6
	s_xor_b32 s18, exec_lo, s18
; %bb.85:
	v_bfe_u32 v5, v4, 21, 1
	v_add3_u32 v5, v4, v5, 0x80fffff
	v_lshrrev_b32_e32 v5, 21, v5
; %bb.86:
	s_andn2_saveexec_b32 s18, s18
; %bb.87:
	v_add_f32_e64 v5, 0x43000000, |v4|
; %bb.88:
	s_or_b32 exec_lo, exec_lo, s18
                                        ; implicit-def: $vgpr6
.LBB22_89:
	s_andn2_saveexec_b32 s17, s17
; %bb.90:
	v_mov_b32_e32 v5, 0x7f
	v_cmp_lt_u32_e32 vcc_lo, 0x7f800000, v6
	v_cndmask_b32_e32 v5, 0x7c, v5, vcc_lo
; %bb.91:
	s_or_b32 exec_lo, exec_lo, s17
	v_lshrrev_b32_e32 v4, 24, v4
	v_and_or_b32 v4, 0x80, v4, v5
	global_store_byte v[0:1], v4, off
.LBB22_92:
	s_mov_b32 s18, 0
	s_mov_b32 s17, -1
.LBB22_93:
	s_andn2_b32 vcc_lo, exec_lo, s18
	s_cbranch_vccnz .LBB22_101
; %bb.94:
	s_cmp_gt_i32 s16, 14
	s_mov_b32 s18, -1
	s_cbranch_scc0 .LBB22_98
; %bb.95:
	s_cmp_eq_u32 s16, 15
	s_mov_b32 s0, -1
	s_cbranch_scc0 .LBB22_97
; %bb.96:
	v_cvt_f32_f16_e32 v4, v3
	v_cmp_o_f16_e32 vcc_lo, v3, v3
	s_mov_b32 s17, -1
	s_mov_b32 s0, 0
	v_bfe_u32 v5, v4, 16, 1
	v_add3_u32 v4, v4, v5, 0x7fff
	v_mov_b32_e32 v5, 0x7fc0
	v_cndmask_b32_sdwa v4, v5, v4, vcc_lo dst_sel:DWORD dst_unused:UNUSED_PAD src0_sel:DWORD src1_sel:WORD_1
	global_store_short v[0:1], v4, off
.LBB22_97:
	s_mov_b32 s18, 0
.LBB22_98:
	s_and_b32 vcc_lo, exec_lo, s18
	s_cbranch_vccz .LBB22_101
; %bb.99:
	s_cmp_eq_u32 s16, 11
	s_mov_b32 s0, -1
	s_cbranch_scc0 .LBB22_101
; %bb.100:
	v_cmp_neq_f16_e32 vcc_lo, 0, v3
	s_mov_b32 s0, 0
	s_mov_b32 s17, -1
	v_cndmask_b32_e64 v4, 0, 1, vcc_lo
	global_store_byte v[0:1], v4, off
.LBB22_101:
	s_branch .LBB22_20
.LBB22_102:
	s_and_b32 s7, 0xffff, s7
	s_mov_b32 s16, -1
	s_cmp_lt_i32 s7, 5
	s_cbranch_scc1 .LBB22_123
; %bb.103:
	s_cmp_lt_i32 s7, 8
	s_cbranch_scc1 .LBB22_113
; %bb.104:
	;; [unrolled: 3-line block ×3, first 2 shown]
	s_cmp_gt_i32 s7, 9
	s_cbranch_scc0 .LBB22_107
; %bb.106:
	v_cvt_f32_f16_e32 v4, v3
	v_mov_b32_e32 v6, 0
	s_mov_b32 s16, 0
	v_cvt_f64_f32_e32 v[4:5], v4
	v_mov_b32_e32 v7, v6
	global_store_dwordx4 v[0:1], v[4:7], off
.LBB22_107:
	s_andn2_b32 vcc_lo, exec_lo, s16
	s_cbranch_vccnz .LBB22_109
; %bb.108:
	v_cvt_f32_f16_e32 v4, v3
	v_mov_b32_e32 v5, 0
	global_store_dwordx2 v[0:1], v[4:5], off
.LBB22_109:
	s_mov_b32 s16, 0
.LBB22_110:
	s_andn2_b32 vcc_lo, exec_lo, s16
	s_cbranch_vccnz .LBB22_112
; %bb.111:
	v_and_b32_e32 v4, 0xffff, v3
	global_store_dword v[0:1], v4, off
.LBB22_112:
	s_mov_b32 s16, 0
.LBB22_113:
	s_andn2_b32 vcc_lo, exec_lo, s16
	s_cbranch_vccnz .LBB22_122
; %bb.114:
	s_cmp_lt_i32 s7, 6
	s_mov_b32 s16, -1
	s_cbranch_scc1 .LBB22_120
; %bb.115:
	s_cmp_gt_i32 s7, 6
	s_cbranch_scc0 .LBB22_117
; %bb.116:
	v_cvt_f32_f16_e32 v4, v3
	s_mov_b32 s16, 0
	v_cvt_f64_f32_e32 v[4:5], v4
	global_store_dwordx2 v[0:1], v[4:5], off
.LBB22_117:
	s_andn2_b32 vcc_lo, exec_lo, s16
	s_cbranch_vccnz .LBB22_119
; %bb.118:
	v_cvt_f32_f16_e32 v4, v3
	global_store_dword v[0:1], v4, off
.LBB22_119:
	s_mov_b32 s16, 0
.LBB22_120:
	s_andn2_b32 vcc_lo, exec_lo, s16
	s_cbranch_vccnz .LBB22_122
; %bb.121:
	global_store_short v[0:1], v3, off
.LBB22_122:
	s_mov_b32 s16, 0
.LBB22_123:
	s_andn2_b32 vcc_lo, exec_lo, s16
	s_cbranch_vccnz .LBB22_139
; %bb.124:
	s_cmp_lt_i32 s7, 2
	s_mov_b32 s16, -1
	s_cbranch_scc1 .LBB22_134
; %bb.125:
	s_cmp_lt_i32 s7, 3
	s_cbranch_scc1 .LBB22_131
; %bb.126:
	s_cmp_gt_i32 s7, 3
	s_cbranch_scc0 .LBB22_128
; %bb.127:
	v_cvt_f32_f16_e32 v4, v3
	s_mov_b32 s16, 0
	v_cvt_i32_f32_e32 v4, v4
	v_ashrrev_i32_e32 v5, 31, v4
	global_store_dwordx2 v[0:1], v[4:5], off
.LBB22_128:
	s_andn2_b32 vcc_lo, exec_lo, s16
	s_cbranch_vccnz .LBB22_130
; %bb.129:
	v_cvt_f32_f16_e32 v4, v3
	v_cvt_i32_f32_e32 v4, v4
	global_store_dword v[0:1], v4, off
.LBB22_130:
	s_mov_b32 s16, 0
.LBB22_131:
	s_andn2_b32 vcc_lo, exec_lo, s16
	s_cbranch_vccnz .LBB22_133
; %bb.132:
	v_cvt_i16_f16_e32 v4, v3
	global_store_short v[0:1], v4, off
.LBB22_133:
	s_mov_b32 s16, 0
.LBB22_134:
	s_andn2_b32 vcc_lo, exec_lo, s16
	s_cbranch_vccnz .LBB22_139
; %bb.135:
	s_cmp_gt_i32 s7, 0
	s_mov_b32 s7, -1
	s_cbranch_scc0 .LBB22_137
; %bb.136:
	v_cvt_i16_f16_e32 v4, v3
	s_mov_b32 s7, 0
	global_store_byte v[0:1], v4, off
.LBB22_137:
	s_andn2_b32 vcc_lo, exec_lo, s7
	s_cbranch_vccnz .LBB22_139
; %bb.138:
	v_cvt_f32_f16_e32 v3, v3
	v_cvt_i32_f32_e32 v3, v3
	global_store_byte v[0:1], v3, off
.LBB22_139:
.LBB22_140:
	v_add_nc_u32_e32 v2, 0x80, v2
	s_mov_b32 s16, -1
	s_branch .LBB22_251
.LBB22_141:
	s_mov_b32 s13, -1
                                        ; implicit-def: $vgpr3
.LBB22_142:
	s_mov_b32 s16, 0
.LBB22_143:
	s_and_b32 vcc_lo, exec_lo, s16
	s_cbranch_vccz .LBB22_147
; %bb.144:
	s_cmp_eq_u32 s0, 29
	s_cbranch_scc0 .LBB22_146
; %bb.145:
	global_load_dwordx2 v[3:4], v[0:1], off
	s_mov_b32 s7, -1
	s_mov_b32 s13, 0
	s_mov_b32 s16, 0
	s_waitcnt vmcnt(0)
	v_ffbh_u32_e32 v5, v4
	v_min_u32_e32 v5, 32, v5
	v_lshlrev_b64 v[3:4], v5, v[3:4]
	v_min_u32_e32 v3, 1, v3
	v_or_b32_e32 v3, v4, v3
	v_sub_nc_u32_e32 v4, 32, v5
	v_cvt_f32_u32_e32 v3, v3
	v_ldexp_f32 v3, v3, v4
	v_cvt_f16_f32_e32 v3, v3
	s_branch .LBB22_148
.LBB22_146:
	s_mov_b32 s13, -1
                                        ; implicit-def: $vgpr3
.LBB22_147:
	s_mov_b32 s16, 0
.LBB22_148:
	s_and_b32 vcc_lo, exec_lo, s16
	s_cbranch_vccz .LBB22_166
; %bb.149:
	s_cmp_lt_i32 s0, 27
	s_cbranch_scc1 .LBB22_152
; %bb.150:
	s_cmp_gt_i32 s0, 27
	s_cbranch_scc0 .LBB22_153
; %bb.151:
	global_load_dword v3, v[0:1], off
	s_mov_b32 s7, 0
	s_waitcnt vmcnt(0)
	v_cvt_f32_u32_e32 v3, v3
	v_cvt_f16_f32_e32 v3, v3
	s_branch .LBB22_154
.LBB22_152:
	s_mov_b32 s7, -1
                                        ; implicit-def: $vgpr3
	s_branch .LBB22_157
.LBB22_153:
	s_mov_b32 s7, -1
                                        ; implicit-def: $vgpr3
.LBB22_154:
	s_andn2_b32 vcc_lo, exec_lo, s7
	s_cbranch_vccnz .LBB22_156
; %bb.155:
	global_load_ushort v3, v[0:1], off
	s_waitcnt vmcnt(0)
	v_cvt_f16_u16_e32 v3, v3
.LBB22_156:
	s_mov_b32 s7, 0
.LBB22_157:
	s_andn2_b32 vcc_lo, exec_lo, s7
	s_cbranch_vccnz .LBB22_165
; %bb.158:
	global_load_ubyte v4, v[0:1], off
	s_mov_b32 s7, 0
	s_mov_b32 s16, exec_lo
	s_waitcnt vmcnt(0)
	v_cmpx_lt_i16_e32 0x7f, v4
	s_xor_b32 s16, exec_lo, s16
	s_cbranch_execz .LBB22_178
; %bb.159:
	s_mov_b32 s7, -1
	s_mov_b32 s17, exec_lo
	v_cmpx_eq_u16_e32 0x80, v4
; %bb.160:
	s_xor_b32 s7, exec_lo, -1
; %bb.161:
	s_or_b32 exec_lo, exec_lo, s17
	s_and_b32 s7, s7, exec_lo
	s_or_saveexec_b32 s16, s16
	v_mov_b32_e32 v3, 0x7e00
	s_xor_b32 exec_lo, exec_lo, s16
	s_cbranch_execnz .LBB22_179
.LBB22_162:
	s_or_b32 exec_lo, exec_lo, s16
	s_and_saveexec_b32 s16, s7
	s_cbranch_execz .LBB22_164
.LBB22_163:
	v_and_b32_e32 v3, 0xffff, v4
	v_lshlrev_b32_e32 v4, 24, v4
	v_and_b32_e32 v5, 7, v3
	v_bfe_u32 v8, v3, 3, 4
	v_and_b32_e32 v4, 0x80000000, v4
	v_ffbh_u32_e32 v6, v5
	v_cmp_eq_u32_e32 vcc_lo, 0, v8
	v_min_u32_e32 v6, 32, v6
	v_subrev_nc_u32_e32 v7, 28, v6
	v_sub_nc_u32_e32 v6, 29, v6
	v_lshlrev_b32_e32 v3, v7, v3
	v_cndmask_b32_e32 v6, v8, v6, vcc_lo
	v_and_b32_e32 v3, 7, v3
	v_cndmask_b32_e32 v3, v5, v3, vcc_lo
	v_lshl_add_u32 v5, v6, 23, 0x3b800000
	v_lshlrev_b32_e32 v3, 20, v3
	v_or3_b32 v3, v4, v5, v3
	v_cvt_f16_f32_e32 v3, v3
.LBB22_164:
	s_or_b32 exec_lo, exec_lo, s16
.LBB22_165:
	s_mov_b32 s7, -1
.LBB22_166:
	s_branch .LBB22_201
.LBB22_167:
	s_cmp_gt_i32 s0, 22
	s_cbranch_scc0 .LBB22_177
; %bb.168:
	s_cmp_lt_i32 s0, 24
	s_cbranch_scc1 .LBB22_180
; %bb.169:
	s_cmp_gt_i32 s0, 24
	s_cbranch_scc0 .LBB22_181
; %bb.170:
	global_load_ubyte v4, v[0:1], off
	s_mov_b32 s7, 0
	s_mov_b32 s16, exec_lo
	s_waitcnt vmcnt(0)
	v_cmpx_lt_i16_e32 0x7f, v4
	s_xor_b32 s16, exec_lo, s16
	s_cbranch_execz .LBB22_193
; %bb.171:
	s_mov_b32 s7, -1
	s_mov_b32 s17, exec_lo
	v_cmpx_eq_u16_e32 0x80, v4
; %bb.172:
	s_xor_b32 s7, exec_lo, -1
; %bb.173:
	s_or_b32 exec_lo, exec_lo, s17
	s_and_b32 s7, s7, exec_lo
	s_or_saveexec_b32 s16, s16
	v_mov_b32_e32 v3, 0x7e00
	s_xor_b32 exec_lo, exec_lo, s16
	s_cbranch_execnz .LBB22_194
.LBB22_174:
	s_or_b32 exec_lo, exec_lo, s16
	s_and_saveexec_b32 s16, s7
	s_cbranch_execz .LBB22_176
.LBB22_175:
	v_and_b32_e32 v3, 0xffff, v4
	v_lshlrev_b32_e32 v4, 24, v4
	v_and_b32_e32 v5, 3, v3
	v_bfe_u32 v8, v3, 2, 5
	v_and_b32_e32 v4, 0x80000000, v4
	v_ffbh_u32_e32 v6, v5
	v_cmp_eq_u32_e32 vcc_lo, 0, v8
	v_min_u32_e32 v6, 32, v6
	v_subrev_nc_u32_e32 v7, 29, v6
	v_sub_nc_u32_e32 v6, 30, v6
	v_lshlrev_b32_e32 v3, v7, v3
	v_cndmask_b32_e32 v6, v8, v6, vcc_lo
	v_and_b32_e32 v3, 3, v3
	v_cndmask_b32_e32 v3, v5, v3, vcc_lo
	v_lshl_add_u32 v5, v6, 23, 0x37800000
	v_lshlrev_b32_e32 v3, 21, v3
	v_or3_b32 v3, v4, v5, v3
	v_cvt_f16_f32_e32 v3, v3
.LBB22_176:
	s_or_b32 exec_lo, exec_lo, s16
	s_mov_b32 s7, 0
	s_branch .LBB22_182
.LBB22_177:
	s_mov_b32 s16, -1
                                        ; implicit-def: $vgpr3
	s_branch .LBB22_188
.LBB22_178:
	s_or_saveexec_b32 s16, s16
	v_mov_b32_e32 v3, 0x7e00
	s_xor_b32 exec_lo, exec_lo, s16
	s_cbranch_execz .LBB22_162
.LBB22_179:
	v_cmp_ne_u16_e32 vcc_lo, 0, v4
	v_mov_b32_e32 v3, v4
	s_andn2_b32 s7, s7, exec_lo
	s_and_b32 s17, vcc_lo, exec_lo
	s_or_b32 s7, s7, s17
	s_or_b32 exec_lo, exec_lo, s16
	s_and_saveexec_b32 s16, s7
	s_cbranch_execnz .LBB22_163
	s_branch .LBB22_164
.LBB22_180:
	s_mov_b32 s7, -1
                                        ; implicit-def: $vgpr3
	s_branch .LBB22_185
.LBB22_181:
	s_mov_b32 s7, -1
                                        ; implicit-def: $vgpr3
.LBB22_182:
	s_and_b32 vcc_lo, exec_lo, s7
	s_cbranch_vccz .LBB22_184
; %bb.183:
	global_load_ubyte v3, v[0:1], off
	s_waitcnt vmcnt(0)
	v_lshlrev_b32_e32 v3, 24, v3
	v_and_b32_e32 v4, 0x7f000000, v3
	v_ffbh_u32_e32 v5, v4
	v_add_nc_u32_e32 v7, 0x1000000, v4
	v_cmp_ne_u32_e32 vcc_lo, 0, v4
	v_min_u32_e32 v5, 32, v5
	v_sub_nc_u32_e64 v5, v5, 4 clamp
	v_lshlrev_b32_e32 v6, v5, v4
	v_lshlrev_b32_e32 v5, 23, v5
	v_lshrrev_b32_e32 v6, 4, v6
	v_sub_nc_u32_e32 v5, v6, v5
	v_ashrrev_i32_e32 v6, 8, v7
	v_add_nc_u32_e32 v5, 0x3c000000, v5
	v_and_or_b32 v5, 0x7f800000, v6, v5
	v_cndmask_b32_e32 v4, 0, v5, vcc_lo
	v_and_or_b32 v3, 0x80000000, v3, v4
	v_cvt_f16_f32_e32 v3, v3
.LBB22_184:
	s_mov_b32 s7, 0
.LBB22_185:
	s_andn2_b32 vcc_lo, exec_lo, s7
	s_cbranch_vccnz .LBB22_187
; %bb.186:
	global_load_ubyte v3, v[0:1], off
	s_waitcnt vmcnt(0)
	v_lshlrev_b32_e32 v4, 25, v3
	v_lshlrev_b16 v3, 8, v3
	v_lshrrev_b32_e32 v5, 4, v4
	v_and_or_b32 v6, 0x7f00, v3, 0.5
	v_cmp_gt_u32_e32 vcc_lo, 0x8000000, v4
	v_bfe_i32 v3, v3, 0, 16
	v_or_b32_e32 v5, 0x70000000, v5
	v_add_f32_e32 v6, -0.5, v6
	v_mul_f32_e32 v5, 0x7800000, v5
	v_cndmask_b32_e32 v4, v5, v6, vcc_lo
	v_and_or_b32 v3, 0x80000000, v3, v4
	v_cvt_f16_f32_e32 v3, v3
.LBB22_187:
	s_mov_b32 s16, 0
	s_mov_b32 s7, -1
.LBB22_188:
	s_andn2_b32 vcc_lo, exec_lo, s16
	s_cbranch_vccnz .LBB22_201
; %bb.189:
	s_cmp_gt_i32 s0, 14
	s_cbranch_scc0 .LBB22_192
; %bb.190:
	s_cmp_eq_u32 s0, 15
	s_cbranch_scc0 .LBB22_195
; %bb.191:
	global_load_ushort v3, v[0:1], off
	s_mov_b32 s7, -1
	s_mov_b32 s13, 0
	s_waitcnt vmcnt(0)
	v_lshlrev_b32_e32 v3, 16, v3
	v_cvt_f16_f32_e32 v3, v3
	s_branch .LBB22_196
.LBB22_192:
	s_mov_b32 s16, -1
                                        ; implicit-def: $vgpr3
	s_branch .LBB22_197
.LBB22_193:
	s_or_saveexec_b32 s16, s16
	v_mov_b32_e32 v3, 0x7e00
	s_xor_b32 exec_lo, exec_lo, s16
	s_cbranch_execz .LBB22_174
.LBB22_194:
	v_cmp_ne_u16_e32 vcc_lo, 0, v4
	v_mov_b32_e32 v3, v4
	s_andn2_b32 s7, s7, exec_lo
	s_and_b32 s17, vcc_lo, exec_lo
	s_or_b32 s7, s7, s17
	s_or_b32 exec_lo, exec_lo, s16
	s_and_saveexec_b32 s16, s7
	s_cbranch_execnz .LBB22_175
	s_branch .LBB22_176
.LBB22_195:
	s_mov_b32 s13, -1
                                        ; implicit-def: $vgpr3
.LBB22_196:
	s_mov_b32 s16, 0
.LBB22_197:
	s_and_b32 vcc_lo, exec_lo, s16
	s_cbranch_vccz .LBB22_201
; %bb.198:
	s_cmp_eq_u32 s0, 11
	s_cbranch_scc0 .LBB22_200
; %bb.199:
	global_load_ubyte v3, v[0:1], off
	s_mov_b32 s13, 0
	s_mov_b32 s7, -1
	s_waitcnt vmcnt(0)
	v_cmp_ne_u16_e32 vcc_lo, 0, v3
	v_cndmask_b32_e64 v3, 0, 0x3c00, vcc_lo
	s_branch .LBB22_201
.LBB22_200:
	s_mov_b32 s13, -1
                                        ; implicit-def: $vgpr3
.LBB22_201:
	s_branch .LBB22_10
.LBB22_202:
	s_cmp_lt_i32 s0, 5
	s_cbranch_scc1 .LBB22_207
; %bb.203:
	s_cmp_lt_i32 s0, 8
	s_cbranch_scc1 .LBB22_208
; %bb.204:
	;; [unrolled: 3-line block ×3, first 2 shown]
	s_cmp_gt_i32 s0, 9
	s_cbranch_scc0 .LBB22_210
; %bb.206:
	global_load_dwordx2 v[3:4], v[0:1], off
	s_mov_b32 s7, 0
	s_waitcnt vmcnt(0)
	v_and_or_b32 v3, 0x1ff, v4, v3
	v_lshrrev_b32_e32 v5, 8, v4
	v_bfe_u32 v6, v4, 20, 11
	v_lshrrev_b32_e32 v4, 16, v4
	v_cmp_ne_u32_e32 vcc_lo, 0, v3
	v_sub_nc_u32_e32 v7, 0x3f1, v6
	v_add_nc_u32_e32 v6, 0xfffffc10, v6
	v_cndmask_b32_e64 v3, 0, 1, vcc_lo
	v_and_or_b32 v3, 0xffe, v5, v3
	v_med3_i32 v5, v7, 0, 13
	v_or_b32_e32 v7, 0x1000, v3
	v_lshrrev_b32_e32 v8, v5, v7
	v_lshlrev_b32_e32 v5, v5, v8
	v_cmp_ne_u32_e32 vcc_lo, v5, v7
	v_lshl_or_b32 v7, v6, 12, v3
	v_cndmask_b32_e64 v5, 0, 1, vcc_lo
	v_cmp_gt_i32_e32 vcc_lo, 1, v6
	v_or_b32_e32 v5, v8, v5
	v_cndmask_b32_e32 v5, v7, v5, vcc_lo
	v_and_b32_e32 v7, 7, v5
	v_lshrrev_b32_e32 v5, 2, v5
	v_cmp_lt_i32_e32 vcc_lo, 5, v7
	v_cndmask_b32_e64 v8, 0, 1, vcc_lo
	v_cmp_eq_u32_e32 vcc_lo, 3, v7
	v_cndmask_b32_e64 v7, 0, 1, vcc_lo
	v_cmp_ne_u32_e32 vcc_lo, 0, v3
	v_or_b32_e32 v7, v7, v8
	v_mov_b32_e32 v8, 0x7e00
	v_add_nc_u32_e32 v5, v5, v7
	v_cndmask_b32_e32 v3, 0x7c00, v8, vcc_lo
	v_cmp_gt_i32_e32 vcc_lo, 31, v6
	v_cndmask_b32_e32 v5, 0x7c00, v5, vcc_lo
	v_cmp_eq_u32_e32 vcc_lo, 0x40f, v6
	v_cndmask_b32_e32 v3, v5, v3, vcc_lo
	v_and_or_b32 v3, 0x8000, v4, v3
	s_branch .LBB22_211
.LBB22_207:
                                        ; implicit-def: $vgpr3
	s_branch .LBB22_229
.LBB22_208:
	s_mov_b32 s7, -1
                                        ; implicit-def: $vgpr3
	s_branch .LBB22_217
.LBB22_209:
	s_mov_b32 s7, -1
                                        ; implicit-def: $vgpr3
	s_branch .LBB22_214
.LBB22_210:
	s_mov_b32 s7, -1
                                        ; implicit-def: $vgpr3
.LBB22_211:
	s_andn2_b32 vcc_lo, exec_lo, s7
	s_cbranch_vccnz .LBB22_213
; %bb.212:
	global_load_dword v3, v[0:1], off
	s_waitcnt vmcnt(0)
	v_cvt_f16_f32_e32 v3, v3
.LBB22_213:
	s_mov_b32 s7, 0
.LBB22_214:
	s_andn2_b32 vcc_lo, exec_lo, s7
	s_cbranch_vccnz .LBB22_216
; %bb.215:
	global_load_dword v3, v[0:1], off
.LBB22_216:
	s_mov_b32 s7, 0
.LBB22_217:
	s_andn2_b32 vcc_lo, exec_lo, s7
	s_cbranch_vccnz .LBB22_228
; %bb.218:
	s_cmp_lt_i32 s0, 6
	s_cbranch_scc1 .LBB22_221
; %bb.219:
	s_cmp_gt_i32 s0, 6
	s_cbranch_scc0 .LBB22_222
; %bb.220:
	global_load_dwordx2 v[3:4], v[0:1], off
	s_mov_b32 s7, 0
	s_waitcnt vmcnt(0)
	v_and_or_b32 v3, 0x1ff, v4, v3
	v_lshrrev_b32_e32 v5, 8, v4
	v_bfe_u32 v6, v4, 20, 11
	v_lshrrev_b32_e32 v4, 16, v4
	v_cmp_ne_u32_e32 vcc_lo, 0, v3
	v_sub_nc_u32_e32 v7, 0x3f1, v6
	v_add_nc_u32_e32 v6, 0xfffffc10, v6
	v_cndmask_b32_e64 v3, 0, 1, vcc_lo
	v_and_or_b32 v3, 0xffe, v5, v3
	v_med3_i32 v5, v7, 0, 13
	v_or_b32_e32 v7, 0x1000, v3
	v_lshrrev_b32_e32 v8, v5, v7
	v_lshlrev_b32_e32 v5, v5, v8
	v_cmp_ne_u32_e32 vcc_lo, v5, v7
	v_lshl_or_b32 v7, v6, 12, v3
	v_cndmask_b32_e64 v5, 0, 1, vcc_lo
	v_cmp_gt_i32_e32 vcc_lo, 1, v6
	v_or_b32_e32 v5, v8, v5
	v_cndmask_b32_e32 v5, v7, v5, vcc_lo
	v_and_b32_e32 v7, 7, v5
	v_lshrrev_b32_e32 v5, 2, v5
	v_cmp_lt_i32_e32 vcc_lo, 5, v7
	v_cndmask_b32_e64 v8, 0, 1, vcc_lo
	v_cmp_eq_u32_e32 vcc_lo, 3, v7
	v_cndmask_b32_e64 v7, 0, 1, vcc_lo
	v_cmp_ne_u32_e32 vcc_lo, 0, v3
	v_or_b32_e32 v7, v7, v8
	v_mov_b32_e32 v8, 0x7e00
	v_add_nc_u32_e32 v5, v5, v7
	v_cndmask_b32_e32 v3, 0x7c00, v8, vcc_lo
	v_cmp_gt_i32_e32 vcc_lo, 31, v6
	v_cndmask_b32_e32 v5, 0x7c00, v5, vcc_lo
	v_cmp_eq_u32_e32 vcc_lo, 0x40f, v6
	v_cndmask_b32_e32 v3, v5, v3, vcc_lo
	v_and_or_b32 v3, 0x8000, v4, v3
	s_branch .LBB22_223
.LBB22_221:
	s_mov_b32 s7, -1
                                        ; implicit-def: $vgpr3
	s_branch .LBB22_226
.LBB22_222:
	s_mov_b32 s7, -1
                                        ; implicit-def: $vgpr3
.LBB22_223:
	s_andn2_b32 vcc_lo, exec_lo, s7
	s_cbranch_vccnz .LBB22_225
; %bb.224:
	global_load_dword v3, v[0:1], off
	s_waitcnt vmcnt(0)
	v_cvt_f16_f32_e32 v3, v3
.LBB22_225:
	s_mov_b32 s7, 0
.LBB22_226:
	s_andn2_b32 vcc_lo, exec_lo, s7
	s_cbranch_vccnz .LBB22_228
; %bb.227:
	global_load_ushort v3, v[0:1], off
.LBB22_228:
	s_cbranch_execnz .LBB22_248
.LBB22_229:
	s_cmp_lt_i32 s0, 2
	s_cbranch_scc1 .LBB22_233
; %bb.230:
	s_cmp_lt_i32 s0, 3
	s_cbranch_scc1 .LBB22_234
; %bb.231:
	s_cmp_gt_i32 s0, 3
	s_cbranch_scc0 .LBB22_235
; %bb.232:
	global_load_dwordx2 v[3:4], v[0:1], off
	s_mov_b32 s7, 0
	s_waitcnt vmcnt(0)
	v_xor_b32_e32 v5, v3, v4
	v_ffbh_i32_e32 v6, v4
	v_ashrrev_i32_e32 v5, 31, v5
	v_add_nc_u32_e32 v6, -1, v6
	v_add_nc_u32_e32 v5, 32, v5
	v_min_u32_e32 v5, v6, v5
	v_lshlrev_b64 v[3:4], v5, v[3:4]
	v_min_u32_e32 v3, 1, v3
	v_or_b32_e32 v3, v4, v3
	v_sub_nc_u32_e32 v4, 32, v5
	v_cvt_f32_i32_e32 v3, v3
	v_ldexp_f32 v3, v3, v4
	v_cvt_f16_f32_e32 v3, v3
	s_branch .LBB22_236
.LBB22_233:
	s_mov_b32 s7, -1
                                        ; implicit-def: $vgpr3
	s_branch .LBB22_242
.LBB22_234:
	s_mov_b32 s7, -1
                                        ; implicit-def: $vgpr3
	s_branch .LBB22_239
.LBB22_235:
	s_mov_b32 s7, -1
                                        ; implicit-def: $vgpr3
.LBB22_236:
	s_andn2_b32 vcc_lo, exec_lo, s7
	s_cbranch_vccnz .LBB22_238
; %bb.237:
	global_load_dword v3, v[0:1], off
	s_waitcnt vmcnt(0)
	v_cvt_f32_i32_e32 v3, v3
	v_cvt_f16_f32_e32 v3, v3
.LBB22_238:
	s_mov_b32 s7, 0
.LBB22_239:
	s_andn2_b32 vcc_lo, exec_lo, s7
	s_cbranch_vccnz .LBB22_241
; %bb.240:
	global_load_ushort v3, v[0:1], off
	s_waitcnt vmcnt(0)
	v_cvt_f16_i16_e32 v3, v3
.LBB22_241:
	s_mov_b32 s7, 0
.LBB22_242:
	s_andn2_b32 vcc_lo, exec_lo, s7
	s_cbranch_vccnz .LBB22_248
; %bb.243:
	s_cmp_gt_i32 s0, 0
	s_mov_b32 s0, 0
	s_cbranch_scc0 .LBB22_245
; %bb.244:
	global_load_sbyte v3, v[0:1], off
	s_waitcnt vmcnt(0)
	v_cvt_f16_i16_e32 v3, v3
	s_branch .LBB22_246
.LBB22_245:
	s_mov_b32 s0, -1
                                        ; implicit-def: $vgpr3
.LBB22_246:
	s_andn2_b32 vcc_lo, exec_lo, s0
	s_cbranch_vccnz .LBB22_248
; %bb.247:
	global_load_ubyte v0, v[0:1], off
	s_waitcnt vmcnt(0)
	v_cvt_f16_u16_e32 v3, v0
.LBB22_248:
	s_branch .LBB22_11
.LBB22_249:
	s_mov_b32 s0, 0
.LBB22_250:
	s_mov_b32 s16, 0
                                        ; implicit-def: $vgpr2
.LBB22_251:
	s_and_b32 s7, s0, exec_lo
	s_and_b32 s13, s13, exec_lo
	s_orn2_b32 s17, s16, exec_lo
.LBB22_252:
	s_or_b32 exec_lo, exec_lo, s14
	s_mov_b32 s16, 0
	s_mov_b32 s0, 0
                                        ; implicit-def: $vgpr0_vgpr1
                                        ; implicit-def: $vgpr4
	s_and_saveexec_b32 s14, s17
	s_cbranch_execz .LBB22_261
; %bb.253:
	s_mov_b32 s0, -1
	s_mov_b32 s15, s13
	s_mov_b32 s16, s7
	s_mov_b32 s17, exec_lo
	v_cmpx_gt_i32_e64 s12, v2
	s_cbranch_execz .LBB22_515
; %bb.254:
	v_mul_lo_u32 v0, v2, s3
	s_and_b32 s0, 0xffff, s5
	s_cmp_lt_i32 s0, 11
	v_ashrrev_i32_e32 v1, 31, v0
	v_add_co_u32 v0, vcc_lo, s10, v0
	v_add_co_ci_u32_e64 v1, null, s11, v1, vcc_lo
	s_cbranch_scc1 .LBB22_264
; %bb.255:
	s_cmp_gt_i32 s0, 25
	s_cbranch_scc0 .LBB22_273
; %bb.256:
	s_cmp_gt_i32 s0, 28
	s_cbranch_scc0 .LBB22_275
	;; [unrolled: 3-line block ×4, first 2 shown]
; %bb.259:
	s_cmp_eq_u32 s0, 46
	s_mov_b32 s18, 0
	s_cbranch_scc0 .LBB22_285
; %bb.260:
	global_load_dword v3, v[0:1], off
	s_mov_b32 s16, -1
	s_mov_b32 s15, 0
	s_waitcnt vmcnt(0)
	v_lshlrev_b32_e32 v3, 16, v3
	v_cvt_f16_f32_e32 v3, v3
	s_branch .LBB22_287
.LBB22_261:
	s_or_b32 exec_lo, exec_lo, s14
	s_mov_b32 s12, 0
	s_and_saveexec_b32 s14, s13
	s_cbranch_execnz .LBB22_863
.LBB22_262:
	s_or_b32 exec_lo, exec_lo, s14
	s_and_saveexec_b32 s13, s15
	s_xor_b32 s13, exec_lo, s13
	s_cbranch_execz .LBB22_864
.LBB22_263:
	global_load_ubyte v3, v[0:1], off
	s_or_b32 s0, s0, exec_lo
	s_waitcnt vmcnt(0)
	v_cmp_ne_u16_e32 vcc_lo, 0, v3
	v_cndmask_b32_e64 v4, 0, 0x3c00, vcc_lo
	s_or_b32 exec_lo, exec_lo, s13
	s_and_saveexec_b32 s13, s16
	s_cbranch_execz .LBB22_910
	s_branch .LBB22_865
.LBB22_264:
	s_mov_b32 s16, 0
	s_mov_b32 s15, s13
                                        ; implicit-def: $vgpr3
	s_cbranch_execnz .LBB22_464
.LBB22_265:
	s_andn2_b32 vcc_lo, exec_lo, s16
	s_cbranch_vccnz .LBB22_512
.LBB22_266:
	s_waitcnt vmcnt(0)
	v_cvt_f32_f16_e32 v0, v3
	s_mov_b32 s0, 0x3b2d2a58
	s_and_b32 s16, s1, 0xff
	s_cmp_lt_i32 s16, 11
	v_rcp_f32_e64 v1, |v0|
	v_cmp_gt_f32_e64 vcc_lo, |v0|, 1.0
	v_cndmask_b32_e64 v0, |v0|, v1, vcc_lo
	v_mul_f32_e32 v1, v0, v0
	v_fmaak_f32 v4, s0, v1, 0xbc7a590c
	v_fmaak_f32 v4, v1, v4, 0x3d29fb3f
	;; [unrolled: 1-line block ×7, first 2 shown]
	v_mul_f32_e32 v1, v1, v4
	v_mul_lo_u32 v4, v2, s2
	v_fmac_f32_e32 v0, v0, v1
	v_sub_f32_e32 v1, 0x3fc90fdb, v0
	v_cndmask_b32_e32 v0, v0, v1, vcc_lo
	v_ashrrev_i32_e32 v1, 31, v4
	v_cvt_f16_f32_e32 v5, v0
	v_add_co_u32 v0, vcc_lo, s8, v4
	v_add_co_ci_u32_e64 v1, null, s9, v1, vcc_lo
	v_bfi_b32 v3, 0x7fff, v5, v3
	s_cbranch_scc1 .LBB22_274
; %bb.267:
	s_and_b32 s18, 0xffff, s16
	s_cmp_gt_i32 s18, 25
	s_cbranch_scc0 .LBB22_276
; %bb.268:
	s_cmp_gt_i32 s18, 28
	s_cbranch_scc0 .LBB22_278
; %bb.269:
	;; [unrolled: 3-line block ×4, first 2 shown]
	s_mov_b32 s20, 0
	s_mov_b32 s0, -1
	s_cmp_eq_u32 s18, 46
	s_mov_b32 s19, 0
	s_cbranch_scc0 .LBB22_291
; %bb.272:
	v_cvt_f32_f16_e32 v4, v3
	v_cmp_o_f16_e32 vcc_lo, v3, v3
	s_mov_b32 s19, -1
	s_mov_b32 s0, 0
	v_bfe_u32 v5, v4, 16, 1
	v_add3_u32 v4, v4, v5, 0x7fff
	v_mov_b32_e32 v5, 0x7fc0
	v_cndmask_b32_sdwa v4, v5, v4, vcc_lo dst_sel:DWORD dst_unused:UNUSED_PAD src0_sel:DWORD src1_sel:WORD_1
	global_store_dword v[0:1], v4, off
	s_branch .LBB22_291
.LBB22_273:
	s_mov_b32 s18, -1
	s_mov_b32 s16, 0
	s_mov_b32 s15, s13
                                        ; implicit-def: $vgpr3
	s_branch .LBB22_428
.LBB22_274:
	s_mov_b32 s18, -1
	s_mov_b32 s19, 0
	s_mov_b32 s0, s7
	s_branch .LBB22_360
.LBB22_275:
	s_mov_b32 s18, -1
	s_mov_b32 s16, 0
	s_mov_b32 s15, s13
                                        ; implicit-def: $vgpr3
	s_branch .LBB22_409
.LBB22_276:
	s_mov_b32 s20, -1
	s_mov_b32 s19, 0
	s_mov_b32 s0, s7
	s_branch .LBB22_318
.LBB22_277:
	s_mov_b32 s18, -1
	s_mov_b32 s16, 0
	s_mov_b32 s15, s13
                                        ; implicit-def: $vgpr3
	s_branch .LBB22_404
.LBB22_278:
	s_mov_b32 s20, -1
	s_mov_b32 s19, 0
	s_mov_b32 s0, s7
	s_branch .LBB22_301
.LBB22_279:
	s_andn2_saveexec_b32 s19, s19
	s_cbranch_execz .LBB22_54
.LBB22_280:
	v_add_f32_e64 v5, 0x46000000, |v4|
	s_andn2_b32 s18, s18, exec_lo
	v_and_b32_e32 v5, 0xff, v5
	v_cmp_ne_u32_e32 vcc_lo, 0, v5
	s_and_b32 s20, vcc_lo, exec_lo
	s_or_b32 s18, s18, s20
	s_or_b32 exec_lo, exec_lo, s19
	v_mov_b32_e32 v6, 0
	s_and_saveexec_b32 s19, s18
	s_cbranch_execnz .LBB22_55
	s_branch .LBB22_56
.LBB22_281:
	s_mov_b32 s18, -1
	s_mov_b32 s16, 0
	s_mov_b32 s15, s13
	s_branch .LBB22_286
.LBB22_282:
	s_mov_b32 s20, -1
	s_mov_b32 s19, 0
	s_mov_b32 s0, s7
	s_branch .LBB22_297
.LBB22_283:
	s_andn2_saveexec_b32 s19, s19
	s_cbranch_execz .LBB22_67
.LBB22_284:
	v_add_f32_e64 v5, 0x42800000, |v4|
	s_andn2_b32 s18, s18, exec_lo
	v_and_b32_e32 v5, 0xff, v5
	v_cmp_ne_u32_e32 vcc_lo, 0, v5
	s_and_b32 s20, vcc_lo, exec_lo
	s_or_b32 s18, s18, s20
	s_or_b32 exec_lo, exec_lo, s19
	v_mov_b32_e32 v6, 0
	s_and_saveexec_b32 s19, s18
	s_cbranch_execnz .LBB22_68
	s_branch .LBB22_69
.LBB22_285:
	s_mov_b32 s15, -1
	s_mov_b32 s16, 0
.LBB22_286:
                                        ; implicit-def: $vgpr3
.LBB22_287:
	s_and_b32 vcc_lo, exec_lo, s18
	s_cbranch_vccz .LBB22_403
; %bb.288:
	s_cmp_eq_u32 s0, 44
	s_cbranch_scc0 .LBB22_402
; %bb.289:
	global_load_ubyte v3, v[0:1], off
	s_mov_b32 s15, 0
	s_mov_b32 s16, -1
	s_waitcnt vmcnt(0)
	v_lshlrev_b32_e32 v4, 23, v3
	v_cmp_ne_u32_e32 vcc_lo, 0xff, v3
	v_cvt_f16_f32_e32 v4, v4
	v_cndmask_b32_e32 v4, 0x7e00, v4, vcc_lo
	v_cmp_ne_u32_e32 vcc_lo, 0, v3
	v_cndmask_b32_e32 v3, 0, v4, vcc_lo
	s_branch .LBB22_403
.LBB22_290:
	s_mov_b32 s20, -1
	s_mov_b32 s19, 0
	s_mov_b32 s0, s7
.LBB22_291:
	s_and_b32 vcc_lo, exec_lo, s20
	s_cbranch_vccz .LBB22_296
; %bb.292:
	s_cmp_eq_u32 s18, 44
	s_mov_b32 s0, -1
	s_cbranch_scc0 .LBB22_296
; %bb.293:
	v_cvt_f32_f16_e32 v4, v3
	v_mov_b32_e32 v5, 0xff
	s_mov_b32 s19, exec_lo
	v_bfe_u32 v6, v4, 23, 8
	v_cmpx_ne_u32_e32 0xff, v6
	s_cbranch_execz .LBB22_295
; %bb.294:
	v_and_b32_e32 v5, 0x400000, v4
	v_and_or_b32 v6, 0x3fffff, v4, v6
	v_lshrrev_b32_e32 v4, 23, v4
	v_cmp_ne_u32_e32 vcc_lo, 0, v5
	v_cmp_ne_u32_e64 s0, 0, v6
	s_and_b32 s0, vcc_lo, s0
	v_cndmask_b32_e64 v5, 0, 1, s0
	v_add_nc_u32_e32 v5, v4, v5
.LBB22_295:
	s_or_b32 exec_lo, exec_lo, s19
	s_mov_b32 s19, -1
	s_mov_b32 s0, 0
	global_store_byte v[0:1], v5, off
.LBB22_296:
	s_mov_b32 s20, 0
.LBB22_297:
	s_and_b32 vcc_lo, exec_lo, s20
	s_cbranch_vccz .LBB22_300
; %bb.298:
	s_cmp_eq_u32 s18, 29
	s_mov_b32 s0, -1
	s_cbranch_scc0 .LBB22_300
; %bb.299:
	v_cvt_f32_f16_e32 v4, v3
	v_mov_b32_e32 v5, 0
	s_mov_b32 s19, -1
	s_mov_b32 s0, 0
	s_mov_b32 s20, 0
	v_cvt_u32_f32_e32 v4, v4
	global_store_dwordx2 v[0:1], v[4:5], off
	s_branch .LBB22_301
.LBB22_300:
	s_mov_b32 s20, 0
.LBB22_301:
	s_and_b32 vcc_lo, exec_lo, s20
	s_cbranch_vccz .LBB22_317
; %bb.302:
	s_cmp_lt_i32 s18, 27
	s_mov_b32 s19, -1
	s_cbranch_scc1 .LBB22_308
; %bb.303:
	s_cmp_gt_i32 s18, 27
	s_cbranch_scc0 .LBB22_305
; %bb.304:
	v_cvt_f32_f16_e32 v4, v3
	s_mov_b32 s19, 0
	v_cvt_u32_f32_e32 v4, v4
	global_store_dword v[0:1], v4, off
.LBB22_305:
	s_andn2_b32 vcc_lo, exec_lo, s19
	s_cbranch_vccnz .LBB22_307
; %bb.306:
	v_cvt_u16_f16_e32 v4, v3
	global_store_short v[0:1], v4, off
.LBB22_307:
	s_mov_b32 s19, 0
.LBB22_308:
	s_andn2_b32 vcc_lo, exec_lo, s19
	s_cbranch_vccnz .LBB22_316
; %bb.309:
	v_cvt_f32_f16_e32 v4, v3
	v_mov_b32_e32 v6, 0x80
	s_mov_b32 s19, exec_lo
	v_and_b32_e32 v5, 0x7fffffff, v4
	v_cmpx_gt_u32_e32 0x43800000, v5
	s_cbranch_execz .LBB22_315
; %bb.310:
	v_cmp_lt_u32_e32 vcc_lo, 0x3bffffff, v5
	s_mov_b32 s20, 0
                                        ; implicit-def: $vgpr5
	s_and_saveexec_b32 s21, vcc_lo
	s_xor_b32 s21, exec_lo, s21
	s_cbranch_execz .LBB22_528
; %bb.311:
	v_bfe_u32 v5, v4, 20, 1
	s_mov_b32 s20, exec_lo
	v_add3_u32 v5, v4, v5, 0x487ffff
	v_lshrrev_b32_e32 v5, 20, v5
	s_andn2_saveexec_b32 s21, s21
	s_cbranch_execnz .LBB22_529
.LBB22_312:
	s_or_b32 exec_lo, exec_lo, s21
	v_mov_b32_e32 v6, 0
	s_and_saveexec_b32 s21, s20
.LBB22_313:
	v_lshrrev_b32_e32 v4, 24, v4
	v_and_or_b32 v6, 0x80, v4, v5
.LBB22_314:
	s_or_b32 exec_lo, exec_lo, s21
.LBB22_315:
	s_or_b32 exec_lo, exec_lo, s19
	global_store_byte v[0:1], v6, off
.LBB22_316:
	s_mov_b32 s19, -1
.LBB22_317:
	s_mov_b32 s20, 0
.LBB22_318:
	s_and_b32 vcc_lo, exec_lo, s20
	s_cbranch_vccz .LBB22_359
; %bb.319:
	s_cmp_gt_i32 s18, 22
	s_mov_b32 s20, -1
	s_cbranch_scc0 .LBB22_351
; %bb.320:
	s_cmp_lt_i32 s18, 24
	s_mov_b32 s19, -1
	s_cbranch_scc1 .LBB22_340
; %bb.321:
	s_cmp_gt_i32 s18, 24
	s_cbranch_scc0 .LBB22_329
; %bb.322:
	v_cvt_f32_f16_e32 v4, v3
	v_mov_b32_e32 v6, 0x80
	s_mov_b32 s19, exec_lo
	v_and_b32_e32 v5, 0x7fffffff, v4
	v_cmpx_gt_u32_e32 0x47800000, v5
	s_cbranch_execz .LBB22_328
; %bb.323:
	v_cmp_lt_u32_e32 vcc_lo, 0x37ffffff, v5
	s_mov_b32 s20, 0
                                        ; implicit-def: $vgpr5
	s_and_saveexec_b32 s21, vcc_lo
	s_xor_b32 s21, exec_lo, s21
	s_cbranch_execz .LBB22_531
; %bb.324:
	v_bfe_u32 v5, v4, 21, 1
	s_mov_b32 s20, exec_lo
	v_add3_u32 v5, v4, v5, 0x88fffff
	v_lshrrev_b32_e32 v5, 21, v5
	s_andn2_saveexec_b32 s21, s21
	s_cbranch_execnz .LBB22_532
.LBB22_325:
	s_or_b32 exec_lo, exec_lo, s21
	v_mov_b32_e32 v6, 0
	s_and_saveexec_b32 s21, s20
.LBB22_326:
	v_lshrrev_b32_e32 v4, 24, v4
	v_and_or_b32 v6, 0x80, v4, v5
.LBB22_327:
	s_or_b32 exec_lo, exec_lo, s21
.LBB22_328:
	s_or_b32 exec_lo, exec_lo, s19
	s_mov_b32 s19, 0
	global_store_byte v[0:1], v6, off
.LBB22_329:
	s_and_b32 vcc_lo, exec_lo, s19
	s_cbranch_vccz .LBB22_339
; %bb.330:
	v_cvt_f32_f16_e32 v4, v3
	s_mov_b32 s19, exec_lo
                                        ; implicit-def: $vgpr5
	v_and_b32_e32 v6, 0x7fffffff, v4
	v_cmpx_gt_u32_e32 0x43f00000, v6
	s_xor_b32 s19, exec_lo, s19
	s_cbranch_execz .LBB22_336
; %bb.331:
	s_mov_b32 s20, exec_lo
                                        ; implicit-def: $vgpr5
	v_cmpx_lt_u32_e32 0x3c7fffff, v6
	s_xor_b32 s20, exec_lo, s20
; %bb.332:
	v_bfe_u32 v5, v4, 20, 1
	v_add3_u32 v5, v4, v5, 0x407ffff
	v_and_b32_e32 v6, 0xff00000, v5
	v_lshrrev_b32_e32 v5, 20, v5
	v_cmp_ne_u32_e32 vcc_lo, 0x7f00000, v6
	v_cndmask_b32_e32 v5, 0x7e, v5, vcc_lo
; %bb.333:
	s_andn2_saveexec_b32 s20, s20
; %bb.334:
	v_add_f32_e64 v5, 0x46800000, |v4|
; %bb.335:
	s_or_b32 exec_lo, exec_lo, s20
                                        ; implicit-def: $vgpr6
.LBB22_336:
	s_andn2_saveexec_b32 s19, s19
; %bb.337:
	v_mov_b32_e32 v5, 0x7f
	v_cmp_lt_u32_e32 vcc_lo, 0x7f800000, v6
	v_cndmask_b32_e32 v5, 0x7e, v5, vcc_lo
; %bb.338:
	s_or_b32 exec_lo, exec_lo, s19
	v_lshrrev_b32_e32 v4, 24, v4
	v_and_or_b32 v4, 0x80, v4, v5
	global_store_byte v[0:1], v4, off
.LBB22_339:
	s_mov_b32 s19, 0
.LBB22_340:
	s_andn2_b32 vcc_lo, exec_lo, s19
	s_cbranch_vccnz .LBB22_350
; %bb.341:
	v_cvt_f32_f16_e32 v4, v3
	s_mov_b32 s19, exec_lo
                                        ; implicit-def: $vgpr5
	v_and_b32_e32 v6, 0x7fffffff, v4
	v_cmpx_gt_u32_e32 0x47800000, v6
	s_xor_b32 s19, exec_lo, s19
	s_cbranch_execz .LBB22_347
; %bb.342:
	s_mov_b32 s20, exec_lo
                                        ; implicit-def: $vgpr5
	v_cmpx_lt_u32_e32 0x387fffff, v6
	s_xor_b32 s20, exec_lo, s20
; %bb.343:
	v_bfe_u32 v5, v4, 21, 1
	v_add3_u32 v5, v4, v5, 0x80fffff
	v_lshrrev_b32_e32 v5, 21, v5
; %bb.344:
	s_andn2_saveexec_b32 s20, s20
; %bb.345:
	v_add_f32_e64 v5, 0x43000000, |v4|
; %bb.346:
	s_or_b32 exec_lo, exec_lo, s20
                                        ; implicit-def: $vgpr6
.LBB22_347:
	s_andn2_saveexec_b32 s19, s19
; %bb.348:
	v_mov_b32_e32 v5, 0x7f
	v_cmp_lt_u32_e32 vcc_lo, 0x7f800000, v6
	v_cndmask_b32_e32 v5, 0x7c, v5, vcc_lo
; %bb.349:
	s_or_b32 exec_lo, exec_lo, s19
	v_lshrrev_b32_e32 v4, 24, v4
	v_and_or_b32 v4, 0x80, v4, v5
	global_store_byte v[0:1], v4, off
.LBB22_350:
	s_mov_b32 s20, 0
	s_mov_b32 s19, -1
.LBB22_351:
	s_andn2_b32 vcc_lo, exec_lo, s20
	s_cbranch_vccnz .LBB22_359
; %bb.352:
	s_cmp_gt_i32 s18, 14
	s_mov_b32 s20, -1
	s_cbranch_scc0 .LBB22_356
; %bb.353:
	s_cmp_eq_u32 s18, 15
	s_mov_b32 s0, -1
	s_cbranch_scc0 .LBB22_355
; %bb.354:
	v_cvt_f32_f16_e32 v4, v3
	v_cmp_o_f16_e32 vcc_lo, v3, v3
	s_mov_b32 s19, -1
	s_mov_b32 s0, 0
	v_bfe_u32 v5, v4, 16, 1
	v_add3_u32 v4, v4, v5, 0x7fff
	v_mov_b32_e32 v5, 0x7fc0
	v_cndmask_b32_sdwa v4, v5, v4, vcc_lo dst_sel:DWORD dst_unused:UNUSED_PAD src0_sel:DWORD src1_sel:WORD_1
	global_store_short v[0:1], v4, off
.LBB22_355:
	s_mov_b32 s20, 0
.LBB22_356:
	s_and_b32 vcc_lo, exec_lo, s20
	s_cbranch_vccz .LBB22_359
; %bb.357:
	s_cmp_eq_u32 s18, 11
	s_mov_b32 s0, -1
	s_cbranch_scc0 .LBB22_359
; %bb.358:
	v_cmp_neq_f16_e32 vcc_lo, 0, v3
	s_mov_b32 s0, 0
	s_mov_b32 s19, -1
	v_cndmask_b32_e64 v4, 0, 1, vcc_lo
	global_store_byte v[0:1], v4, off
.LBB22_359:
	s_mov_b32 s18, 0
.LBB22_360:
	s_and_b32 vcc_lo, exec_lo, s18
	s_cbranch_vccz .LBB22_399
; %bb.361:
	s_and_b32 s16, 0xffff, s16
	s_mov_b32 s18, -1
	s_cmp_lt_i32 s16, 5
	s_cbranch_scc1 .LBB22_382
; %bb.362:
	s_cmp_lt_i32 s16, 8
	s_cbranch_scc1 .LBB22_372
; %bb.363:
	;; [unrolled: 3-line block ×3, first 2 shown]
	s_cmp_gt_i32 s16, 9
	s_cbranch_scc0 .LBB22_366
; %bb.365:
	v_cvt_f32_f16_e32 v4, v3
	v_mov_b32_e32 v6, 0
	s_mov_b32 s18, 0
	v_cvt_f64_f32_e32 v[4:5], v4
	v_mov_b32_e32 v7, v6
	global_store_dwordx4 v[0:1], v[4:7], off
.LBB22_366:
	s_andn2_b32 vcc_lo, exec_lo, s18
	s_cbranch_vccnz .LBB22_368
; %bb.367:
	v_cvt_f32_f16_e32 v4, v3
	v_mov_b32_e32 v5, 0
	global_store_dwordx2 v[0:1], v[4:5], off
.LBB22_368:
	s_mov_b32 s18, 0
.LBB22_369:
	s_andn2_b32 vcc_lo, exec_lo, s18
	s_cbranch_vccnz .LBB22_371
; %bb.370:
	v_and_b32_e32 v4, 0xffff, v3
	global_store_dword v[0:1], v4, off
.LBB22_371:
	s_mov_b32 s18, 0
.LBB22_372:
	s_andn2_b32 vcc_lo, exec_lo, s18
	s_cbranch_vccnz .LBB22_381
; %bb.373:
	s_cmp_lt_i32 s16, 6
	s_mov_b32 s18, -1
	s_cbranch_scc1 .LBB22_379
; %bb.374:
	s_cmp_gt_i32 s16, 6
	s_cbranch_scc0 .LBB22_376
; %bb.375:
	v_cvt_f32_f16_e32 v4, v3
	s_mov_b32 s18, 0
	v_cvt_f64_f32_e32 v[4:5], v4
	global_store_dwordx2 v[0:1], v[4:5], off
.LBB22_376:
	s_andn2_b32 vcc_lo, exec_lo, s18
	s_cbranch_vccnz .LBB22_378
; %bb.377:
	v_cvt_f32_f16_e32 v4, v3
	global_store_dword v[0:1], v4, off
.LBB22_378:
	s_mov_b32 s18, 0
.LBB22_379:
	s_andn2_b32 vcc_lo, exec_lo, s18
	s_cbranch_vccnz .LBB22_381
; %bb.380:
	global_store_short v[0:1], v3, off
.LBB22_381:
	s_mov_b32 s18, 0
.LBB22_382:
	s_andn2_b32 vcc_lo, exec_lo, s18
	s_cbranch_vccnz .LBB22_398
; %bb.383:
	s_cmp_lt_i32 s16, 2
	s_mov_b32 s18, -1
	s_cbranch_scc1 .LBB22_393
; %bb.384:
	s_cmp_lt_i32 s16, 3
	s_cbranch_scc1 .LBB22_390
; %bb.385:
	s_cmp_gt_i32 s16, 3
	s_cbranch_scc0 .LBB22_387
; %bb.386:
	v_cvt_f32_f16_e32 v4, v3
	s_mov_b32 s18, 0
	v_cvt_i32_f32_e32 v4, v4
	v_ashrrev_i32_e32 v5, 31, v4
	global_store_dwordx2 v[0:1], v[4:5], off
.LBB22_387:
	s_andn2_b32 vcc_lo, exec_lo, s18
	s_cbranch_vccnz .LBB22_389
; %bb.388:
	v_cvt_f32_f16_e32 v4, v3
	v_cvt_i32_f32_e32 v4, v4
	global_store_dword v[0:1], v4, off
.LBB22_389:
	s_mov_b32 s18, 0
.LBB22_390:
	s_andn2_b32 vcc_lo, exec_lo, s18
	s_cbranch_vccnz .LBB22_392
; %bb.391:
	v_cvt_i16_f16_e32 v4, v3
	global_store_short v[0:1], v4, off
.LBB22_392:
	s_mov_b32 s18, 0
.LBB22_393:
	s_andn2_b32 vcc_lo, exec_lo, s18
	s_cbranch_vccnz .LBB22_398
; %bb.394:
	s_cmp_gt_i32 s16, 0
	s_mov_b32 s16, -1
	s_cbranch_scc0 .LBB22_396
; %bb.395:
	v_cvt_i16_f16_e32 v4, v3
	s_mov_b32 s16, 0
	global_store_byte v[0:1], v4, off
.LBB22_396:
	s_andn2_b32 vcc_lo, exec_lo, s16
	s_cbranch_vccnz .LBB22_398
; %bb.397:
	v_cvt_f32_f16_e32 v3, v3
	v_cvt_i32_f32_e32 v3, v3
	global_store_byte v[0:1], v3, off
.LBB22_398:
	s_mov_b32 s19, -1
.LBB22_399:
	s_andn2_b32 vcc_lo, exec_lo, s19
	s_cbranch_vccnz .LBB22_401
; %bb.400:
	v_add_nc_u32_e32 v2, 0x80, v2
	s_mov_b32 s18, -1
	s_branch .LBB22_514
.LBB22_401:
	s_mov_b32 s18, 0
	s_branch .LBB22_513
.LBB22_402:
	s_mov_b32 s15, -1
                                        ; implicit-def: $vgpr3
.LBB22_403:
	s_mov_b32 s18, 0
.LBB22_404:
	s_and_b32 vcc_lo, exec_lo, s18
	s_cbranch_vccz .LBB22_408
; %bb.405:
	s_cmp_eq_u32 s0, 29
	s_cbranch_scc0 .LBB22_407
; %bb.406:
	global_load_dwordx2 v[3:4], v[0:1], off
	s_mov_b32 s16, -1
	s_mov_b32 s15, 0
	s_mov_b32 s18, 0
	s_waitcnt vmcnt(0)
	v_ffbh_u32_e32 v5, v4
	v_min_u32_e32 v5, 32, v5
	v_lshlrev_b64 v[3:4], v5, v[3:4]
	v_min_u32_e32 v3, 1, v3
	v_or_b32_e32 v3, v4, v3
	v_sub_nc_u32_e32 v4, 32, v5
	v_cvt_f32_u32_e32 v3, v3
	v_ldexp_f32 v3, v3, v4
	v_cvt_f16_f32_e32 v3, v3
	s_branch .LBB22_409
.LBB22_407:
	s_mov_b32 s15, -1
                                        ; implicit-def: $vgpr3
.LBB22_408:
	s_mov_b32 s18, 0
.LBB22_409:
	s_and_b32 vcc_lo, exec_lo, s18
	s_cbranch_vccz .LBB22_427
; %bb.410:
	s_cmp_lt_i32 s0, 27
	s_cbranch_scc1 .LBB22_413
; %bb.411:
	s_cmp_gt_i32 s0, 27
	s_cbranch_scc0 .LBB22_414
; %bb.412:
	global_load_dword v3, v[0:1], off
	s_mov_b32 s16, 0
	s_waitcnt vmcnt(0)
	v_cvt_f32_u32_e32 v3, v3
	v_cvt_f16_f32_e32 v3, v3
	s_branch .LBB22_415
.LBB22_413:
	s_mov_b32 s16, -1
                                        ; implicit-def: $vgpr3
	s_branch .LBB22_418
.LBB22_414:
	s_mov_b32 s16, -1
                                        ; implicit-def: $vgpr3
.LBB22_415:
	s_andn2_b32 vcc_lo, exec_lo, s16
	s_cbranch_vccnz .LBB22_417
; %bb.416:
	global_load_ushort v3, v[0:1], off
	s_waitcnt vmcnt(0)
	v_cvt_f16_u16_e32 v3, v3
.LBB22_417:
	s_mov_b32 s16, 0
.LBB22_418:
	s_andn2_b32 vcc_lo, exec_lo, s16
	s_cbranch_vccnz .LBB22_426
; %bb.419:
	global_load_ubyte v4, v[0:1], off
	s_mov_b32 s16, 0
	s_mov_b32 s18, exec_lo
	s_waitcnt vmcnt(0)
	v_cmpx_lt_i16_e32 0x7f, v4
	s_xor_b32 s18, exec_lo, s18
	s_cbranch_execz .LBB22_440
; %bb.420:
	s_mov_b32 s16, -1
	s_mov_b32 s19, exec_lo
	v_cmpx_eq_u16_e32 0x80, v4
; %bb.421:
	s_xor_b32 s16, exec_lo, -1
; %bb.422:
	s_or_b32 exec_lo, exec_lo, s19
	s_and_b32 s16, s16, exec_lo
	s_or_saveexec_b32 s18, s18
	v_mov_b32_e32 v3, 0x7e00
	s_xor_b32 exec_lo, exec_lo, s18
	s_cbranch_execnz .LBB22_441
.LBB22_423:
	s_or_b32 exec_lo, exec_lo, s18
	s_and_saveexec_b32 s18, s16
	s_cbranch_execz .LBB22_425
.LBB22_424:
	v_and_b32_e32 v3, 0xffff, v4
	v_lshlrev_b32_e32 v4, 24, v4
	v_and_b32_e32 v5, 7, v3
	v_bfe_u32 v8, v3, 3, 4
	v_and_b32_e32 v4, 0x80000000, v4
	v_ffbh_u32_e32 v6, v5
	v_cmp_eq_u32_e32 vcc_lo, 0, v8
	v_min_u32_e32 v6, 32, v6
	v_subrev_nc_u32_e32 v7, 28, v6
	v_sub_nc_u32_e32 v6, 29, v6
	v_lshlrev_b32_e32 v3, v7, v3
	v_cndmask_b32_e32 v6, v8, v6, vcc_lo
	v_and_b32_e32 v3, 7, v3
	v_cndmask_b32_e32 v3, v5, v3, vcc_lo
	v_lshl_add_u32 v5, v6, 23, 0x3b800000
	v_lshlrev_b32_e32 v3, 20, v3
	v_or3_b32 v3, v4, v5, v3
	v_cvt_f16_f32_e32 v3, v3
.LBB22_425:
	s_or_b32 exec_lo, exec_lo, s18
.LBB22_426:
	s_mov_b32 s16, -1
.LBB22_427:
	s_mov_b32 s18, 0
.LBB22_428:
	s_and_b32 vcc_lo, exec_lo, s18
	s_cbranch_vccz .LBB22_463
; %bb.429:
	s_cmp_gt_i32 s0, 22
	s_cbranch_scc0 .LBB22_439
; %bb.430:
	s_cmp_lt_i32 s0, 24
	s_cbranch_scc1 .LBB22_442
; %bb.431:
	s_cmp_gt_i32 s0, 24
	s_cbranch_scc0 .LBB22_443
; %bb.432:
	global_load_ubyte v4, v[0:1], off
	s_mov_b32 s16, 0
	s_mov_b32 s18, exec_lo
	s_waitcnt vmcnt(0)
	v_cmpx_lt_i16_e32 0x7f, v4
	s_xor_b32 s18, exec_lo, s18
	s_cbranch_execz .LBB22_455
; %bb.433:
	s_mov_b32 s16, -1
	s_mov_b32 s19, exec_lo
	v_cmpx_eq_u16_e32 0x80, v4
; %bb.434:
	s_xor_b32 s16, exec_lo, -1
; %bb.435:
	s_or_b32 exec_lo, exec_lo, s19
	s_and_b32 s16, s16, exec_lo
	s_or_saveexec_b32 s18, s18
	v_mov_b32_e32 v3, 0x7e00
	s_xor_b32 exec_lo, exec_lo, s18
	s_cbranch_execnz .LBB22_456
.LBB22_436:
	s_or_b32 exec_lo, exec_lo, s18
	s_and_saveexec_b32 s18, s16
	s_cbranch_execz .LBB22_438
.LBB22_437:
	v_and_b32_e32 v3, 0xffff, v4
	v_lshlrev_b32_e32 v4, 24, v4
	v_and_b32_e32 v5, 3, v3
	v_bfe_u32 v8, v3, 2, 5
	v_and_b32_e32 v4, 0x80000000, v4
	v_ffbh_u32_e32 v6, v5
	v_cmp_eq_u32_e32 vcc_lo, 0, v8
	v_min_u32_e32 v6, 32, v6
	v_subrev_nc_u32_e32 v7, 29, v6
	v_sub_nc_u32_e32 v6, 30, v6
	v_lshlrev_b32_e32 v3, v7, v3
	v_cndmask_b32_e32 v6, v8, v6, vcc_lo
	v_and_b32_e32 v3, 3, v3
	v_cndmask_b32_e32 v3, v5, v3, vcc_lo
	v_lshl_add_u32 v5, v6, 23, 0x37800000
	v_lshlrev_b32_e32 v3, 21, v3
	v_or3_b32 v3, v4, v5, v3
	v_cvt_f16_f32_e32 v3, v3
.LBB22_438:
	s_or_b32 exec_lo, exec_lo, s18
	s_mov_b32 s16, 0
	s_branch .LBB22_444
.LBB22_439:
	s_mov_b32 s18, -1
                                        ; implicit-def: $vgpr3
	s_branch .LBB22_450
.LBB22_440:
	s_or_saveexec_b32 s18, s18
	v_mov_b32_e32 v3, 0x7e00
	s_xor_b32 exec_lo, exec_lo, s18
	s_cbranch_execz .LBB22_423
.LBB22_441:
	v_cmp_ne_u16_e32 vcc_lo, 0, v4
	v_mov_b32_e32 v3, v4
	s_andn2_b32 s16, s16, exec_lo
	s_and_b32 s19, vcc_lo, exec_lo
	s_or_b32 s16, s16, s19
	s_or_b32 exec_lo, exec_lo, s18
	s_and_saveexec_b32 s18, s16
	s_cbranch_execnz .LBB22_424
	s_branch .LBB22_425
.LBB22_442:
	s_mov_b32 s16, -1
                                        ; implicit-def: $vgpr3
	s_branch .LBB22_447
.LBB22_443:
	s_mov_b32 s16, -1
                                        ; implicit-def: $vgpr3
.LBB22_444:
	s_and_b32 vcc_lo, exec_lo, s16
	s_cbranch_vccz .LBB22_446
; %bb.445:
	global_load_ubyte v3, v[0:1], off
	s_waitcnt vmcnt(0)
	v_lshlrev_b32_e32 v3, 24, v3
	v_and_b32_e32 v4, 0x7f000000, v3
	v_ffbh_u32_e32 v5, v4
	v_add_nc_u32_e32 v7, 0x1000000, v4
	v_cmp_ne_u32_e32 vcc_lo, 0, v4
	v_min_u32_e32 v5, 32, v5
	v_sub_nc_u32_e64 v5, v5, 4 clamp
	v_lshlrev_b32_e32 v6, v5, v4
	v_lshlrev_b32_e32 v5, 23, v5
	v_lshrrev_b32_e32 v6, 4, v6
	v_sub_nc_u32_e32 v5, v6, v5
	v_ashrrev_i32_e32 v6, 8, v7
	v_add_nc_u32_e32 v5, 0x3c000000, v5
	v_and_or_b32 v5, 0x7f800000, v6, v5
	v_cndmask_b32_e32 v4, 0, v5, vcc_lo
	v_and_or_b32 v3, 0x80000000, v3, v4
	v_cvt_f16_f32_e32 v3, v3
.LBB22_446:
	s_mov_b32 s16, 0
.LBB22_447:
	s_andn2_b32 vcc_lo, exec_lo, s16
	s_cbranch_vccnz .LBB22_449
; %bb.448:
	global_load_ubyte v3, v[0:1], off
	s_waitcnt vmcnt(0)
	v_lshlrev_b32_e32 v4, 25, v3
	v_lshlrev_b16 v3, 8, v3
	v_lshrrev_b32_e32 v5, 4, v4
	v_and_or_b32 v6, 0x7f00, v3, 0.5
	v_cmp_gt_u32_e32 vcc_lo, 0x8000000, v4
	v_bfe_i32 v3, v3, 0, 16
	v_or_b32_e32 v5, 0x70000000, v5
	v_add_f32_e32 v6, -0.5, v6
	v_mul_f32_e32 v5, 0x7800000, v5
	v_cndmask_b32_e32 v4, v5, v6, vcc_lo
	v_and_or_b32 v3, 0x80000000, v3, v4
	v_cvt_f16_f32_e32 v3, v3
.LBB22_449:
	s_mov_b32 s18, 0
	s_mov_b32 s16, -1
.LBB22_450:
	s_andn2_b32 vcc_lo, exec_lo, s18
	s_cbranch_vccnz .LBB22_463
; %bb.451:
	s_cmp_gt_i32 s0, 14
	s_cbranch_scc0 .LBB22_454
; %bb.452:
	s_cmp_eq_u32 s0, 15
	s_cbranch_scc0 .LBB22_457
; %bb.453:
	global_load_ushort v3, v[0:1], off
	s_mov_b32 s16, -1
	s_mov_b32 s15, 0
	s_waitcnt vmcnt(0)
	v_lshlrev_b32_e32 v3, 16, v3
	v_cvt_f16_f32_e32 v3, v3
	s_branch .LBB22_458
.LBB22_454:
	s_mov_b32 s18, -1
                                        ; implicit-def: $vgpr3
	s_branch .LBB22_459
.LBB22_455:
	s_or_saveexec_b32 s18, s18
	v_mov_b32_e32 v3, 0x7e00
	s_xor_b32 exec_lo, exec_lo, s18
	s_cbranch_execz .LBB22_436
.LBB22_456:
	v_cmp_ne_u16_e32 vcc_lo, 0, v4
	v_mov_b32_e32 v3, v4
	s_andn2_b32 s16, s16, exec_lo
	s_and_b32 s19, vcc_lo, exec_lo
	s_or_b32 s16, s16, s19
	s_or_b32 exec_lo, exec_lo, s18
	s_and_saveexec_b32 s18, s16
	s_cbranch_execnz .LBB22_437
	s_branch .LBB22_438
.LBB22_457:
	s_mov_b32 s15, -1
                                        ; implicit-def: $vgpr3
.LBB22_458:
	s_mov_b32 s18, 0
.LBB22_459:
	s_and_b32 vcc_lo, exec_lo, s18
	s_cbranch_vccz .LBB22_463
; %bb.460:
	s_cmp_eq_u32 s0, 11
	s_cbranch_scc0 .LBB22_462
; %bb.461:
	global_load_ubyte v3, v[0:1], off
	s_mov_b32 s15, 0
	s_mov_b32 s16, -1
	s_waitcnt vmcnt(0)
	v_cmp_ne_u16_e32 vcc_lo, 0, v3
	v_cndmask_b32_e64 v3, 0, 0x3c00, vcc_lo
	s_branch .LBB22_463
.LBB22_462:
	s_mov_b32 s15, -1
                                        ; implicit-def: $vgpr3
.LBB22_463:
	s_branch .LBB22_265
.LBB22_464:
	s_cmp_lt_i32 s0, 5
	s_cbranch_scc1 .LBB22_469
; %bb.465:
	s_cmp_lt_i32 s0, 8
	s_cbranch_scc1 .LBB22_470
; %bb.466:
	;; [unrolled: 3-line block ×3, first 2 shown]
	s_cmp_gt_i32 s0, 9
	s_cbranch_scc0 .LBB22_472
; %bb.468:
	global_load_dwordx2 v[3:4], v[0:1], off
	s_mov_b32 s16, 0
	s_waitcnt vmcnt(0)
	v_and_or_b32 v3, 0x1ff, v4, v3
	v_lshrrev_b32_e32 v5, 8, v4
	v_bfe_u32 v6, v4, 20, 11
	v_lshrrev_b32_e32 v4, 16, v4
	v_cmp_ne_u32_e32 vcc_lo, 0, v3
	v_sub_nc_u32_e32 v7, 0x3f1, v6
	v_add_nc_u32_e32 v6, 0xfffffc10, v6
	v_cndmask_b32_e64 v3, 0, 1, vcc_lo
	v_and_or_b32 v3, 0xffe, v5, v3
	v_med3_i32 v5, v7, 0, 13
	v_or_b32_e32 v7, 0x1000, v3
	v_lshrrev_b32_e32 v8, v5, v7
	v_lshlrev_b32_e32 v5, v5, v8
	v_cmp_ne_u32_e32 vcc_lo, v5, v7
	v_lshl_or_b32 v7, v6, 12, v3
	v_cndmask_b32_e64 v5, 0, 1, vcc_lo
	v_cmp_gt_i32_e32 vcc_lo, 1, v6
	v_or_b32_e32 v5, v8, v5
	v_cndmask_b32_e32 v5, v7, v5, vcc_lo
	v_and_b32_e32 v7, 7, v5
	v_lshrrev_b32_e32 v5, 2, v5
	v_cmp_lt_i32_e32 vcc_lo, 5, v7
	v_cndmask_b32_e64 v8, 0, 1, vcc_lo
	v_cmp_eq_u32_e32 vcc_lo, 3, v7
	v_cndmask_b32_e64 v7, 0, 1, vcc_lo
	v_cmp_ne_u32_e32 vcc_lo, 0, v3
	v_or_b32_e32 v7, v7, v8
	v_mov_b32_e32 v8, 0x7e00
	v_add_nc_u32_e32 v5, v5, v7
	v_cndmask_b32_e32 v3, 0x7c00, v8, vcc_lo
	v_cmp_gt_i32_e32 vcc_lo, 31, v6
	v_cndmask_b32_e32 v5, 0x7c00, v5, vcc_lo
	v_cmp_eq_u32_e32 vcc_lo, 0x40f, v6
	v_cndmask_b32_e32 v3, v5, v3, vcc_lo
	v_and_or_b32 v3, 0x8000, v4, v3
	s_branch .LBB22_473
.LBB22_469:
	s_mov_b32 s16, -1
                                        ; implicit-def: $vgpr3
	s_branch .LBB22_491
.LBB22_470:
	s_mov_b32 s16, -1
                                        ; implicit-def: $vgpr3
	s_branch .LBB22_479
.LBB22_471:
	s_mov_b32 s16, -1
                                        ; implicit-def: $vgpr3
	s_branch .LBB22_476
.LBB22_472:
	s_mov_b32 s16, -1
                                        ; implicit-def: $vgpr3
.LBB22_473:
	s_andn2_b32 vcc_lo, exec_lo, s16
	s_cbranch_vccnz .LBB22_475
; %bb.474:
	global_load_dword v3, v[0:1], off
	s_waitcnt vmcnt(0)
	v_cvt_f16_f32_e32 v3, v3
.LBB22_475:
	s_mov_b32 s16, 0
.LBB22_476:
	s_andn2_b32 vcc_lo, exec_lo, s16
	s_cbranch_vccnz .LBB22_478
; %bb.477:
	global_load_dword v3, v[0:1], off
.LBB22_478:
	s_mov_b32 s16, 0
.LBB22_479:
	s_andn2_b32 vcc_lo, exec_lo, s16
	s_cbranch_vccnz .LBB22_490
; %bb.480:
	s_cmp_lt_i32 s0, 6
	s_cbranch_scc1 .LBB22_483
; %bb.481:
	s_cmp_gt_i32 s0, 6
	s_cbranch_scc0 .LBB22_484
; %bb.482:
	global_load_dwordx2 v[3:4], v[0:1], off
	s_mov_b32 s16, 0
	s_waitcnt vmcnt(0)
	v_and_or_b32 v3, 0x1ff, v4, v3
	v_lshrrev_b32_e32 v5, 8, v4
	v_bfe_u32 v6, v4, 20, 11
	v_lshrrev_b32_e32 v4, 16, v4
	v_cmp_ne_u32_e32 vcc_lo, 0, v3
	v_sub_nc_u32_e32 v7, 0x3f1, v6
	v_add_nc_u32_e32 v6, 0xfffffc10, v6
	v_cndmask_b32_e64 v3, 0, 1, vcc_lo
	v_and_or_b32 v3, 0xffe, v5, v3
	v_med3_i32 v5, v7, 0, 13
	v_or_b32_e32 v7, 0x1000, v3
	v_lshrrev_b32_e32 v8, v5, v7
	v_lshlrev_b32_e32 v5, v5, v8
	v_cmp_ne_u32_e32 vcc_lo, v5, v7
	v_lshl_or_b32 v7, v6, 12, v3
	v_cndmask_b32_e64 v5, 0, 1, vcc_lo
	v_cmp_gt_i32_e32 vcc_lo, 1, v6
	v_or_b32_e32 v5, v8, v5
	v_cndmask_b32_e32 v5, v7, v5, vcc_lo
	v_and_b32_e32 v7, 7, v5
	v_lshrrev_b32_e32 v5, 2, v5
	v_cmp_lt_i32_e32 vcc_lo, 5, v7
	v_cndmask_b32_e64 v8, 0, 1, vcc_lo
	v_cmp_eq_u32_e32 vcc_lo, 3, v7
	v_cndmask_b32_e64 v7, 0, 1, vcc_lo
	v_cmp_ne_u32_e32 vcc_lo, 0, v3
	v_or_b32_e32 v7, v7, v8
	v_mov_b32_e32 v8, 0x7e00
	v_add_nc_u32_e32 v5, v5, v7
	v_cndmask_b32_e32 v3, 0x7c00, v8, vcc_lo
	v_cmp_gt_i32_e32 vcc_lo, 31, v6
	v_cndmask_b32_e32 v5, 0x7c00, v5, vcc_lo
	v_cmp_eq_u32_e32 vcc_lo, 0x40f, v6
	v_cndmask_b32_e32 v3, v5, v3, vcc_lo
	v_and_or_b32 v3, 0x8000, v4, v3
	s_branch .LBB22_485
.LBB22_483:
	s_mov_b32 s16, -1
                                        ; implicit-def: $vgpr3
	s_branch .LBB22_488
.LBB22_484:
	s_mov_b32 s16, -1
                                        ; implicit-def: $vgpr3
.LBB22_485:
	s_andn2_b32 vcc_lo, exec_lo, s16
	s_cbranch_vccnz .LBB22_487
; %bb.486:
	global_load_dword v3, v[0:1], off
	s_waitcnt vmcnt(0)
	v_cvt_f16_f32_e32 v3, v3
.LBB22_487:
	s_mov_b32 s16, 0
.LBB22_488:
	s_andn2_b32 vcc_lo, exec_lo, s16
	s_cbranch_vccnz .LBB22_490
; %bb.489:
	global_load_ushort v3, v[0:1], off
.LBB22_490:
	s_mov_b32 s16, 0
.LBB22_491:
	s_andn2_b32 vcc_lo, exec_lo, s16
	s_cbranch_vccnz .LBB22_511
; %bb.492:
	s_cmp_lt_i32 s0, 2
	s_cbranch_scc1 .LBB22_496
; %bb.493:
	s_cmp_lt_i32 s0, 3
	s_cbranch_scc1 .LBB22_497
; %bb.494:
	s_cmp_gt_i32 s0, 3
	s_cbranch_scc0 .LBB22_498
; %bb.495:
	global_load_dwordx2 v[3:4], v[0:1], off
	s_mov_b32 s16, 0
	s_waitcnt vmcnt(0)
	v_xor_b32_e32 v5, v3, v4
	v_ffbh_i32_e32 v6, v4
	v_ashrrev_i32_e32 v5, 31, v5
	v_add_nc_u32_e32 v6, -1, v6
	v_add_nc_u32_e32 v5, 32, v5
	v_min_u32_e32 v5, v6, v5
	v_lshlrev_b64 v[3:4], v5, v[3:4]
	v_min_u32_e32 v3, 1, v3
	v_or_b32_e32 v3, v4, v3
	v_sub_nc_u32_e32 v4, 32, v5
	v_cvt_f32_i32_e32 v3, v3
	v_ldexp_f32 v3, v3, v4
	v_cvt_f16_f32_e32 v3, v3
	s_branch .LBB22_499
.LBB22_496:
	s_mov_b32 s16, -1
                                        ; implicit-def: $vgpr3
	s_branch .LBB22_505
.LBB22_497:
	s_mov_b32 s16, -1
                                        ; implicit-def: $vgpr3
	s_branch .LBB22_502
.LBB22_498:
	s_mov_b32 s16, -1
                                        ; implicit-def: $vgpr3
.LBB22_499:
	s_andn2_b32 vcc_lo, exec_lo, s16
	s_cbranch_vccnz .LBB22_501
; %bb.500:
	global_load_dword v3, v[0:1], off
	s_waitcnt vmcnt(0)
	v_cvt_f32_i32_e32 v3, v3
	v_cvt_f16_f32_e32 v3, v3
.LBB22_501:
	s_mov_b32 s16, 0
.LBB22_502:
	s_andn2_b32 vcc_lo, exec_lo, s16
	s_cbranch_vccnz .LBB22_504
; %bb.503:
	global_load_ushort v3, v[0:1], off
	s_waitcnt vmcnt(0)
	v_cvt_f16_i16_e32 v3, v3
.LBB22_504:
	s_mov_b32 s16, 0
.LBB22_505:
	s_andn2_b32 vcc_lo, exec_lo, s16
	s_cbranch_vccnz .LBB22_511
; %bb.506:
	s_cmp_gt_i32 s0, 0
	s_mov_b32 s0, 0
	s_cbranch_scc0 .LBB22_508
; %bb.507:
	global_load_sbyte v3, v[0:1], off
	s_waitcnt vmcnt(0)
	v_cvt_f16_i16_e32 v3, v3
	s_branch .LBB22_509
.LBB22_508:
	s_mov_b32 s0, -1
                                        ; implicit-def: $vgpr3
.LBB22_509:
	s_andn2_b32 vcc_lo, exec_lo, s0
	s_cbranch_vccnz .LBB22_511
; %bb.510:
	global_load_ubyte v0, v[0:1], off
	s_waitcnt vmcnt(0)
	v_cvt_f16_u16_e32 v3, v0
.LBB22_511:
	s_branch .LBB22_266
.LBB22_512:
	s_mov_b32 s18, 0
	s_mov_b32 s0, s7
.LBB22_513:
                                        ; implicit-def: $vgpr2
.LBB22_514:
	s_andn2_b32 s16, s7, exec_lo
	s_and_b32 s0, s0, exec_lo
	s_andn2_b32 s19, s13, exec_lo
	s_and_b32 s15, s15, exec_lo
	s_or_b32 s16, s16, s0
	s_or_b32 s15, s19, s15
	s_orn2_b32 s0, s18, exec_lo
.LBB22_515:
	s_or_b32 exec_lo, exec_lo, s17
	s_mov_b32 s18, 0
	s_mov_b32 s19, 0
	;; [unrolled: 1-line block ×3, first 2 shown]
                                        ; implicit-def: $vgpr0_vgpr1
                                        ; implicit-def: $vgpr4
	s_and_saveexec_b32 s17, s0
	s_cbranch_execz .LBB22_862
; %bb.516:
	s_mov_b32 s20, -1
	s_mov_b32 s0, s15
	s_mov_b32 s19, s16
	s_mov_b32 s18, exec_lo
	v_cmpx_gt_i32_e64 s12, v2
	s_cbranch_execz .LBB22_776
; %bb.517:
	v_mul_lo_u32 v0, v2, s3
	s_and_b32 s0, 0xffff, s5
	s_cmp_lt_i32 s0, 11
	v_ashrrev_i32_e32 v1, 31, v0
	v_add_co_u32 v0, vcc_lo, s10, v0
	v_add_co_ci_u32_e64 v1, null, s11, v1, vcc_lo
	s_cbranch_scc1 .LBB22_524
; %bb.518:
	s_cmp_gt_i32 s0, 25
	s_cbranch_scc0 .LBB22_525
; %bb.519:
	s_cmp_gt_i32 s0, 28
	s_cbranch_scc0 .LBB22_526
; %bb.520:
	s_cmp_gt_i32 s0, 43
	s_cbranch_scc0 .LBB22_527
; %bb.521:
	s_cmp_gt_i32 s0, 45
	s_cbranch_scc0 .LBB22_530
; %bb.522:
	s_cmp_eq_u32 s0, 46
	s_mov_b32 s21, 0
	s_cbranch_scc0 .LBB22_533
; %bb.523:
	global_load_dword v3, v[0:1], off
	s_mov_b32 s19, 0
	s_waitcnt vmcnt(0)
	v_lshlrev_b32_e32 v3, 16, v3
	v_cvt_f16_f32_e32 v3, v3
	s_branch .LBB22_535
.LBB22_524:
	s_mov_b32 s21, -1
	s_mov_b32 s20, 0
	s_mov_b32 s19, s15
                                        ; implicit-def: $vgpr3
	s_branch .LBB22_600
.LBB22_525:
	s_mov_b32 s21, -1
	s_mov_b32 s20, 0
	s_mov_b32 s19, s15
                                        ; implicit-def: $vgpr3
	s_branch .LBB22_564
.LBB22_526:
	s_mov_b32 s21, -1
	s_mov_b32 s20, 0
	s_mov_b32 s19, s15
                                        ; implicit-def: $vgpr3
	s_branch .LBB22_545
.LBB22_527:
	s_mov_b32 s21, -1
	s_mov_b32 s20, 0
	s_mov_b32 s19, s15
                                        ; implicit-def: $vgpr3
	s_branch .LBB22_540
.LBB22_528:
	s_andn2_saveexec_b32 s21, s21
	s_cbranch_execz .LBB22_312
.LBB22_529:
	v_add_f32_e64 v5, 0x46000000, |v4|
	s_andn2_b32 s20, s20, exec_lo
	v_and_b32_e32 v5, 0xff, v5
	v_cmp_ne_u32_e32 vcc_lo, 0, v5
	s_and_b32 s22, vcc_lo, exec_lo
	s_or_b32 s20, s20, s22
	s_or_b32 exec_lo, exec_lo, s21
	v_mov_b32_e32 v6, 0
	s_and_saveexec_b32 s21, s20
	s_cbranch_execnz .LBB22_313
	s_branch .LBB22_314
.LBB22_530:
	s_mov_b32 s21, -1
	s_mov_b32 s20, 0
	s_mov_b32 s19, s15
	s_branch .LBB22_534
.LBB22_531:
	s_andn2_saveexec_b32 s21, s21
	s_cbranch_execz .LBB22_325
.LBB22_532:
	v_add_f32_e64 v5, 0x42800000, |v4|
	s_andn2_b32 s20, s20, exec_lo
	v_and_b32_e32 v5, 0xff, v5
	v_cmp_ne_u32_e32 vcc_lo, 0, v5
	s_and_b32 s22, vcc_lo, exec_lo
	s_or_b32 s20, s20, s22
	s_or_b32 exec_lo, exec_lo, s21
	v_mov_b32_e32 v6, 0
	s_and_saveexec_b32 s21, s20
	s_cbranch_execnz .LBB22_326
	s_branch .LBB22_327
.LBB22_533:
	s_mov_b32 s19, -1
	s_mov_b32 s20, 0
.LBB22_534:
                                        ; implicit-def: $vgpr3
.LBB22_535:
	s_and_b32 vcc_lo, exec_lo, s21
	s_cbranch_vccz .LBB22_539
; %bb.536:
	s_cmp_eq_u32 s0, 44
	s_cbranch_scc0 .LBB22_538
; %bb.537:
	global_load_ubyte v3, v[0:1], off
	s_mov_b32 s19, 0
	s_mov_b32 s20, -1
	s_waitcnt vmcnt(0)
	v_lshlrev_b32_e32 v4, 23, v3
	v_cmp_ne_u32_e32 vcc_lo, 0xff, v3
	v_cvt_f16_f32_e32 v4, v4
	v_cndmask_b32_e32 v4, 0x7e00, v4, vcc_lo
	v_cmp_ne_u32_e32 vcc_lo, 0, v3
	v_cndmask_b32_e32 v3, 0, v4, vcc_lo
	s_branch .LBB22_539
.LBB22_538:
	s_mov_b32 s19, -1
                                        ; implicit-def: $vgpr3
.LBB22_539:
	s_mov_b32 s21, 0
.LBB22_540:
	s_and_b32 vcc_lo, exec_lo, s21
	s_cbranch_vccz .LBB22_544
; %bb.541:
	s_cmp_eq_u32 s0, 29
	s_cbranch_scc0 .LBB22_543
; %bb.542:
	global_load_dwordx2 v[3:4], v[0:1], off
	s_mov_b32 s20, -1
	s_mov_b32 s19, 0
	s_mov_b32 s21, 0
	s_waitcnt vmcnt(0)
	v_ffbh_u32_e32 v5, v4
	v_min_u32_e32 v5, 32, v5
	v_lshlrev_b64 v[3:4], v5, v[3:4]
	v_min_u32_e32 v3, 1, v3
	v_or_b32_e32 v3, v4, v3
	v_sub_nc_u32_e32 v4, 32, v5
	v_cvt_f32_u32_e32 v3, v3
	v_ldexp_f32 v3, v3, v4
	v_cvt_f16_f32_e32 v3, v3
	s_branch .LBB22_545
.LBB22_543:
	s_mov_b32 s19, -1
                                        ; implicit-def: $vgpr3
.LBB22_544:
	s_mov_b32 s21, 0
.LBB22_545:
	s_and_b32 vcc_lo, exec_lo, s21
	s_cbranch_vccz .LBB22_563
; %bb.546:
	s_cmp_lt_i32 s0, 27
	s_cbranch_scc1 .LBB22_549
; %bb.547:
	s_cmp_gt_i32 s0, 27
	s_cbranch_scc0 .LBB22_550
; %bb.548:
	global_load_dword v3, v[0:1], off
	s_mov_b32 s20, 0
	s_waitcnt vmcnt(0)
	v_cvt_f32_u32_e32 v3, v3
	v_cvt_f16_f32_e32 v3, v3
	s_branch .LBB22_551
.LBB22_549:
	s_mov_b32 s20, -1
                                        ; implicit-def: $vgpr3
	s_branch .LBB22_554
.LBB22_550:
	s_mov_b32 s20, -1
                                        ; implicit-def: $vgpr3
.LBB22_551:
	s_andn2_b32 vcc_lo, exec_lo, s20
	s_cbranch_vccnz .LBB22_553
; %bb.552:
	global_load_ushort v3, v[0:1], off
	s_waitcnt vmcnt(0)
	v_cvt_f16_u16_e32 v3, v3
.LBB22_553:
	s_mov_b32 s20, 0
.LBB22_554:
	s_andn2_b32 vcc_lo, exec_lo, s20
	s_cbranch_vccnz .LBB22_562
; %bb.555:
	global_load_ubyte v4, v[0:1], off
	s_mov_b32 s20, 0
	s_mov_b32 s21, exec_lo
	s_waitcnt vmcnt(0)
	v_cmpx_lt_i16_e32 0x7f, v4
	s_xor_b32 s21, exec_lo, s21
	s_cbranch_execz .LBB22_576
; %bb.556:
	s_mov_b32 s20, -1
	s_mov_b32 s22, exec_lo
	v_cmpx_eq_u16_e32 0x80, v4
; %bb.557:
	s_xor_b32 s20, exec_lo, -1
; %bb.558:
	s_or_b32 exec_lo, exec_lo, s22
	s_and_b32 s20, s20, exec_lo
	s_or_saveexec_b32 s21, s21
	v_mov_b32_e32 v3, 0x7e00
	s_xor_b32 exec_lo, exec_lo, s21
	s_cbranch_execnz .LBB22_577
.LBB22_559:
	s_or_b32 exec_lo, exec_lo, s21
	s_and_saveexec_b32 s21, s20
	s_cbranch_execz .LBB22_561
.LBB22_560:
	v_and_b32_e32 v3, 0xffff, v4
	v_lshlrev_b32_e32 v4, 24, v4
	v_and_b32_e32 v5, 7, v3
	v_bfe_u32 v8, v3, 3, 4
	v_and_b32_e32 v4, 0x80000000, v4
	v_ffbh_u32_e32 v6, v5
	v_cmp_eq_u32_e32 vcc_lo, 0, v8
	v_min_u32_e32 v6, 32, v6
	v_subrev_nc_u32_e32 v7, 28, v6
	v_sub_nc_u32_e32 v6, 29, v6
	v_lshlrev_b32_e32 v3, v7, v3
	v_cndmask_b32_e32 v6, v8, v6, vcc_lo
	v_and_b32_e32 v3, 7, v3
	v_cndmask_b32_e32 v3, v5, v3, vcc_lo
	v_lshl_add_u32 v5, v6, 23, 0x3b800000
	v_lshlrev_b32_e32 v3, 20, v3
	v_or3_b32 v3, v4, v5, v3
	v_cvt_f16_f32_e32 v3, v3
.LBB22_561:
	s_or_b32 exec_lo, exec_lo, s21
.LBB22_562:
	s_mov_b32 s20, -1
.LBB22_563:
	s_mov_b32 s21, 0
.LBB22_564:
	s_and_b32 vcc_lo, exec_lo, s21
	s_cbranch_vccz .LBB22_599
; %bb.565:
	s_cmp_gt_i32 s0, 22
	s_cbranch_scc0 .LBB22_575
; %bb.566:
	s_cmp_lt_i32 s0, 24
	s_cbranch_scc1 .LBB22_578
; %bb.567:
	s_cmp_gt_i32 s0, 24
	s_cbranch_scc0 .LBB22_579
; %bb.568:
	global_load_ubyte v4, v[0:1], off
	s_mov_b32 s20, 0
	s_mov_b32 s21, exec_lo
	s_waitcnt vmcnt(0)
	v_cmpx_lt_i16_e32 0x7f, v4
	s_xor_b32 s21, exec_lo, s21
	s_cbranch_execz .LBB22_591
; %bb.569:
	s_mov_b32 s20, -1
	s_mov_b32 s22, exec_lo
	v_cmpx_eq_u16_e32 0x80, v4
; %bb.570:
	s_xor_b32 s20, exec_lo, -1
; %bb.571:
	s_or_b32 exec_lo, exec_lo, s22
	s_and_b32 s20, s20, exec_lo
	s_or_saveexec_b32 s21, s21
	v_mov_b32_e32 v3, 0x7e00
	s_xor_b32 exec_lo, exec_lo, s21
	s_cbranch_execnz .LBB22_592
.LBB22_572:
	s_or_b32 exec_lo, exec_lo, s21
	s_and_saveexec_b32 s21, s20
	s_cbranch_execz .LBB22_574
.LBB22_573:
	v_and_b32_e32 v3, 0xffff, v4
	v_lshlrev_b32_e32 v4, 24, v4
	v_and_b32_e32 v5, 3, v3
	v_bfe_u32 v8, v3, 2, 5
	v_and_b32_e32 v4, 0x80000000, v4
	v_ffbh_u32_e32 v6, v5
	v_cmp_eq_u32_e32 vcc_lo, 0, v8
	v_min_u32_e32 v6, 32, v6
	v_subrev_nc_u32_e32 v7, 29, v6
	v_sub_nc_u32_e32 v6, 30, v6
	v_lshlrev_b32_e32 v3, v7, v3
	v_cndmask_b32_e32 v6, v8, v6, vcc_lo
	v_and_b32_e32 v3, 3, v3
	v_cndmask_b32_e32 v3, v5, v3, vcc_lo
	v_lshl_add_u32 v5, v6, 23, 0x37800000
	v_lshlrev_b32_e32 v3, 21, v3
	v_or3_b32 v3, v4, v5, v3
	v_cvt_f16_f32_e32 v3, v3
.LBB22_574:
	s_or_b32 exec_lo, exec_lo, s21
	s_mov_b32 s20, 0
	s_branch .LBB22_580
.LBB22_575:
	s_mov_b32 s21, -1
                                        ; implicit-def: $vgpr3
	s_branch .LBB22_586
.LBB22_576:
	s_or_saveexec_b32 s21, s21
	v_mov_b32_e32 v3, 0x7e00
	s_xor_b32 exec_lo, exec_lo, s21
	s_cbranch_execz .LBB22_559
.LBB22_577:
	v_cmp_ne_u16_e32 vcc_lo, 0, v4
	v_mov_b32_e32 v3, v4
	s_andn2_b32 s20, s20, exec_lo
	s_and_b32 s22, vcc_lo, exec_lo
	s_or_b32 s20, s20, s22
	s_or_b32 exec_lo, exec_lo, s21
	s_and_saveexec_b32 s21, s20
	s_cbranch_execnz .LBB22_560
	s_branch .LBB22_561
.LBB22_578:
	s_mov_b32 s20, -1
                                        ; implicit-def: $vgpr3
	s_branch .LBB22_583
.LBB22_579:
	s_mov_b32 s20, -1
                                        ; implicit-def: $vgpr3
.LBB22_580:
	s_and_b32 vcc_lo, exec_lo, s20
	s_cbranch_vccz .LBB22_582
; %bb.581:
	global_load_ubyte v3, v[0:1], off
	s_waitcnt vmcnt(0)
	v_lshlrev_b32_e32 v3, 24, v3
	v_and_b32_e32 v4, 0x7f000000, v3
	v_ffbh_u32_e32 v5, v4
	v_add_nc_u32_e32 v7, 0x1000000, v4
	v_cmp_ne_u32_e32 vcc_lo, 0, v4
	v_min_u32_e32 v5, 32, v5
	v_sub_nc_u32_e64 v5, v5, 4 clamp
	v_lshlrev_b32_e32 v6, v5, v4
	v_lshlrev_b32_e32 v5, 23, v5
	v_lshrrev_b32_e32 v6, 4, v6
	v_sub_nc_u32_e32 v5, v6, v5
	v_ashrrev_i32_e32 v6, 8, v7
	v_add_nc_u32_e32 v5, 0x3c000000, v5
	v_and_or_b32 v5, 0x7f800000, v6, v5
	v_cndmask_b32_e32 v4, 0, v5, vcc_lo
	v_and_or_b32 v3, 0x80000000, v3, v4
	v_cvt_f16_f32_e32 v3, v3
.LBB22_582:
	s_mov_b32 s20, 0
.LBB22_583:
	s_andn2_b32 vcc_lo, exec_lo, s20
	s_cbranch_vccnz .LBB22_585
; %bb.584:
	global_load_ubyte v3, v[0:1], off
	s_waitcnt vmcnt(0)
	v_lshlrev_b32_e32 v4, 25, v3
	v_lshlrev_b16 v3, 8, v3
	v_lshrrev_b32_e32 v5, 4, v4
	v_and_or_b32 v6, 0x7f00, v3, 0.5
	v_cmp_gt_u32_e32 vcc_lo, 0x8000000, v4
	v_bfe_i32 v3, v3, 0, 16
	v_or_b32_e32 v5, 0x70000000, v5
	v_add_f32_e32 v6, -0.5, v6
	v_mul_f32_e32 v5, 0x7800000, v5
	v_cndmask_b32_e32 v4, v5, v6, vcc_lo
	v_and_or_b32 v3, 0x80000000, v3, v4
	v_cvt_f16_f32_e32 v3, v3
.LBB22_585:
	s_mov_b32 s21, 0
	s_mov_b32 s20, -1
.LBB22_586:
	s_andn2_b32 vcc_lo, exec_lo, s21
	s_cbranch_vccnz .LBB22_599
; %bb.587:
	s_cmp_gt_i32 s0, 14
	s_cbranch_scc0 .LBB22_590
; %bb.588:
	s_cmp_eq_u32 s0, 15
	s_cbranch_scc0 .LBB22_593
; %bb.589:
	global_load_ushort v3, v[0:1], off
	s_mov_b32 s20, -1
	s_mov_b32 s19, 0
	s_waitcnt vmcnt(0)
	v_lshlrev_b32_e32 v3, 16, v3
	v_cvt_f16_f32_e32 v3, v3
	s_branch .LBB22_594
.LBB22_590:
	s_mov_b32 s21, -1
                                        ; implicit-def: $vgpr3
	s_branch .LBB22_595
.LBB22_591:
	s_or_saveexec_b32 s21, s21
	v_mov_b32_e32 v3, 0x7e00
	s_xor_b32 exec_lo, exec_lo, s21
	s_cbranch_execz .LBB22_572
.LBB22_592:
	v_cmp_ne_u16_e32 vcc_lo, 0, v4
	v_mov_b32_e32 v3, v4
	s_andn2_b32 s20, s20, exec_lo
	s_and_b32 s22, vcc_lo, exec_lo
	s_or_b32 s20, s20, s22
	s_or_b32 exec_lo, exec_lo, s21
	s_and_saveexec_b32 s21, s20
	s_cbranch_execnz .LBB22_573
	s_branch .LBB22_574
.LBB22_593:
	s_mov_b32 s19, -1
                                        ; implicit-def: $vgpr3
.LBB22_594:
	s_mov_b32 s21, 0
.LBB22_595:
	s_and_b32 vcc_lo, exec_lo, s21
	s_cbranch_vccz .LBB22_599
; %bb.596:
	s_cmp_eq_u32 s0, 11
	s_cbranch_scc0 .LBB22_598
; %bb.597:
	global_load_ubyte v3, v[0:1], off
	s_mov_b32 s19, 0
	s_mov_b32 s20, -1
	s_waitcnt vmcnt(0)
	v_cmp_ne_u16_e32 vcc_lo, 0, v3
	v_cndmask_b32_e64 v3, 0, 0x3c00, vcc_lo
	s_branch .LBB22_599
.LBB22_598:
	s_mov_b32 s19, -1
                                        ; implicit-def: $vgpr3
.LBB22_599:
	s_mov_b32 s21, 0
.LBB22_600:
	s_and_b32 vcc_lo, exec_lo, s21
	s_cbranch_vccz .LBB22_649
; %bb.601:
	s_cmp_lt_i32 s0, 5
	s_cbranch_scc1 .LBB22_606
; %bb.602:
	s_cmp_lt_i32 s0, 8
	s_cbranch_scc1 .LBB22_607
	;; [unrolled: 3-line block ×3, first 2 shown]
; %bb.604:
	s_cmp_gt_i32 s0, 9
	s_cbranch_scc0 .LBB22_609
; %bb.605:
	global_load_dwordx2 v[3:4], v[0:1], off
	s_mov_b32 s20, 0
	s_waitcnt vmcnt(0)
	v_and_or_b32 v3, 0x1ff, v4, v3
	v_lshrrev_b32_e32 v5, 8, v4
	v_bfe_u32 v6, v4, 20, 11
	v_lshrrev_b32_e32 v4, 16, v4
	v_cmp_ne_u32_e32 vcc_lo, 0, v3
	v_sub_nc_u32_e32 v7, 0x3f1, v6
	v_add_nc_u32_e32 v6, 0xfffffc10, v6
	v_cndmask_b32_e64 v3, 0, 1, vcc_lo
	v_and_or_b32 v3, 0xffe, v5, v3
	v_med3_i32 v5, v7, 0, 13
	v_or_b32_e32 v7, 0x1000, v3
	v_lshrrev_b32_e32 v8, v5, v7
	v_lshlrev_b32_e32 v5, v5, v8
	v_cmp_ne_u32_e32 vcc_lo, v5, v7
	v_lshl_or_b32 v7, v6, 12, v3
	v_cndmask_b32_e64 v5, 0, 1, vcc_lo
	v_cmp_gt_i32_e32 vcc_lo, 1, v6
	v_or_b32_e32 v5, v8, v5
	v_cndmask_b32_e32 v5, v7, v5, vcc_lo
	v_and_b32_e32 v7, 7, v5
	v_lshrrev_b32_e32 v5, 2, v5
	v_cmp_lt_i32_e32 vcc_lo, 5, v7
	v_cndmask_b32_e64 v8, 0, 1, vcc_lo
	v_cmp_eq_u32_e32 vcc_lo, 3, v7
	v_cndmask_b32_e64 v7, 0, 1, vcc_lo
	v_cmp_ne_u32_e32 vcc_lo, 0, v3
	v_or_b32_e32 v7, v7, v8
	v_mov_b32_e32 v8, 0x7e00
	v_add_nc_u32_e32 v5, v5, v7
	v_cndmask_b32_e32 v3, 0x7c00, v8, vcc_lo
	v_cmp_gt_i32_e32 vcc_lo, 31, v6
	v_cndmask_b32_e32 v5, 0x7c00, v5, vcc_lo
	v_cmp_eq_u32_e32 vcc_lo, 0x40f, v6
	v_cndmask_b32_e32 v3, v5, v3, vcc_lo
	v_and_or_b32 v3, 0x8000, v4, v3
	s_branch .LBB22_610
.LBB22_606:
	s_mov_b32 s20, -1
                                        ; implicit-def: $vgpr3
	s_branch .LBB22_628
.LBB22_607:
	s_mov_b32 s20, -1
                                        ; implicit-def: $vgpr3
	s_branch .LBB22_616
.LBB22_608:
	s_mov_b32 s20, -1
                                        ; implicit-def: $vgpr3
	s_branch .LBB22_613
.LBB22_609:
	s_mov_b32 s20, -1
                                        ; implicit-def: $vgpr3
.LBB22_610:
	s_andn2_b32 vcc_lo, exec_lo, s20
	s_cbranch_vccnz .LBB22_612
; %bb.611:
	global_load_dword v3, v[0:1], off
	s_waitcnt vmcnt(0)
	v_cvt_f16_f32_e32 v3, v3
.LBB22_612:
	s_mov_b32 s20, 0
.LBB22_613:
	s_andn2_b32 vcc_lo, exec_lo, s20
	s_cbranch_vccnz .LBB22_615
; %bb.614:
	global_load_dword v3, v[0:1], off
.LBB22_615:
	s_mov_b32 s20, 0
.LBB22_616:
	s_andn2_b32 vcc_lo, exec_lo, s20
	s_cbranch_vccnz .LBB22_627
; %bb.617:
	s_cmp_lt_i32 s0, 6
	s_cbranch_scc1 .LBB22_620
; %bb.618:
	s_cmp_gt_i32 s0, 6
	s_cbranch_scc0 .LBB22_621
; %bb.619:
	global_load_dwordx2 v[3:4], v[0:1], off
	s_mov_b32 s20, 0
	s_waitcnt vmcnt(0)
	v_and_or_b32 v3, 0x1ff, v4, v3
	v_lshrrev_b32_e32 v5, 8, v4
	v_bfe_u32 v6, v4, 20, 11
	v_lshrrev_b32_e32 v4, 16, v4
	v_cmp_ne_u32_e32 vcc_lo, 0, v3
	v_sub_nc_u32_e32 v7, 0x3f1, v6
	v_add_nc_u32_e32 v6, 0xfffffc10, v6
	v_cndmask_b32_e64 v3, 0, 1, vcc_lo
	v_and_or_b32 v3, 0xffe, v5, v3
	v_med3_i32 v5, v7, 0, 13
	v_or_b32_e32 v7, 0x1000, v3
	v_lshrrev_b32_e32 v8, v5, v7
	v_lshlrev_b32_e32 v5, v5, v8
	v_cmp_ne_u32_e32 vcc_lo, v5, v7
	v_lshl_or_b32 v7, v6, 12, v3
	v_cndmask_b32_e64 v5, 0, 1, vcc_lo
	v_cmp_gt_i32_e32 vcc_lo, 1, v6
	v_or_b32_e32 v5, v8, v5
	v_cndmask_b32_e32 v5, v7, v5, vcc_lo
	v_and_b32_e32 v7, 7, v5
	v_lshrrev_b32_e32 v5, 2, v5
	v_cmp_lt_i32_e32 vcc_lo, 5, v7
	v_cndmask_b32_e64 v8, 0, 1, vcc_lo
	v_cmp_eq_u32_e32 vcc_lo, 3, v7
	v_cndmask_b32_e64 v7, 0, 1, vcc_lo
	v_cmp_ne_u32_e32 vcc_lo, 0, v3
	v_or_b32_e32 v7, v7, v8
	v_mov_b32_e32 v8, 0x7e00
	v_add_nc_u32_e32 v5, v5, v7
	v_cndmask_b32_e32 v3, 0x7c00, v8, vcc_lo
	v_cmp_gt_i32_e32 vcc_lo, 31, v6
	v_cndmask_b32_e32 v5, 0x7c00, v5, vcc_lo
	v_cmp_eq_u32_e32 vcc_lo, 0x40f, v6
	v_cndmask_b32_e32 v3, v5, v3, vcc_lo
	v_and_or_b32 v3, 0x8000, v4, v3
	s_branch .LBB22_622
.LBB22_620:
	s_mov_b32 s20, -1
                                        ; implicit-def: $vgpr3
	s_branch .LBB22_625
.LBB22_621:
	s_mov_b32 s20, -1
                                        ; implicit-def: $vgpr3
.LBB22_622:
	s_andn2_b32 vcc_lo, exec_lo, s20
	s_cbranch_vccnz .LBB22_624
; %bb.623:
	global_load_dword v3, v[0:1], off
	s_waitcnt vmcnt(0)
	v_cvt_f16_f32_e32 v3, v3
.LBB22_624:
	s_mov_b32 s20, 0
.LBB22_625:
	s_andn2_b32 vcc_lo, exec_lo, s20
	s_cbranch_vccnz .LBB22_627
; %bb.626:
	global_load_ushort v3, v[0:1], off
.LBB22_627:
	s_mov_b32 s20, 0
.LBB22_628:
	s_andn2_b32 vcc_lo, exec_lo, s20
	s_cbranch_vccnz .LBB22_648
; %bb.629:
	s_cmp_lt_i32 s0, 2
	s_cbranch_scc1 .LBB22_633
; %bb.630:
	s_cmp_lt_i32 s0, 3
	s_cbranch_scc1 .LBB22_634
; %bb.631:
	s_cmp_gt_i32 s0, 3
	s_cbranch_scc0 .LBB22_635
; %bb.632:
	global_load_dwordx2 v[3:4], v[0:1], off
	s_mov_b32 s20, 0
	s_waitcnt vmcnt(0)
	v_xor_b32_e32 v5, v3, v4
	v_ffbh_i32_e32 v6, v4
	v_ashrrev_i32_e32 v5, 31, v5
	v_add_nc_u32_e32 v6, -1, v6
	v_add_nc_u32_e32 v5, 32, v5
	v_min_u32_e32 v5, v6, v5
	v_lshlrev_b64 v[3:4], v5, v[3:4]
	v_min_u32_e32 v3, 1, v3
	v_or_b32_e32 v3, v4, v3
	v_sub_nc_u32_e32 v4, 32, v5
	v_cvt_f32_i32_e32 v3, v3
	v_ldexp_f32 v3, v3, v4
	v_cvt_f16_f32_e32 v3, v3
	s_branch .LBB22_636
.LBB22_633:
	s_mov_b32 s20, -1
                                        ; implicit-def: $vgpr3
	s_branch .LBB22_642
.LBB22_634:
	s_mov_b32 s20, -1
                                        ; implicit-def: $vgpr3
	s_branch .LBB22_639
.LBB22_635:
	s_mov_b32 s20, -1
                                        ; implicit-def: $vgpr3
.LBB22_636:
	s_andn2_b32 vcc_lo, exec_lo, s20
	s_cbranch_vccnz .LBB22_638
; %bb.637:
	global_load_dword v3, v[0:1], off
	s_waitcnt vmcnt(0)
	v_cvt_f32_i32_e32 v3, v3
	v_cvt_f16_f32_e32 v3, v3
.LBB22_638:
	s_mov_b32 s20, 0
.LBB22_639:
	s_andn2_b32 vcc_lo, exec_lo, s20
	s_cbranch_vccnz .LBB22_641
; %bb.640:
	global_load_ushort v3, v[0:1], off
	s_waitcnt vmcnt(0)
	v_cvt_f16_i16_e32 v3, v3
.LBB22_641:
	s_mov_b32 s20, 0
.LBB22_642:
	s_andn2_b32 vcc_lo, exec_lo, s20
	s_cbranch_vccnz .LBB22_648
; %bb.643:
	s_cmp_gt_i32 s0, 0
	s_mov_b32 s0, 0
	s_cbranch_scc0 .LBB22_645
; %bb.644:
	global_load_sbyte v3, v[0:1], off
	s_waitcnt vmcnt(0)
	v_cvt_f16_i16_e32 v3, v3
	s_branch .LBB22_646
.LBB22_645:
	s_mov_b32 s0, -1
                                        ; implicit-def: $vgpr3
.LBB22_646:
	s_andn2_b32 vcc_lo, exec_lo, s0
	s_cbranch_vccnz .LBB22_648
; %bb.647:
	global_load_ubyte v0, v[0:1], off
	s_waitcnt vmcnt(0)
	v_cvt_f16_u16_e32 v3, v0
.LBB22_648:
	s_mov_b32 s20, -1
.LBB22_649:
	s_andn2_b32 vcc_lo, exec_lo, s20
	s_cbranch_vccnz .LBB22_657
; %bb.650:
	s_waitcnt vmcnt(0)
	v_cvt_f32_f16_e32 v0, v3
	s_mov_b32 s0, 0x3b2d2a58
	s_and_b32 s20, s1, 0xff
	s_cmp_lt_i32 s20, 11
	v_rcp_f32_e64 v1, |v0|
	v_cmp_gt_f32_e64 vcc_lo, |v0|, 1.0
	v_cndmask_b32_e64 v0, |v0|, v1, vcc_lo
	v_mul_f32_e32 v1, v0, v0
	v_fmaak_f32 v4, s0, v1, 0xbc7a590c
	v_fmaak_f32 v4, v1, v4, 0x3d29fb3f
	;; [unrolled: 1-line block ×7, first 2 shown]
	v_mul_f32_e32 v1, v1, v4
	v_mul_lo_u32 v4, v2, s2
	v_fmac_f32_e32 v0, v0, v1
	v_sub_f32_e32 v1, 0x3fc90fdb, v0
	v_cndmask_b32_e32 v0, v0, v1, vcc_lo
	v_ashrrev_i32_e32 v1, 31, v4
	v_cvt_f16_f32_e32 v5, v0
	v_add_co_u32 v0, vcc_lo, s8, v4
	v_add_co_ci_u32_e64 v1, null, s9, v1, vcc_lo
	v_bfi_b32 v3, 0x7fff, v5, v3
	s_cbranch_scc1 .LBB22_658
; %bb.651:
	s_and_b32 s21, 0xffff, s20
	s_cmp_gt_i32 s21, 25
	s_cbranch_scc0 .LBB22_659
; %bb.652:
	s_cmp_gt_i32 s21, 28
	s_cbranch_scc0 .LBB22_660
; %bb.653:
	;; [unrolled: 3-line block ×4, first 2 shown]
	s_mov_b32 s23, 0
	s_mov_b32 s0, -1
	s_cmp_eq_u32 s21, 46
	s_mov_b32 s22, 0
	s_cbranch_scc0 .LBB22_663
; %bb.656:
	v_cvt_f32_f16_e32 v4, v3
	v_cmp_o_f16_e32 vcc_lo, v3, v3
	s_mov_b32 s22, -1
	s_mov_b32 s0, 0
	v_bfe_u32 v5, v4, 16, 1
	v_add3_u32 v4, v4, v5, 0x7fff
	v_mov_b32_e32 v5, 0x7fc0
	v_cndmask_b32_sdwa v4, v5, v4, vcc_lo dst_sel:DWORD dst_unused:UNUSED_PAD src0_sel:DWORD src1_sel:WORD_1
	global_store_dword v[0:1], v4, off
	s_branch .LBB22_663
.LBB22_657:
	s_mov_b32 s20, 0
	s_mov_b32 s0, s16
	s_branch .LBB22_774
.LBB22_658:
	s_mov_b32 s21, -1
	s_mov_b32 s22, 0
	s_mov_b32 s0, s16
	s_branch .LBB22_732
.LBB22_659:
	s_mov_b32 s23, -1
	s_mov_b32 s22, 0
	s_mov_b32 s0, s16
	s_branch .LBB22_690
.LBB22_660:
	s_mov_b32 s23, -1
	s_mov_b32 s22, 0
	s_mov_b32 s0, s16
	s_branch .LBB22_673
.LBB22_661:
	s_mov_b32 s23, -1
	s_mov_b32 s22, 0
	s_mov_b32 s0, s16
	s_branch .LBB22_669
.LBB22_662:
	s_mov_b32 s23, -1
	s_mov_b32 s22, 0
	s_mov_b32 s0, s16
.LBB22_663:
	s_and_b32 vcc_lo, exec_lo, s23
	s_cbranch_vccz .LBB22_668
; %bb.664:
	s_cmp_eq_u32 s21, 44
	s_mov_b32 s0, -1
	s_cbranch_scc0 .LBB22_668
; %bb.665:
	v_cvt_f32_f16_e32 v4, v3
	v_mov_b32_e32 v5, 0xff
	s_mov_b32 s22, exec_lo
	v_bfe_u32 v6, v4, 23, 8
	v_cmpx_ne_u32_e32 0xff, v6
	s_cbranch_execz .LBB22_667
; %bb.666:
	v_and_b32_e32 v5, 0x400000, v4
	v_and_or_b32 v6, 0x3fffff, v4, v6
	v_lshrrev_b32_e32 v4, 23, v4
	v_cmp_ne_u32_e32 vcc_lo, 0, v5
	v_cmp_ne_u32_e64 s0, 0, v6
	s_and_b32 s0, vcc_lo, s0
	v_cndmask_b32_e64 v5, 0, 1, s0
	v_add_nc_u32_e32 v5, v4, v5
.LBB22_667:
	s_or_b32 exec_lo, exec_lo, s22
	s_mov_b32 s22, -1
	s_mov_b32 s0, 0
	global_store_byte v[0:1], v5, off
.LBB22_668:
	s_mov_b32 s23, 0
.LBB22_669:
	s_and_b32 vcc_lo, exec_lo, s23
	s_cbranch_vccz .LBB22_672
; %bb.670:
	s_cmp_eq_u32 s21, 29
	s_mov_b32 s0, -1
	s_cbranch_scc0 .LBB22_672
; %bb.671:
	v_cvt_f32_f16_e32 v4, v3
	v_mov_b32_e32 v5, 0
	s_mov_b32 s22, -1
	s_mov_b32 s0, 0
	s_mov_b32 s23, 0
	v_cvt_u32_f32_e32 v4, v4
	global_store_dwordx2 v[0:1], v[4:5], off
	s_branch .LBB22_673
.LBB22_672:
	s_mov_b32 s23, 0
.LBB22_673:
	s_and_b32 vcc_lo, exec_lo, s23
	s_cbranch_vccz .LBB22_689
; %bb.674:
	s_cmp_lt_i32 s21, 27
	s_mov_b32 s22, -1
	s_cbranch_scc1 .LBB22_680
; %bb.675:
	s_cmp_gt_i32 s21, 27
	s_cbranch_scc0 .LBB22_677
; %bb.676:
	v_cvt_f32_f16_e32 v4, v3
	s_mov_b32 s22, 0
	v_cvt_u32_f32_e32 v4, v4
	global_store_dword v[0:1], v4, off
.LBB22_677:
	s_andn2_b32 vcc_lo, exec_lo, s22
	s_cbranch_vccnz .LBB22_679
; %bb.678:
	v_cvt_u16_f16_e32 v4, v3
	global_store_short v[0:1], v4, off
.LBB22_679:
	s_mov_b32 s22, 0
.LBB22_680:
	s_andn2_b32 vcc_lo, exec_lo, s22
	s_cbranch_vccnz .LBB22_688
; %bb.681:
	v_cvt_f32_f16_e32 v4, v3
	v_mov_b32_e32 v6, 0x80
	s_mov_b32 s22, exec_lo
	v_and_b32_e32 v5, 0x7fffffff, v4
	v_cmpx_gt_u32_e32 0x43800000, v5
	s_cbranch_execz .LBB22_687
; %bb.682:
	v_cmp_lt_u32_e32 vcc_lo, 0x3bffffff, v5
	s_mov_b32 s23, 0
                                        ; implicit-def: $vgpr5
	s_and_saveexec_b32 s24, vcc_lo
	s_xor_b32 s24, exec_lo, s24
	s_cbranch_execz .LBB22_789
; %bb.683:
	v_bfe_u32 v5, v4, 20, 1
	s_mov_b32 s23, exec_lo
	v_add3_u32 v5, v4, v5, 0x487ffff
	v_lshrrev_b32_e32 v5, 20, v5
	s_andn2_saveexec_b32 s24, s24
	s_cbranch_execnz .LBB22_790
.LBB22_684:
	s_or_b32 exec_lo, exec_lo, s24
	v_mov_b32_e32 v6, 0
	s_and_saveexec_b32 s24, s23
.LBB22_685:
	v_lshrrev_b32_e32 v4, 24, v4
	v_and_or_b32 v6, 0x80, v4, v5
.LBB22_686:
	s_or_b32 exec_lo, exec_lo, s24
.LBB22_687:
	s_or_b32 exec_lo, exec_lo, s22
	global_store_byte v[0:1], v6, off
.LBB22_688:
	s_mov_b32 s22, -1
.LBB22_689:
	s_mov_b32 s23, 0
.LBB22_690:
	s_and_b32 vcc_lo, exec_lo, s23
	s_cbranch_vccz .LBB22_731
; %bb.691:
	s_cmp_gt_i32 s21, 22
	s_mov_b32 s23, -1
	s_cbranch_scc0 .LBB22_723
; %bb.692:
	s_cmp_lt_i32 s21, 24
	s_mov_b32 s22, -1
	s_cbranch_scc1 .LBB22_712
; %bb.693:
	s_cmp_gt_i32 s21, 24
	s_cbranch_scc0 .LBB22_701
; %bb.694:
	v_cvt_f32_f16_e32 v4, v3
	v_mov_b32_e32 v6, 0x80
	s_mov_b32 s22, exec_lo
	v_and_b32_e32 v5, 0x7fffffff, v4
	v_cmpx_gt_u32_e32 0x47800000, v5
	s_cbranch_execz .LBB22_700
; %bb.695:
	v_cmp_lt_u32_e32 vcc_lo, 0x37ffffff, v5
	s_mov_b32 s23, 0
                                        ; implicit-def: $vgpr5
	s_and_saveexec_b32 s24, vcc_lo
	s_xor_b32 s24, exec_lo, s24
	s_cbranch_execz .LBB22_792
; %bb.696:
	v_bfe_u32 v5, v4, 21, 1
	s_mov_b32 s23, exec_lo
	v_add3_u32 v5, v4, v5, 0x88fffff
	v_lshrrev_b32_e32 v5, 21, v5
	s_andn2_saveexec_b32 s24, s24
	s_cbranch_execnz .LBB22_793
.LBB22_697:
	s_or_b32 exec_lo, exec_lo, s24
	v_mov_b32_e32 v6, 0
	s_and_saveexec_b32 s24, s23
.LBB22_698:
	v_lshrrev_b32_e32 v4, 24, v4
	v_and_or_b32 v6, 0x80, v4, v5
.LBB22_699:
	s_or_b32 exec_lo, exec_lo, s24
.LBB22_700:
	s_or_b32 exec_lo, exec_lo, s22
	s_mov_b32 s22, 0
	global_store_byte v[0:1], v6, off
.LBB22_701:
	s_and_b32 vcc_lo, exec_lo, s22
	s_cbranch_vccz .LBB22_711
; %bb.702:
	v_cvt_f32_f16_e32 v4, v3
	s_mov_b32 s22, exec_lo
                                        ; implicit-def: $vgpr5
	v_and_b32_e32 v6, 0x7fffffff, v4
	v_cmpx_gt_u32_e32 0x43f00000, v6
	s_xor_b32 s22, exec_lo, s22
	s_cbranch_execz .LBB22_708
; %bb.703:
	s_mov_b32 s23, exec_lo
                                        ; implicit-def: $vgpr5
	v_cmpx_lt_u32_e32 0x3c7fffff, v6
	s_xor_b32 s23, exec_lo, s23
; %bb.704:
	v_bfe_u32 v5, v4, 20, 1
	v_add3_u32 v5, v4, v5, 0x407ffff
	v_and_b32_e32 v6, 0xff00000, v5
	v_lshrrev_b32_e32 v5, 20, v5
	v_cmp_ne_u32_e32 vcc_lo, 0x7f00000, v6
	v_cndmask_b32_e32 v5, 0x7e, v5, vcc_lo
; %bb.705:
	s_andn2_saveexec_b32 s23, s23
; %bb.706:
	v_add_f32_e64 v5, 0x46800000, |v4|
; %bb.707:
	s_or_b32 exec_lo, exec_lo, s23
                                        ; implicit-def: $vgpr6
.LBB22_708:
	s_andn2_saveexec_b32 s22, s22
; %bb.709:
	v_mov_b32_e32 v5, 0x7f
	v_cmp_lt_u32_e32 vcc_lo, 0x7f800000, v6
	v_cndmask_b32_e32 v5, 0x7e, v5, vcc_lo
; %bb.710:
	s_or_b32 exec_lo, exec_lo, s22
	v_lshrrev_b32_e32 v4, 24, v4
	v_and_or_b32 v4, 0x80, v4, v5
	global_store_byte v[0:1], v4, off
.LBB22_711:
	s_mov_b32 s22, 0
.LBB22_712:
	s_andn2_b32 vcc_lo, exec_lo, s22
	s_cbranch_vccnz .LBB22_722
; %bb.713:
	v_cvt_f32_f16_e32 v4, v3
	s_mov_b32 s22, exec_lo
                                        ; implicit-def: $vgpr5
	v_and_b32_e32 v6, 0x7fffffff, v4
	v_cmpx_gt_u32_e32 0x47800000, v6
	s_xor_b32 s22, exec_lo, s22
	s_cbranch_execz .LBB22_719
; %bb.714:
	s_mov_b32 s23, exec_lo
                                        ; implicit-def: $vgpr5
	v_cmpx_lt_u32_e32 0x387fffff, v6
	s_xor_b32 s23, exec_lo, s23
; %bb.715:
	v_bfe_u32 v5, v4, 21, 1
	v_add3_u32 v5, v4, v5, 0x80fffff
	v_lshrrev_b32_e32 v5, 21, v5
; %bb.716:
	s_andn2_saveexec_b32 s23, s23
; %bb.717:
	v_add_f32_e64 v5, 0x43000000, |v4|
; %bb.718:
	s_or_b32 exec_lo, exec_lo, s23
                                        ; implicit-def: $vgpr6
.LBB22_719:
	s_andn2_saveexec_b32 s22, s22
; %bb.720:
	v_mov_b32_e32 v5, 0x7f
	v_cmp_lt_u32_e32 vcc_lo, 0x7f800000, v6
	v_cndmask_b32_e32 v5, 0x7c, v5, vcc_lo
; %bb.721:
	s_or_b32 exec_lo, exec_lo, s22
	v_lshrrev_b32_e32 v4, 24, v4
	v_and_or_b32 v4, 0x80, v4, v5
	global_store_byte v[0:1], v4, off
.LBB22_722:
	s_mov_b32 s23, 0
	s_mov_b32 s22, -1
.LBB22_723:
	s_andn2_b32 vcc_lo, exec_lo, s23
	s_cbranch_vccnz .LBB22_731
; %bb.724:
	s_cmp_gt_i32 s21, 14
	s_mov_b32 s23, -1
	s_cbranch_scc0 .LBB22_728
; %bb.725:
	s_cmp_eq_u32 s21, 15
	s_mov_b32 s0, -1
	s_cbranch_scc0 .LBB22_727
; %bb.726:
	v_cvt_f32_f16_e32 v4, v3
	v_cmp_o_f16_e32 vcc_lo, v3, v3
	s_mov_b32 s22, -1
	s_mov_b32 s0, 0
	v_bfe_u32 v5, v4, 16, 1
	v_add3_u32 v4, v4, v5, 0x7fff
	v_mov_b32_e32 v5, 0x7fc0
	v_cndmask_b32_sdwa v4, v5, v4, vcc_lo dst_sel:DWORD dst_unused:UNUSED_PAD src0_sel:DWORD src1_sel:WORD_1
	global_store_short v[0:1], v4, off
.LBB22_727:
	s_mov_b32 s23, 0
.LBB22_728:
	s_and_b32 vcc_lo, exec_lo, s23
	s_cbranch_vccz .LBB22_731
; %bb.729:
	s_cmp_eq_u32 s21, 11
	s_mov_b32 s0, -1
	s_cbranch_scc0 .LBB22_731
; %bb.730:
	v_cmp_neq_f16_e32 vcc_lo, 0, v3
	s_mov_b32 s0, 0
	s_mov_b32 s22, -1
	v_cndmask_b32_e64 v4, 0, 1, vcc_lo
	global_store_byte v[0:1], v4, off
.LBB22_731:
	s_mov_b32 s21, 0
.LBB22_732:
	s_and_b32 vcc_lo, exec_lo, s21
	s_cbranch_vccz .LBB22_771
; %bb.733:
	s_and_b32 s20, 0xffff, s20
	s_mov_b32 s21, -1
	s_cmp_lt_i32 s20, 5
	s_cbranch_scc1 .LBB22_754
; %bb.734:
	s_cmp_lt_i32 s20, 8
	s_cbranch_scc1 .LBB22_744
; %bb.735:
	s_cmp_lt_i32 s20, 9
	s_cbranch_scc1 .LBB22_741
; %bb.736:
	s_cmp_gt_i32 s20, 9
	s_cbranch_scc0 .LBB22_738
; %bb.737:
	v_cvt_f32_f16_e32 v4, v3
	v_mov_b32_e32 v6, 0
	s_mov_b32 s21, 0
	v_cvt_f64_f32_e32 v[4:5], v4
	v_mov_b32_e32 v7, v6
	global_store_dwordx4 v[0:1], v[4:7], off
.LBB22_738:
	s_andn2_b32 vcc_lo, exec_lo, s21
	s_cbranch_vccnz .LBB22_740
; %bb.739:
	v_cvt_f32_f16_e32 v4, v3
	v_mov_b32_e32 v5, 0
	global_store_dwordx2 v[0:1], v[4:5], off
.LBB22_740:
	s_mov_b32 s21, 0
.LBB22_741:
	s_andn2_b32 vcc_lo, exec_lo, s21
	s_cbranch_vccnz .LBB22_743
; %bb.742:
	v_and_b32_e32 v4, 0xffff, v3
	global_store_dword v[0:1], v4, off
.LBB22_743:
	s_mov_b32 s21, 0
.LBB22_744:
	s_andn2_b32 vcc_lo, exec_lo, s21
	s_cbranch_vccnz .LBB22_753
; %bb.745:
	s_cmp_lt_i32 s20, 6
	s_mov_b32 s21, -1
	s_cbranch_scc1 .LBB22_751
; %bb.746:
	s_cmp_gt_i32 s20, 6
	s_cbranch_scc0 .LBB22_748
; %bb.747:
	v_cvt_f32_f16_e32 v4, v3
	s_mov_b32 s21, 0
	v_cvt_f64_f32_e32 v[4:5], v4
	global_store_dwordx2 v[0:1], v[4:5], off
.LBB22_748:
	s_andn2_b32 vcc_lo, exec_lo, s21
	s_cbranch_vccnz .LBB22_750
; %bb.749:
	v_cvt_f32_f16_e32 v4, v3
	global_store_dword v[0:1], v4, off
.LBB22_750:
	s_mov_b32 s21, 0
.LBB22_751:
	s_andn2_b32 vcc_lo, exec_lo, s21
	s_cbranch_vccnz .LBB22_753
; %bb.752:
	global_store_short v[0:1], v3, off
.LBB22_753:
	s_mov_b32 s21, 0
.LBB22_754:
	s_andn2_b32 vcc_lo, exec_lo, s21
	s_cbranch_vccnz .LBB22_770
; %bb.755:
	s_cmp_lt_i32 s20, 2
	s_mov_b32 s21, -1
	s_cbranch_scc1 .LBB22_765
; %bb.756:
	s_cmp_lt_i32 s20, 3
	s_cbranch_scc1 .LBB22_762
; %bb.757:
	s_cmp_gt_i32 s20, 3
	s_cbranch_scc0 .LBB22_759
; %bb.758:
	v_cvt_f32_f16_e32 v4, v3
	s_mov_b32 s21, 0
	v_cvt_i32_f32_e32 v4, v4
	v_ashrrev_i32_e32 v5, 31, v4
	global_store_dwordx2 v[0:1], v[4:5], off
.LBB22_759:
	s_andn2_b32 vcc_lo, exec_lo, s21
	s_cbranch_vccnz .LBB22_761
; %bb.760:
	v_cvt_f32_f16_e32 v4, v3
	v_cvt_i32_f32_e32 v4, v4
	global_store_dword v[0:1], v4, off
.LBB22_761:
	s_mov_b32 s21, 0
.LBB22_762:
	s_andn2_b32 vcc_lo, exec_lo, s21
	s_cbranch_vccnz .LBB22_764
; %bb.763:
	v_cvt_i16_f16_e32 v4, v3
	global_store_short v[0:1], v4, off
.LBB22_764:
	s_mov_b32 s21, 0
.LBB22_765:
	s_andn2_b32 vcc_lo, exec_lo, s21
	s_cbranch_vccnz .LBB22_770
; %bb.766:
	s_cmp_gt_i32 s20, 0
	s_mov_b32 s20, -1
	s_cbranch_scc0 .LBB22_768
; %bb.767:
	v_cvt_i16_f16_e32 v4, v3
	s_mov_b32 s20, 0
	global_store_byte v[0:1], v4, off
.LBB22_768:
	s_andn2_b32 vcc_lo, exec_lo, s20
	s_cbranch_vccnz .LBB22_770
; %bb.769:
	v_cvt_f32_f16_e32 v3, v3
	v_cvt_i32_f32_e32 v3, v3
	global_store_byte v[0:1], v3, off
.LBB22_770:
	s_mov_b32 s22, -1
.LBB22_771:
	s_andn2_b32 vcc_lo, exec_lo, s22
	s_cbranch_vccnz .LBB22_773
; %bb.772:
	v_add_nc_u32_e32 v2, 0x80, v2
	s_mov_b32 s20, -1
	s_branch .LBB22_775
.LBB22_773:
	s_mov_b32 s20, 0
.LBB22_774:
                                        ; implicit-def: $vgpr2
.LBB22_775:
	s_andn2_b32 s21, s16, exec_lo
	s_and_b32 s0, s0, exec_lo
	s_andn2_b32 s22, s15, exec_lo
	s_and_b32 s23, s19, exec_lo
	s_or_b32 s19, s21, s0
	s_or_b32 s0, s22, s23
	s_orn2_b32 s20, s20, exec_lo
.LBB22_776:
	s_or_b32 exec_lo, exec_lo, s18
	s_mov_b32 s21, 0
	s_mov_b32 s22, 0
	;; [unrolled: 1-line block ×3, first 2 shown]
                                        ; implicit-def: $vgpr0_vgpr1
                                        ; implicit-def: $vgpr4
	s_and_saveexec_b32 s18, s20
	s_cbranch_execz .LBB22_861
; %bb.777:
	v_cmp_gt_i32_e32 vcc_lo, s12, v2
	s_mov_b32 s20, 0
	s_mov_b32 s21, s0
	;; [unrolled: 1-line block ×3, first 2 shown]
                                        ; implicit-def: $vgpr0_vgpr1
                                        ; implicit-def: $vgpr4
	s_and_saveexec_b32 s12, vcc_lo
	s_cbranch_execz .LBB22_860
; %bb.778:
	v_mul_lo_u32 v0, v2, s3
	s_and_b32 s20, 0xffff, s5
	s_cmp_lt_i32 s20, 11
	v_ashrrev_i32_e32 v1, 31, v0
	v_add_co_u32 v0, vcc_lo, s10, v0
	v_add_co_ci_u32_e64 v1, null, s11, v1, vcc_lo
	s_cbranch_scc1 .LBB22_785
; %bb.779:
	s_cmp_gt_i32 s20, 25
	s_cbranch_scc0 .LBB22_786
; %bb.780:
	s_cmp_gt_i32 s20, 28
	s_cbranch_scc0 .LBB22_787
	;; [unrolled: 3-line block ×4, first 2 shown]
; %bb.783:
	s_cmp_eq_u32 s20, 46
	s_cbranch_scc0 .LBB22_794
; %bb.784:
	global_load_dword v3, v[0:1], off
	s_mov_b32 s21, 0
	s_mov_b32 s23, -1
	s_waitcnt vmcnt(0)
	v_lshlrev_b32_e32 v3, 16, v3
	v_cvt_f16_f32_e32 v4, v3
	s_branch .LBB22_796
.LBB22_785:
	s_mov_b32 s20, -1
	s_mov_b32 s21, s0
                                        ; implicit-def: $vgpr4
	s_branch .LBB22_859
.LBB22_786:
	s_mov_b32 s24, -1
	s_mov_b32 s21, s0
                                        ; implicit-def: $vgpr4
	s_branch .LBB22_825
.LBB22_787:
	s_mov_b32 s24, -1
	s_mov_b32 s21, s0
                                        ; implicit-def: $vgpr4
	s_branch .LBB22_806
.LBB22_788:
	s_mov_b32 s24, -1
	s_mov_b32 s21, s0
                                        ; implicit-def: $vgpr4
	s_branch .LBB22_801
.LBB22_789:
	s_andn2_saveexec_b32 s24, s24
	s_cbranch_execz .LBB22_684
.LBB22_790:
	v_add_f32_e64 v5, 0x46000000, |v4|
	s_andn2_b32 s23, s23, exec_lo
	v_and_b32_e32 v5, 0xff, v5
	v_cmp_ne_u32_e32 vcc_lo, 0, v5
	s_and_b32 s25, vcc_lo, exec_lo
	s_or_b32 s23, s23, s25
	s_or_b32 exec_lo, exec_lo, s24
	v_mov_b32_e32 v6, 0
	s_and_saveexec_b32 s24, s23
	s_cbranch_execnz .LBB22_685
	s_branch .LBB22_686
.LBB22_791:
	s_mov_b32 s24, -1
	s_mov_b32 s21, s0
	s_branch .LBB22_795
.LBB22_792:
	s_andn2_saveexec_b32 s24, s24
	s_cbranch_execz .LBB22_697
.LBB22_793:
	v_add_f32_e64 v5, 0x42800000, |v4|
	s_andn2_b32 s23, s23, exec_lo
	v_and_b32_e32 v5, 0xff, v5
	v_cmp_ne_u32_e32 vcc_lo, 0, v5
	s_and_b32 s25, vcc_lo, exec_lo
	s_or_b32 s23, s23, s25
	s_or_b32 exec_lo, exec_lo, s24
	v_mov_b32_e32 v6, 0
	s_and_saveexec_b32 s24, s23
	s_cbranch_execnz .LBB22_698
	s_branch .LBB22_699
.LBB22_794:
	s_mov_b32 s21, -1
.LBB22_795:
                                        ; implicit-def: $vgpr4
.LBB22_796:
	s_and_b32 vcc_lo, exec_lo, s24
	s_cbranch_vccz .LBB22_800
; %bb.797:
	s_cmp_eq_u32 s20, 44
	s_cbranch_scc0 .LBB22_799
; %bb.798:
	global_load_ubyte v3, v[0:1], off
	s_mov_b32 s21, 0
	s_mov_b32 s23, -1
	s_waitcnt vmcnt(0)
	v_lshlrev_b32_e32 v4, 23, v3
	v_cmp_ne_u32_e32 vcc_lo, 0xff, v3
	v_cvt_f16_f32_e32 v4, v4
	v_cndmask_b32_e32 v4, 0x7e00, v4, vcc_lo
	v_cmp_ne_u32_e32 vcc_lo, 0, v3
	v_cndmask_b32_e32 v4, 0, v4, vcc_lo
	s_branch .LBB22_800
.LBB22_799:
	s_mov_b32 s21, -1
                                        ; implicit-def: $vgpr4
.LBB22_800:
	s_mov_b32 s24, 0
.LBB22_801:
	s_and_b32 vcc_lo, exec_lo, s24
	s_cbranch_vccz .LBB22_805
; %bb.802:
	s_cmp_eq_u32 s20, 29
	s_cbranch_scc0 .LBB22_804
; %bb.803:
	global_load_dwordx2 v[3:4], v[0:1], off
	s_mov_b32 s21, 0
	s_mov_b32 s23, -1
	s_mov_b32 s24, 0
	s_waitcnt vmcnt(0)
	v_ffbh_u32_e32 v5, v4
	v_min_u32_e32 v5, 32, v5
	v_lshlrev_b64 v[3:4], v5, v[3:4]
	v_min_u32_e32 v3, 1, v3
	v_or_b32_e32 v3, v4, v3
	v_sub_nc_u32_e32 v4, 32, v5
	v_cvt_f32_u32_e32 v3, v3
	v_ldexp_f32 v3, v3, v4
	v_cvt_f16_f32_e32 v4, v3
	s_branch .LBB22_806
.LBB22_804:
	s_mov_b32 s21, -1
                                        ; implicit-def: $vgpr4
.LBB22_805:
	s_mov_b32 s24, 0
.LBB22_806:
	s_and_b32 vcc_lo, exec_lo, s24
	s_cbranch_vccz .LBB22_824
; %bb.807:
	s_cmp_lt_i32 s20, 27
	s_cbranch_scc1 .LBB22_810
; %bb.808:
	s_cmp_gt_i32 s20, 27
	s_cbranch_scc0 .LBB22_811
; %bb.809:
	global_load_dword v3, v[0:1], off
	s_mov_b32 s23, 0
	s_waitcnt vmcnt(0)
	v_cvt_f32_u32_e32 v3, v3
	v_cvt_f16_f32_e32 v4, v3
	s_branch .LBB22_812
.LBB22_810:
	s_mov_b32 s23, -1
                                        ; implicit-def: $vgpr4
	s_branch .LBB22_815
.LBB22_811:
	s_mov_b32 s23, -1
                                        ; implicit-def: $vgpr4
.LBB22_812:
	s_andn2_b32 vcc_lo, exec_lo, s23
	s_cbranch_vccnz .LBB22_814
; %bb.813:
	global_load_ushort v3, v[0:1], off
	s_waitcnt vmcnt(0)
	v_cvt_f16_u16_e32 v4, v3
.LBB22_814:
	s_mov_b32 s23, 0
.LBB22_815:
	s_andn2_b32 vcc_lo, exec_lo, s23
	s_cbranch_vccnz .LBB22_823
; %bb.816:
	global_load_ubyte v3, v[0:1], off
	s_mov_b32 s23, 0
	s_mov_b32 s24, exec_lo
	s_waitcnt vmcnt(0)
	v_cmpx_lt_i16_e32 0x7f, v3
	s_xor_b32 s24, exec_lo, s24
	s_cbranch_execz .LBB22_837
; %bb.817:
	s_mov_b32 s23, -1
	s_mov_b32 s25, exec_lo
	v_cmpx_eq_u16_e32 0x80, v3
; %bb.818:
	s_xor_b32 s23, exec_lo, -1
; %bb.819:
	s_or_b32 exec_lo, exec_lo, s25
	s_and_b32 s23, s23, exec_lo
	s_or_saveexec_b32 s24, s24
	v_mov_b32_e32 v4, 0x7e00
	s_xor_b32 exec_lo, exec_lo, s24
	s_cbranch_execnz .LBB22_838
.LBB22_820:
	s_or_b32 exec_lo, exec_lo, s24
	s_and_saveexec_b32 s24, s23
	s_cbranch_execz .LBB22_822
.LBB22_821:
	v_and_b32_e32 v4, 0xffff, v3
	v_lshlrev_b32_e32 v3, 24, v3
	v_and_b32_e32 v5, 7, v4
	v_bfe_u32 v8, v4, 3, 4
	v_and_b32_e32 v3, 0x80000000, v3
	v_ffbh_u32_e32 v6, v5
	v_cmp_eq_u32_e32 vcc_lo, 0, v8
	v_min_u32_e32 v6, 32, v6
	v_subrev_nc_u32_e32 v7, 28, v6
	v_sub_nc_u32_e32 v6, 29, v6
	v_lshlrev_b32_e32 v4, v7, v4
	v_cndmask_b32_e32 v6, v8, v6, vcc_lo
	v_and_b32_e32 v4, 7, v4
	v_cndmask_b32_e32 v4, v5, v4, vcc_lo
	v_lshl_add_u32 v5, v6, 23, 0x3b800000
	v_lshlrev_b32_e32 v4, 20, v4
	v_or3_b32 v3, v3, v5, v4
	v_cvt_f16_f32_e32 v4, v3
.LBB22_822:
	s_or_b32 exec_lo, exec_lo, s24
.LBB22_823:
	s_mov_b32 s23, -1
.LBB22_824:
	s_mov_b32 s24, 0
.LBB22_825:
	s_and_b32 vcc_lo, exec_lo, s24
	s_cbranch_vccz .LBB22_858
; %bb.826:
	s_cmp_gt_i32 s20, 22
	s_cbranch_scc0 .LBB22_836
; %bb.827:
	s_cmp_lt_i32 s20, 24
	s_cbranch_scc1 .LBB22_839
; %bb.828:
	s_cmp_gt_i32 s20, 24
	s_cbranch_scc0 .LBB22_840
; %bb.829:
	global_load_ubyte v3, v[0:1], off
	s_mov_b32 s23, exec_lo
	s_waitcnt vmcnt(0)
	v_cmpx_lt_i16_e32 0x7f, v3
	s_xor_b32 s23, exec_lo, s23
	s_cbranch_execz .LBB22_852
; %bb.830:
	s_mov_b32 s22, -1
	s_mov_b32 s24, exec_lo
	v_cmpx_eq_u16_e32 0x80, v3
; %bb.831:
	s_xor_b32 s22, exec_lo, -1
; %bb.832:
	s_or_b32 exec_lo, exec_lo, s24
	s_and_b32 s22, s22, exec_lo
	s_or_saveexec_b32 s23, s23
	v_mov_b32_e32 v4, 0x7e00
	s_xor_b32 exec_lo, exec_lo, s23
	s_cbranch_execnz .LBB22_853
.LBB22_833:
	s_or_b32 exec_lo, exec_lo, s23
	s_and_saveexec_b32 s23, s22
	s_cbranch_execz .LBB22_835
.LBB22_834:
	v_and_b32_e32 v4, 0xffff, v3
	v_lshlrev_b32_e32 v3, 24, v3
	v_and_b32_e32 v5, 3, v4
	v_bfe_u32 v8, v4, 2, 5
	v_and_b32_e32 v3, 0x80000000, v3
	v_ffbh_u32_e32 v6, v5
	v_cmp_eq_u32_e32 vcc_lo, 0, v8
	v_min_u32_e32 v6, 32, v6
	v_subrev_nc_u32_e32 v7, 29, v6
	v_sub_nc_u32_e32 v6, 30, v6
	v_lshlrev_b32_e32 v4, v7, v4
	v_cndmask_b32_e32 v6, v8, v6, vcc_lo
	v_and_b32_e32 v4, 3, v4
	v_cndmask_b32_e32 v4, v5, v4, vcc_lo
	v_lshl_add_u32 v5, v6, 23, 0x37800000
	v_lshlrev_b32_e32 v4, 21, v4
	v_or3_b32 v3, v3, v5, v4
	v_cvt_f16_f32_e32 v4, v3
.LBB22_835:
	s_or_b32 exec_lo, exec_lo, s23
	s_mov_b32 s22, 0
	s_branch .LBB22_841
.LBB22_836:
	s_mov_b32 s22, -1
                                        ; implicit-def: $vgpr4
	s_branch .LBB22_847
.LBB22_837:
	s_or_saveexec_b32 s24, s24
	v_mov_b32_e32 v4, 0x7e00
	s_xor_b32 exec_lo, exec_lo, s24
	s_cbranch_execz .LBB22_820
.LBB22_838:
	v_cmp_ne_u16_e32 vcc_lo, 0, v3
	v_mov_b32_e32 v4, v3
	s_andn2_b32 s23, s23, exec_lo
	s_and_b32 s25, vcc_lo, exec_lo
	s_or_b32 s23, s23, s25
	s_or_b32 exec_lo, exec_lo, s24
	s_and_saveexec_b32 s24, s23
	s_cbranch_execnz .LBB22_821
	s_branch .LBB22_822
.LBB22_839:
	s_mov_b32 s22, -1
                                        ; implicit-def: $vgpr4
	s_branch .LBB22_844
.LBB22_840:
	s_mov_b32 s22, -1
                                        ; implicit-def: $vgpr4
.LBB22_841:
	s_and_b32 vcc_lo, exec_lo, s22
	s_cbranch_vccz .LBB22_843
; %bb.842:
	global_load_ubyte v3, v[0:1], off
	s_waitcnt vmcnt(0)
	v_lshlrev_b32_e32 v3, 24, v3
	v_and_b32_e32 v4, 0x7f000000, v3
	v_ffbh_u32_e32 v5, v4
	v_add_nc_u32_e32 v7, 0x1000000, v4
	v_cmp_ne_u32_e32 vcc_lo, 0, v4
	v_min_u32_e32 v5, 32, v5
	v_sub_nc_u32_e64 v5, v5, 4 clamp
	v_lshlrev_b32_e32 v6, v5, v4
	v_lshlrev_b32_e32 v5, 23, v5
	v_lshrrev_b32_e32 v6, 4, v6
	v_sub_nc_u32_e32 v5, v6, v5
	v_ashrrev_i32_e32 v6, 8, v7
	v_add_nc_u32_e32 v5, 0x3c000000, v5
	v_and_or_b32 v5, 0x7f800000, v6, v5
	v_cndmask_b32_e32 v4, 0, v5, vcc_lo
	v_and_or_b32 v3, 0x80000000, v3, v4
	v_cvt_f16_f32_e32 v4, v3
.LBB22_843:
	s_mov_b32 s22, 0
.LBB22_844:
	s_andn2_b32 vcc_lo, exec_lo, s22
	s_cbranch_vccnz .LBB22_846
; %bb.845:
	global_load_ubyte v3, v[0:1], off
	s_waitcnt vmcnt(0)
	v_lshlrev_b32_e32 v4, 25, v3
	v_lshlrev_b16 v3, 8, v3
	v_lshrrev_b32_e32 v5, 4, v4
	v_and_or_b32 v6, 0x7f00, v3, 0.5
	v_cmp_gt_u32_e32 vcc_lo, 0x8000000, v4
	v_bfe_i32 v3, v3, 0, 16
	v_or_b32_e32 v5, 0x70000000, v5
	v_add_f32_e32 v6, -0.5, v6
	v_mul_f32_e32 v5, 0x7800000, v5
	v_cndmask_b32_e32 v4, v5, v6, vcc_lo
	v_and_or_b32 v3, 0x80000000, v3, v4
	v_cvt_f16_f32_e32 v4, v3
.LBB22_846:
	s_mov_b32 s22, 0
	s_mov_b32 s23, -1
.LBB22_847:
	s_andn2_b32 vcc_lo, exec_lo, s22
	s_mov_b32 s22, 0
	s_cbranch_vccnz .LBB22_858
; %bb.848:
	s_cmp_gt_i32 s20, 14
	s_cbranch_scc0 .LBB22_851
; %bb.849:
	s_cmp_eq_u32 s20, 15
	s_cbranch_scc0 .LBB22_854
; %bb.850:
	global_load_ushort v3, v[0:1], off
	s_mov_b32 s21, 0
	s_mov_b32 s23, -1
	s_waitcnt vmcnt(0)
	v_lshlrev_b32_e32 v3, 16, v3
	v_cvt_f16_f32_e32 v4, v3
	s_branch .LBB22_856
.LBB22_851:
	s_mov_b32 s22, -1
	s_branch .LBB22_855
.LBB22_852:
	s_or_saveexec_b32 s23, s23
	v_mov_b32_e32 v4, 0x7e00
	s_xor_b32 exec_lo, exec_lo, s23
	s_cbranch_execz .LBB22_833
.LBB22_853:
	v_cmp_ne_u16_e32 vcc_lo, 0, v3
	v_mov_b32_e32 v4, v3
	s_andn2_b32 s22, s22, exec_lo
	s_and_b32 s24, vcc_lo, exec_lo
	s_or_b32 s22, s22, s24
	s_or_b32 exec_lo, exec_lo, s23
	s_and_saveexec_b32 s23, s22
	s_cbranch_execnz .LBB22_834
	s_branch .LBB22_835
.LBB22_854:
	s_mov_b32 s21, -1
.LBB22_855:
                                        ; implicit-def: $vgpr4
.LBB22_856:
	s_and_b32 vcc_lo, exec_lo, s22
	s_mov_b32 s22, 0
	s_cbranch_vccz .LBB22_858
; %bb.857:
	s_cmp_lg_u32 s20, 11
	s_mov_b32 s22, -1
	s_cselect_b32 s20, -1, 0
	s_andn2_b32 s21, s21, exec_lo
	s_and_b32 s20, s20, exec_lo
	s_or_b32 s21, s21, s20
.LBB22_858:
	s_mov_b32 s20, 0
.LBB22_859:
	s_andn2_b32 s25, s0, exec_lo
	s_and_b32 s21, s21, exec_lo
	s_and_b32 s23, s23, exec_lo
	;; [unrolled: 1-line block ×4, first 2 shown]
	s_or_b32 s21, s25, s21
.LBB22_860:
	s_or_b32 exec_lo, exec_lo, s12
	s_andn2_b32 s0, s0, exec_lo
	s_and_b32 s12, s21, exec_lo
	s_and_b32 s23, s23, exec_lo
	;; [unrolled: 1-line block ×4, first 2 shown]
	s_or_b32 s0, s0, s12
.LBB22_861:
	s_or_b32 exec_lo, exec_lo, s18
	s_andn2_b32 s12, s16, exec_lo
	s_and_b32 s16, s19, exec_lo
	s_and_b32 s0, s0, exec_lo
	s_or_b32 s16, s12, s16
	s_andn2_b32 s12, s15, exec_lo
	s_and_b32 s20, s23, exec_lo
	s_and_b32 s19, s22, exec_lo
	;; [unrolled: 1-line block ×3, first 2 shown]
	s_or_b32 s15, s12, s0
.LBB22_862:
	s_or_b32 exec_lo, exec_lo, s17
	s_andn2_b32 s0, s7, exec_lo
	s_and_b32 s7, s16, exec_lo
	s_andn2_b32 s12, s13, exec_lo
	s_and_b32 s13, s15, exec_lo
	s_or_b32 s7, s0, s7
	s_and_b32 s0, s20, exec_lo
	s_and_b32 s16, s19, exec_lo
	;; [unrolled: 1-line block ×3, first 2 shown]
	s_or_b32 s13, s12, s13
	s_or_b32 exec_lo, exec_lo, s14
	s_mov_b32 s12, 0
	s_and_saveexec_b32 s14, s13
	s_cbranch_execz .LBB22_262
.LBB22_863:
	s_mov_b32 s12, exec_lo
	s_andn2_b32 s15, s15, exec_lo
	s_trap 2
	s_or_b32 exec_lo, exec_lo, s14
	s_and_saveexec_b32 s13, s15
	s_xor_b32 s13, exec_lo, s13
	s_cbranch_execnz .LBB22_263
.LBB22_864:
	s_or_b32 exec_lo, exec_lo, s13
	s_and_saveexec_b32 s13, s16
	s_cbranch_execz .LBB22_910
.LBB22_865:
	s_sext_i32_i16 s14, s5
	s_cmp_lt_i32 s14, 5
	s_cbranch_scc1 .LBB22_870
; %bb.866:
	s_cmp_lt_i32 s14, 8
	s_cbranch_scc1 .LBB22_871
; %bb.867:
	;; [unrolled: 3-line block ×3, first 2 shown]
	s_cmp_gt_i32 s14, 9
	s_cbranch_scc0 .LBB22_873
; %bb.869:
	global_load_dwordx2 v[3:4], v[0:1], off
	s_mov_b32 s14, 0
	s_waitcnt vmcnt(0)
	v_and_or_b32 v3, 0x1ff, v4, v3
	v_lshrrev_b32_e32 v5, 8, v4
	v_bfe_u32 v6, v4, 20, 11
	v_lshrrev_b32_e32 v4, 16, v4
	v_cmp_ne_u32_e32 vcc_lo, 0, v3
	v_sub_nc_u32_e32 v7, 0x3f1, v6
	v_add_nc_u32_e32 v6, 0xfffffc10, v6
	v_cndmask_b32_e64 v3, 0, 1, vcc_lo
	v_and_or_b32 v3, 0xffe, v5, v3
	v_med3_i32 v5, v7, 0, 13
	v_or_b32_e32 v7, 0x1000, v3
	v_lshrrev_b32_e32 v8, v5, v7
	v_lshlrev_b32_e32 v5, v5, v8
	v_cmp_ne_u32_e32 vcc_lo, v5, v7
	v_lshl_or_b32 v7, v6, 12, v3
	v_cndmask_b32_e64 v5, 0, 1, vcc_lo
	v_cmp_gt_i32_e32 vcc_lo, 1, v6
	v_or_b32_e32 v5, v8, v5
	v_cndmask_b32_e32 v5, v7, v5, vcc_lo
	v_and_b32_e32 v7, 7, v5
	v_lshrrev_b32_e32 v5, 2, v5
	v_cmp_lt_i32_e32 vcc_lo, 5, v7
	v_cndmask_b32_e64 v8, 0, 1, vcc_lo
	v_cmp_eq_u32_e32 vcc_lo, 3, v7
	v_cndmask_b32_e64 v7, 0, 1, vcc_lo
	v_cmp_ne_u32_e32 vcc_lo, 0, v3
	v_or_b32_e32 v7, v7, v8
	v_mov_b32_e32 v8, 0x7e00
	v_add_nc_u32_e32 v5, v5, v7
	v_cndmask_b32_e32 v3, 0x7c00, v8, vcc_lo
	v_cmp_gt_i32_e32 vcc_lo, 31, v6
	v_cndmask_b32_e32 v5, 0x7c00, v5, vcc_lo
	v_cmp_eq_u32_e32 vcc_lo, 0x40f, v6
	v_cndmask_b32_e32 v3, v5, v3, vcc_lo
	v_and_or_b32 v4, 0x8000, v4, v3
	s_branch .LBB22_874
.LBB22_870:
                                        ; implicit-def: $vgpr4
	s_branch .LBB22_891
.LBB22_871:
                                        ; implicit-def: $vgpr4
	s_branch .LBB22_880
.LBB22_872:
	s_mov_b32 s14, -1
                                        ; implicit-def: $vgpr4
	s_branch .LBB22_877
.LBB22_873:
	s_mov_b32 s14, -1
                                        ; implicit-def: $vgpr4
.LBB22_874:
	s_andn2_b32 vcc_lo, exec_lo, s14
	s_cbranch_vccnz .LBB22_876
; %bb.875:
	global_load_dword v3, v[0:1], off
	s_waitcnt vmcnt(0)
	v_cvt_f16_f32_e32 v4, v3
.LBB22_876:
	s_mov_b32 s14, 0
.LBB22_877:
	s_andn2_b32 vcc_lo, exec_lo, s14
	s_cbranch_vccnz .LBB22_879
; %bb.878:
	global_load_dword v4, v[0:1], off
.LBB22_879:
	s_cbranch_execnz .LBB22_890
.LBB22_880:
	s_sext_i32_i16 s14, s5
	s_cmp_lt_i32 s14, 6
	s_cbranch_scc1 .LBB22_883
; %bb.881:
	s_cmp_gt_i32 s14, 6
	s_cbranch_scc0 .LBB22_884
; %bb.882:
	global_load_dwordx2 v[3:4], v[0:1], off
	s_mov_b32 s14, 0
	s_waitcnt vmcnt(0)
	v_and_or_b32 v3, 0x1ff, v4, v3
	v_lshrrev_b32_e32 v5, 8, v4
	v_bfe_u32 v6, v4, 20, 11
	v_lshrrev_b32_e32 v4, 16, v4
	v_cmp_ne_u32_e32 vcc_lo, 0, v3
	v_sub_nc_u32_e32 v7, 0x3f1, v6
	v_add_nc_u32_e32 v6, 0xfffffc10, v6
	v_cndmask_b32_e64 v3, 0, 1, vcc_lo
	v_and_or_b32 v3, 0xffe, v5, v3
	v_med3_i32 v5, v7, 0, 13
	v_or_b32_e32 v7, 0x1000, v3
	v_lshrrev_b32_e32 v8, v5, v7
	v_lshlrev_b32_e32 v5, v5, v8
	v_cmp_ne_u32_e32 vcc_lo, v5, v7
	v_lshl_or_b32 v7, v6, 12, v3
	v_cndmask_b32_e64 v5, 0, 1, vcc_lo
	v_cmp_gt_i32_e32 vcc_lo, 1, v6
	v_or_b32_e32 v5, v8, v5
	v_cndmask_b32_e32 v5, v7, v5, vcc_lo
	v_and_b32_e32 v7, 7, v5
	v_lshrrev_b32_e32 v5, 2, v5
	v_cmp_lt_i32_e32 vcc_lo, 5, v7
	v_cndmask_b32_e64 v8, 0, 1, vcc_lo
	v_cmp_eq_u32_e32 vcc_lo, 3, v7
	v_cndmask_b32_e64 v7, 0, 1, vcc_lo
	v_cmp_ne_u32_e32 vcc_lo, 0, v3
	v_or_b32_e32 v7, v7, v8
	v_mov_b32_e32 v8, 0x7e00
	v_add_nc_u32_e32 v5, v5, v7
	v_cndmask_b32_e32 v3, 0x7c00, v8, vcc_lo
	v_cmp_gt_i32_e32 vcc_lo, 31, v6
	v_cndmask_b32_e32 v5, 0x7c00, v5, vcc_lo
	v_cmp_eq_u32_e32 vcc_lo, 0x40f, v6
	v_cndmask_b32_e32 v3, v5, v3, vcc_lo
	v_and_or_b32 v4, 0x8000, v4, v3
	s_branch .LBB22_885
.LBB22_883:
	s_mov_b32 s14, -1
                                        ; implicit-def: $vgpr4
	s_branch .LBB22_888
.LBB22_884:
	s_mov_b32 s14, -1
                                        ; implicit-def: $vgpr4
.LBB22_885:
	s_andn2_b32 vcc_lo, exec_lo, s14
	s_cbranch_vccnz .LBB22_887
; %bb.886:
	global_load_dword v3, v[0:1], off
	s_waitcnt vmcnt(0)
	v_cvt_f16_f32_e32 v4, v3
.LBB22_887:
	s_mov_b32 s14, 0
.LBB22_888:
	s_andn2_b32 vcc_lo, exec_lo, s14
	s_cbranch_vccnz .LBB22_890
; %bb.889:
	global_load_ushort v4, v[0:1], off
.LBB22_890:
	s_cbranch_execnz .LBB22_909
.LBB22_891:
	s_sext_i32_i16 s14, s5
	s_cmp_lt_i32 s14, 2
	s_cbranch_scc1 .LBB22_895
; %bb.892:
	s_cmp_lt_i32 s14, 3
	s_cbranch_scc1 .LBB22_896
; %bb.893:
	s_cmp_gt_i32 s14, 3
	s_cbranch_scc0 .LBB22_897
; %bb.894:
	global_load_dwordx2 v[3:4], v[0:1], off
	s_mov_b32 s14, 0
	s_waitcnt vmcnt(0)
	v_xor_b32_e32 v5, v3, v4
	v_ffbh_i32_e32 v6, v4
	v_ashrrev_i32_e32 v5, 31, v5
	v_add_nc_u32_e32 v6, -1, v6
	v_add_nc_u32_e32 v5, 32, v5
	v_min_u32_e32 v5, v6, v5
	v_lshlrev_b64 v[3:4], v5, v[3:4]
	v_min_u32_e32 v3, 1, v3
	v_or_b32_e32 v3, v4, v3
	v_sub_nc_u32_e32 v4, 32, v5
	v_cvt_f32_i32_e32 v3, v3
	v_ldexp_f32 v3, v3, v4
	v_cvt_f16_f32_e32 v4, v3
	s_branch .LBB22_898
.LBB22_895:
                                        ; implicit-def: $vgpr4
	s_branch .LBB22_904
.LBB22_896:
	s_mov_b32 s14, -1
                                        ; implicit-def: $vgpr4
	s_branch .LBB22_901
.LBB22_897:
	s_mov_b32 s14, -1
                                        ; implicit-def: $vgpr4
.LBB22_898:
	s_andn2_b32 vcc_lo, exec_lo, s14
	s_cbranch_vccnz .LBB22_900
; %bb.899:
	global_load_dword v3, v[0:1], off
	s_waitcnt vmcnt(0)
	v_cvt_f32_i32_e32 v3, v3
	v_cvt_f16_f32_e32 v4, v3
.LBB22_900:
	s_mov_b32 s14, 0
.LBB22_901:
	s_andn2_b32 vcc_lo, exec_lo, s14
	s_cbranch_vccnz .LBB22_903
; %bb.902:
	global_load_ushort v3, v[0:1], off
	s_waitcnt vmcnt(0)
	v_cvt_f16_i16_e32 v4, v3
.LBB22_903:
	s_cbranch_execnz .LBB22_909
.LBB22_904:
	s_sext_i32_i16 s14, s5
	s_cmp_gt_i32 s14, 0
	s_mov_b32 s14, 0
	s_cbranch_scc0 .LBB22_906
; %bb.905:
	global_load_sbyte v3, v[0:1], off
	s_waitcnt vmcnt(0)
	v_cvt_f16_i16_e32 v4, v3
	s_branch .LBB22_907
.LBB22_906:
	s_mov_b32 s14, -1
                                        ; implicit-def: $vgpr4
.LBB22_907:
	s_andn2_b32 vcc_lo, exec_lo, s14
	s_cbranch_vccnz .LBB22_909
; %bb.908:
	global_load_ubyte v0, v[0:1], off
	s_waitcnt vmcnt(0)
	v_cvt_f16_u16_e32 v4, v0
.LBB22_909:
	s_or_b32 s0, s0, exec_lo
.LBB22_910:
	s_or_b32 exec_lo, exec_lo, s13
	s_mov_b32 s16, 0
	s_mov_b32 s15, 0
                                        ; implicit-def: $sgpr13
                                        ; implicit-def: $vgpr0_vgpr1
                                        ; implicit-def: $vgpr3
	s_and_saveexec_b32 s14, s0
	s_cbranch_execz .LBB22_918
; %bb.911:
	s_waitcnt vmcnt(0)
	v_cvt_f32_f16_e32 v0, v4
	s_mov_b32 s0, 0x3b2d2a58
	v_mul_lo_u32 v2, v2, s2
	s_and_b32 s13, s1, 0xff
	s_cmp_lt_i32 s13, 11
	v_rcp_f32_e64 v1, |v0|
	v_cmp_gt_f32_e64 vcc_lo, |v0|, 1.0
	v_cndmask_b32_e64 v0, |v0|, v1, vcc_lo
	v_mul_f32_e32 v1, v0, v0
	v_fmaak_f32 v3, s0, v1, 0xbc7a590c
	v_fmaak_f32 v3, v1, v3, 0x3d29fb3f
	;; [unrolled: 1-line block ×7, first 2 shown]
	v_mul_f32_e32 v1, v1, v3
	v_fmac_f32_e32 v0, v0, v1
	v_sub_f32_e32 v1, 0x3fc90fdb, v0
	v_cndmask_b32_e32 v0, v0, v1, vcc_lo
	v_ashrrev_i32_e32 v1, 31, v2
	v_cvt_f16_f32_e32 v3, v0
	v_add_co_u32 v0, vcc_lo, s8, v2
	v_add_co_ci_u32_e64 v1, null, s9, v1, vcc_lo
	v_bfi_b32 v3, 0x7fff, v3, v4
	s_cbranch_scc1 .LBB22_921
; %bb.912:
	s_and_b32 s15, 0xffff, s13
	s_mov_b32 s16, -1
	s_cmp_gt_i32 s15, 25
	s_mov_b32 s0, s7
	s_cbranch_scc0 .LBB22_949
; %bb.913:
	s_cmp_gt_i32 s15, 28
	s_mov_b32 s0, s7
	s_cbranch_scc0 .LBB22_933
; %bb.914:
	;; [unrolled: 4-line block ×4, first 2 shown]
	s_cmp_eq_u32 s15, 46
	s_mov_b32 s0, -1
	s_cbranch_scc0 .LBB22_922
; %bb.917:
	v_cvt_f32_f16_e32 v2, v3
	v_cmp_o_f16_e32 vcc_lo, v3, v3
	s_mov_b32 s0, 0
	s_mov_b32 s16, 0
	v_bfe_u32 v4, v2, 16, 1
	v_add3_u32 v2, v2, v4, 0x7fff
	v_mov_b32_e32 v4, 0x7fc0
	v_cndmask_b32_sdwa v2, v4, v2, vcc_lo dst_sel:DWORD dst_unused:UNUSED_PAD src0_sel:DWORD src1_sel:WORD_1
	global_store_dword v[0:1], v2, off
	s_branch .LBB22_923
.LBB22_918:
	s_or_b32 exec_lo, exec_lo, s14
	s_and_saveexec_b32 s0, s7
	s_cbranch_execnz .LBB22_991
.LBB22_919:
	s_or_b32 exec_lo, exec_lo, s0
	s_and_saveexec_b32 s0, s16
	s_xor_b32 s0, exec_lo, s0
	s_cbranch_execz .LBB22_992
.LBB22_920:
	s_waitcnt vmcnt(0)
	v_cmp_neq_f16_e32 vcc_lo, 0, v3
	v_cndmask_b32_e64 v2, 0, 1, vcc_lo
	global_store_byte v[0:1], v2, off
	s_or_b32 exec_lo, exec_lo, s0
	s_and_saveexec_b32 s0, s15
	s_xor_b32 s0, exec_lo, s0
	s_cbranch_execz .LBB22_1030
	s_branch .LBB22_993
.LBB22_921:
	s_mov_b32 s17, 0
	s_mov_b32 s16, -1
	s_mov_b32 s0, s7
	s_branch .LBB22_990
.LBB22_922:
	s_mov_b32 s16, 0
.LBB22_923:
	s_and_b32 vcc_lo, exec_lo, s16
	s_cbranch_vccz .LBB22_928
; %bb.924:
	s_cmp_eq_u32 s15, 44
	s_mov_b32 s0, -1
	s_cbranch_scc0 .LBB22_928
; %bb.925:
	v_cvt_f32_f16_e32 v2, v3
	v_mov_b32_e32 v4, 0xff
	s_mov_b32 s16, exec_lo
	v_bfe_u32 v5, v2, 23, 8
	v_cmpx_ne_u32_e32 0xff, v5
	s_cbranch_execz .LBB22_927
; %bb.926:
	v_and_b32_e32 v4, 0x400000, v2
	v_and_or_b32 v5, 0x3fffff, v2, v5
	v_lshrrev_b32_e32 v2, 23, v2
	v_cmp_ne_u32_e32 vcc_lo, 0, v4
	v_cmp_ne_u32_e64 s0, 0, v5
	s_and_b32 s0, vcc_lo, s0
	v_cndmask_b32_e64 v4, 0, 1, s0
	v_add_nc_u32_e32 v4, v2, v4
.LBB22_927:
	s_or_b32 exec_lo, exec_lo, s16
	s_mov_b32 s0, 0
	global_store_byte v[0:1], v4, off
.LBB22_928:
	s_mov_b32 s16, 0
.LBB22_929:
	s_and_b32 vcc_lo, exec_lo, s16
	s_cbranch_vccz .LBB22_932
; %bb.930:
	s_cmp_eq_u32 s15, 29
	s_mov_b32 s0, -1
	s_cbranch_scc0 .LBB22_932
; %bb.931:
	v_cvt_f32_f16_e32 v2, v3
	v_mov_b32_e32 v5, 0
	s_mov_b32 s0, 0
	s_mov_b32 s16, 0
	v_cvt_u32_f32_e32 v4, v2
	global_store_dwordx2 v[0:1], v[4:5], off
	s_branch .LBB22_933
.LBB22_932:
	s_mov_b32 s16, 0
.LBB22_933:
	s_and_b32 vcc_lo, exec_lo, s16
	s_cbranch_vccz .LBB22_948
; %bb.934:
	s_cmp_lt_i32 s15, 27
	s_mov_b32 s16, -1
	s_cbranch_scc1 .LBB22_940
; %bb.935:
	s_cmp_gt_i32 s15, 27
	s_cbranch_scc0 .LBB22_937
; %bb.936:
	v_cvt_f32_f16_e32 v2, v3
	s_mov_b32 s16, 0
	v_cvt_u32_f32_e32 v2, v2
	global_store_dword v[0:1], v2, off
.LBB22_937:
	s_andn2_b32 vcc_lo, exec_lo, s16
	s_cbranch_vccnz .LBB22_939
; %bb.938:
	v_cvt_u16_f16_e32 v2, v3
	global_store_short v[0:1], v2, off
.LBB22_939:
	s_mov_b32 s16, 0
.LBB22_940:
	s_andn2_b32 vcc_lo, exec_lo, s16
	s_cbranch_vccnz .LBB22_948
; %bb.941:
	v_cvt_f32_f16_e32 v2, v3
	v_mov_b32_e32 v5, 0x80
	s_mov_b32 s16, exec_lo
	v_and_b32_e32 v4, 0x7fffffff, v2
	v_cmpx_gt_u32_e32 0x43800000, v4
	s_cbranch_execz .LBB22_947
; %bb.942:
	v_cmp_lt_u32_e32 vcc_lo, 0x3bffffff, v4
	s_mov_b32 s17, 0
                                        ; implicit-def: $vgpr4
	s_and_saveexec_b32 s18, vcc_lo
	s_xor_b32 s18, exec_lo, s18
	s_cbranch_execz .LBB22_1045
; %bb.943:
	v_bfe_u32 v4, v2, 20, 1
	s_mov_b32 s17, exec_lo
	v_add3_u32 v4, v2, v4, 0x487ffff
	v_lshrrev_b32_e32 v4, 20, v4
	s_andn2_saveexec_b32 s18, s18
	s_cbranch_execnz .LBB22_1046
.LBB22_944:
	s_or_b32 exec_lo, exec_lo, s18
	v_mov_b32_e32 v5, 0
	s_and_saveexec_b32 s18, s17
.LBB22_945:
	v_lshrrev_b32_e32 v2, 24, v2
	v_and_or_b32 v5, 0x80, v2, v4
.LBB22_946:
	s_or_b32 exec_lo, exec_lo, s18
.LBB22_947:
	s_or_b32 exec_lo, exec_lo, s16
	global_store_byte v[0:1], v5, off
.LBB22_948:
	s_mov_b32 s16, 0
.LBB22_949:
	s_and_b32 vcc_lo, exec_lo, s16
	s_mov_b32 s16, 0
	s_cbranch_vccz .LBB22_989
; %bb.950:
	s_cmp_gt_i32 s15, 22
	s_mov_b32 s17, -1
	s_cbranch_scc0 .LBB22_982
; %bb.951:
	s_cmp_lt_i32 s15, 24
	s_cbranch_scc1 .LBB22_971
; %bb.952:
	s_cmp_gt_i32 s15, 24
	s_cbranch_scc0 .LBB22_960
; %bb.953:
	v_cvt_f32_f16_e32 v2, v3
	v_mov_b32_e32 v5, 0x80
	s_mov_b32 s17, exec_lo
	v_and_b32_e32 v4, 0x7fffffff, v2
	v_cmpx_gt_u32_e32 0x47800000, v4
	s_cbranch_execz .LBB22_959
; %bb.954:
	v_cmp_lt_u32_e32 vcc_lo, 0x37ffffff, v4
	s_mov_b32 s18, 0
                                        ; implicit-def: $vgpr4
	s_and_saveexec_b32 s19, vcc_lo
	s_xor_b32 s19, exec_lo, s19
	s_cbranch_execz .LBB22_1171
; %bb.955:
	v_bfe_u32 v4, v2, 21, 1
	s_mov_b32 s18, exec_lo
	v_add3_u32 v4, v2, v4, 0x88fffff
	v_lshrrev_b32_e32 v4, 21, v4
	s_andn2_saveexec_b32 s19, s19
	s_cbranch_execnz .LBB22_1172
.LBB22_956:
	s_or_b32 exec_lo, exec_lo, s19
	v_mov_b32_e32 v5, 0
	s_and_saveexec_b32 s19, s18
.LBB22_957:
	v_lshrrev_b32_e32 v2, 24, v2
	v_and_or_b32 v5, 0x80, v2, v4
.LBB22_958:
	s_or_b32 exec_lo, exec_lo, s19
.LBB22_959:
	s_or_b32 exec_lo, exec_lo, s17
	s_mov_b32 s17, 0
	global_store_byte v[0:1], v5, off
.LBB22_960:
	s_and_b32 vcc_lo, exec_lo, s17
	s_cbranch_vccz .LBB22_970
; %bb.961:
	v_cvt_f32_f16_e32 v2, v3
	s_mov_b32 s17, exec_lo
                                        ; implicit-def: $vgpr4
	v_and_b32_e32 v5, 0x7fffffff, v2
	v_cmpx_gt_u32_e32 0x43f00000, v5
	s_xor_b32 s17, exec_lo, s17
	s_cbranch_execz .LBB22_967
; %bb.962:
	s_mov_b32 s18, exec_lo
                                        ; implicit-def: $vgpr4
	v_cmpx_lt_u32_e32 0x3c7fffff, v5
	s_xor_b32 s18, exec_lo, s18
; %bb.963:
	v_bfe_u32 v4, v2, 20, 1
	v_add3_u32 v4, v2, v4, 0x407ffff
	v_and_b32_e32 v5, 0xff00000, v4
	v_lshrrev_b32_e32 v4, 20, v4
	v_cmp_ne_u32_e32 vcc_lo, 0x7f00000, v5
	v_cndmask_b32_e32 v4, 0x7e, v4, vcc_lo
; %bb.964:
	s_andn2_saveexec_b32 s18, s18
; %bb.965:
	v_add_f32_e64 v4, 0x46800000, |v2|
; %bb.966:
	s_or_b32 exec_lo, exec_lo, s18
                                        ; implicit-def: $vgpr5
.LBB22_967:
	s_andn2_saveexec_b32 s17, s17
; %bb.968:
	v_mov_b32_e32 v4, 0x7f
	v_cmp_lt_u32_e32 vcc_lo, 0x7f800000, v5
	v_cndmask_b32_e32 v4, 0x7e, v4, vcc_lo
; %bb.969:
	s_or_b32 exec_lo, exec_lo, s17
	v_lshrrev_b32_e32 v2, 24, v2
	v_and_or_b32 v2, 0x80, v2, v4
	global_store_byte v[0:1], v2, off
.LBB22_970:
	s_mov_b32 s17, 0
.LBB22_971:
	s_andn2_b32 vcc_lo, exec_lo, s17
	s_cbranch_vccnz .LBB22_981
; %bb.972:
	v_cvt_f32_f16_e32 v2, v3
	s_mov_b32 s17, exec_lo
                                        ; implicit-def: $vgpr4
	v_and_b32_e32 v5, 0x7fffffff, v2
	v_cmpx_gt_u32_e32 0x47800000, v5
	s_xor_b32 s17, exec_lo, s17
	s_cbranch_execz .LBB22_978
; %bb.973:
	s_mov_b32 s18, exec_lo
                                        ; implicit-def: $vgpr4
	v_cmpx_lt_u32_e32 0x387fffff, v5
	s_xor_b32 s18, exec_lo, s18
; %bb.974:
	v_bfe_u32 v4, v2, 21, 1
	v_add3_u32 v4, v2, v4, 0x80fffff
	v_lshrrev_b32_e32 v4, 21, v4
; %bb.975:
	s_andn2_saveexec_b32 s18, s18
; %bb.976:
	v_add_f32_e64 v4, 0x43000000, |v2|
; %bb.977:
	s_or_b32 exec_lo, exec_lo, s18
                                        ; implicit-def: $vgpr5
.LBB22_978:
	s_andn2_saveexec_b32 s17, s17
; %bb.979:
	v_mov_b32_e32 v4, 0x7f
	v_cmp_lt_u32_e32 vcc_lo, 0x7f800000, v5
	v_cndmask_b32_e32 v4, 0x7c, v4, vcc_lo
; %bb.980:
	s_or_b32 exec_lo, exec_lo, s17
	v_lshrrev_b32_e32 v2, 24, v2
	v_and_or_b32 v2, 0x80, v2, v4
	global_store_byte v[0:1], v2, off
.LBB22_981:
	s_mov_b32 s17, 0
.LBB22_982:
	s_andn2_b32 vcc_lo, exec_lo, s17
	s_mov_b32 s17, 0
	s_cbranch_vccnz .LBB22_990
; %bb.983:
	s_cmp_gt_i32 s15, 14
	s_mov_b32 s17, -1
	s_cbranch_scc0 .LBB22_987
; %bb.984:
	s_cmp_eq_u32 s15, 15
	s_mov_b32 s0, -1
	s_cbranch_scc0 .LBB22_986
; %bb.985:
	v_cvt_f32_f16_e32 v2, v3
	v_cmp_o_f16_e32 vcc_lo, v3, v3
	s_mov_b32 s0, 0
	v_bfe_u32 v4, v2, 16, 1
	v_add3_u32 v2, v2, v4, 0x7fff
	v_mov_b32_e32 v4, 0x7fc0
	v_cndmask_b32_sdwa v2, v4, v2, vcc_lo dst_sel:DWORD dst_unused:UNUSED_PAD src0_sel:DWORD src1_sel:WORD_1
	global_store_short v[0:1], v2, off
.LBB22_986:
	s_mov_b32 s17, 0
.LBB22_987:
	s_and_b32 vcc_lo, exec_lo, s17
	s_mov_b32 s17, 0
	s_cbranch_vccz .LBB22_990
; %bb.988:
	s_cmp_lg_u32 s15, 11
	s_mov_b32 s17, -1
	s_cselect_b32 s15, -1, 0
	s_andn2_b32 s0, s0, exec_lo
	s_and_b32 s15, s15, exec_lo
	s_or_b32 s0, s0, s15
	s_branch .LBB22_990
.LBB22_989:
	s_mov_b32 s17, 0
.LBB22_990:
	s_andn2_b32 s7, s7, exec_lo
	s_and_b32 s0, s0, exec_lo
	s_and_b32 s15, s16, exec_lo
	;; [unrolled: 1-line block ×3, first 2 shown]
	s_or_b32 s7, s7, s0
	s_or_b32 exec_lo, exec_lo, s14
	s_and_saveexec_b32 s0, s7
	s_cbranch_execz .LBB22_919
.LBB22_991:
	s_or_b32 s12, s12, exec_lo
	s_andn2_b32 s16, s16, exec_lo
	s_trap 2
	s_or_b32 exec_lo, exec_lo, s0
	s_and_saveexec_b32 s0, s16
	s_xor_b32 s0, exec_lo, s0
	s_cbranch_execnz .LBB22_920
.LBB22_992:
	s_or_b32 exec_lo, exec_lo, s0
	s_and_saveexec_b32 s0, s15
	s_xor_b32 s0, exec_lo, s0
	s_cbranch_execz .LBB22_1030
.LBB22_993:
	s_sext_i32_i16 s14, s13
	s_mov_b32 s7, -1
	s_cmp_lt_i32 s14, 5
	s_cbranch_scc1 .LBB22_1014
; %bb.994:
	s_cmp_lt_i32 s14, 8
	s_cbranch_scc1 .LBB22_1004
; %bb.995:
	;; [unrolled: 3-line block ×3, first 2 shown]
	s_cmp_gt_i32 s14, 9
	s_cbranch_scc0 .LBB22_998
; %bb.997:
	s_waitcnt vmcnt(0)
	v_cvt_f32_f16_e32 v2, v3
	v_mov_b32_e32 v6, 0
	s_mov_b32 s7, 0
	v_cvt_f64_f32_e32 v[4:5], v2
	v_mov_b32_e32 v7, v6
	global_store_dwordx4 v[0:1], v[4:7], off
.LBB22_998:
	s_andn2_b32 vcc_lo, exec_lo, s7
	s_cbranch_vccnz .LBB22_1000
; %bb.999:
	s_waitcnt vmcnt(0)
	v_cvt_f32_f16_e32 v4, v3
	v_mov_b32_e32 v5, 0
	global_store_dwordx2 v[0:1], v[4:5], off
.LBB22_1000:
	s_mov_b32 s7, 0
.LBB22_1001:
	s_andn2_b32 vcc_lo, exec_lo, s7
	s_cbranch_vccnz .LBB22_1003
; %bb.1002:
	s_waitcnt vmcnt(0)
	v_and_b32_e32 v2, 0xffff, v3
	global_store_dword v[0:1], v2, off
.LBB22_1003:
	s_mov_b32 s7, 0
.LBB22_1004:
	s_andn2_b32 vcc_lo, exec_lo, s7
	s_cbranch_vccnz .LBB22_1013
; %bb.1005:
	s_sext_i32_i16 s14, s13
	s_mov_b32 s7, -1
	s_cmp_lt_i32 s14, 6
	s_cbranch_scc1 .LBB22_1011
; %bb.1006:
	s_cmp_gt_i32 s14, 6
	s_cbranch_scc0 .LBB22_1008
; %bb.1007:
	s_waitcnt vmcnt(0)
	v_cvt_f32_f16_e32 v2, v3
	s_mov_b32 s7, 0
	v_cvt_f64_f32_e32 v[4:5], v2
	global_store_dwordx2 v[0:1], v[4:5], off
.LBB22_1008:
	s_andn2_b32 vcc_lo, exec_lo, s7
	s_cbranch_vccnz .LBB22_1010
; %bb.1009:
	s_waitcnt vmcnt(0)
	v_cvt_f32_f16_e32 v2, v3
	global_store_dword v[0:1], v2, off
.LBB22_1010:
	s_mov_b32 s7, 0
.LBB22_1011:
	s_andn2_b32 vcc_lo, exec_lo, s7
	s_cbranch_vccnz .LBB22_1013
; %bb.1012:
	s_waitcnt vmcnt(0)
	global_store_short v[0:1], v3, off
.LBB22_1013:
	s_mov_b32 s7, 0
.LBB22_1014:
	s_andn2_b32 vcc_lo, exec_lo, s7
	s_cbranch_vccnz .LBB22_1030
; %bb.1015:
	s_sext_i32_i16 s14, s13
	s_mov_b32 s7, -1
	s_cmp_lt_i32 s14, 2
	s_cbranch_scc1 .LBB22_1025
; %bb.1016:
	s_cmp_lt_i32 s14, 3
	s_cbranch_scc1 .LBB22_1022
; %bb.1017:
	s_cmp_gt_i32 s14, 3
	s_cbranch_scc0 .LBB22_1019
; %bb.1018:
	s_waitcnt vmcnt(0)
	v_cvt_f32_f16_e32 v2, v3
	s_mov_b32 s7, 0
	v_cvt_i32_f32_e32 v4, v2
	v_ashrrev_i32_e32 v5, 31, v4
	global_store_dwordx2 v[0:1], v[4:5], off
.LBB22_1019:
	s_andn2_b32 vcc_lo, exec_lo, s7
	s_cbranch_vccnz .LBB22_1021
; %bb.1020:
	s_waitcnt vmcnt(0)
	v_cvt_f32_f16_e32 v2, v3
	v_cvt_i32_f32_e32 v2, v2
	global_store_dword v[0:1], v2, off
.LBB22_1021:
	s_mov_b32 s7, 0
.LBB22_1022:
	s_andn2_b32 vcc_lo, exec_lo, s7
	s_cbranch_vccnz .LBB22_1024
; %bb.1023:
	s_waitcnt vmcnt(0)
	v_cvt_i16_f16_e32 v2, v3
	global_store_short v[0:1], v2, off
.LBB22_1024:
	s_mov_b32 s7, 0
.LBB22_1025:
	s_andn2_b32 vcc_lo, exec_lo, s7
	s_cbranch_vccnz .LBB22_1030
; %bb.1026:
	s_sext_i32_i16 s7, s13
	s_cmp_gt_i32 s7, 0
	s_mov_b32 s7, -1
	s_cbranch_scc0 .LBB22_1028
; %bb.1027:
	s_waitcnt vmcnt(0)
	v_cvt_i16_f16_e32 v2, v3
	s_mov_b32 s7, 0
	global_store_byte v[0:1], v2, off
.LBB22_1028:
	s_andn2_b32 vcc_lo, exec_lo, s7
	s_cbranch_vccnz .LBB22_1030
; %bb.1029:
	s_waitcnt vmcnt(0)
	v_cvt_f32_f16_e32 v2, v3
	v_cvt_i32_f32_e32 v2, v2
	global_store_byte v[0:1], v2, off
.LBB22_1030:
	s_or_b32 exec_lo, exec_lo, s0
	s_and_b32 s7, s12, exec_lo
                                        ; implicit-def: $vgpr2
.LBB22_1031:
	s_or_saveexec_b32 s6, s6
	s_mov_b32 s0, 0
                                        ; implicit-def: $sgpr12
                                        ; implicit-def: $vgpr0_vgpr1
                                        ; implicit-def: $vgpr3
	s_xor_b32 exec_lo, exec_lo, s6
	s_cbranch_execz .LBB22_1983
; %bb.1032:
	s_waitcnt vmcnt(0)
	v_mul_lo_u32 v4, s3, v2
	s_and_b32 s0, 0xffff, s5
	s_cmp_lt_i32 s0, 11
	v_ashrrev_i32_e32 v1, 31, v4
	v_add_co_u32 v0, vcc_lo, s10, v4
	v_add_co_ci_u32_e64 v1, null, s11, v1, vcc_lo
	s_cbranch_scc1 .LBB22_1039
; %bb.1033:
	s_cmp_gt_i32 s0, 25
	s_mov_b32 s5, 0
	s_cbranch_scc0 .LBB22_1041
; %bb.1034:
	s_cmp_gt_i32 s0, 28
	s_cbranch_scc0 .LBB22_1042
; %bb.1035:
	s_cmp_gt_i32 s0, 43
	;; [unrolled: 3-line block ×3, first 2 shown]
	s_cbranch_scc0 .LBB22_1044
; %bb.1037:
	s_cmp_eq_u32 s0, 46
	s_mov_b32 s13, 0
	s_cbranch_scc0 .LBB22_1047
; %bb.1038:
	global_load_dword v3, v[0:1], off
	s_mov_b32 s12, -1
	s_waitcnt vmcnt(0)
	v_lshlrev_b32_e32 v3, 16, v3
	v_cvt_f16_f32_e32 v3, v3
	s_branch .LBB22_1049
.LBB22_1039:
	s_mov_b32 s12, 0
	s_mov_b32 s4, s7
                                        ; implicit-def: $vgpr3
	s_cbranch_execnz .LBB22_1112
.LBB22_1040:
	s_andn2_b32 vcc_lo, exec_lo, s12
	s_cbranch_vccz .LBB22_1157
	s_branch .LBB22_1981
.LBB22_1041:
	s_mov_b32 s12, 0
                                        ; implicit-def: $vgpr3
	s_cbranch_execnz .LBB22_1077
	s_branch .LBB22_1108
.LBB22_1042:
	s_mov_b32 s13, -1
	s_mov_b32 s12, 0
                                        ; implicit-def: $vgpr3
	s_branch .LBB22_1058
.LBB22_1043:
	s_mov_b32 s12, 0
                                        ; implicit-def: $vgpr3
	s_cbranch_execnz .LBB22_1054
	s_branch .LBB22_1057
.LBB22_1044:
	s_mov_b32 s13, -1
	s_branch .LBB22_1048
.LBB22_1045:
	s_andn2_saveexec_b32 s18, s18
	s_cbranch_execz .LBB22_944
.LBB22_1046:
	v_add_f32_e64 v4, 0x46000000, |v2|
	s_andn2_b32 s17, s17, exec_lo
	v_and_b32_e32 v4, 0xff, v4
	v_cmp_ne_u32_e32 vcc_lo, 0, v4
	s_and_b32 s19, vcc_lo, exec_lo
	s_or_b32 s17, s17, s19
	s_or_b32 exec_lo, exec_lo, s18
	v_mov_b32_e32 v5, 0
	s_and_saveexec_b32 s18, s17
	s_cbranch_execnz .LBB22_945
	s_branch .LBB22_946
.LBB22_1047:
	s_mov_b32 s4, -1
.LBB22_1048:
	s_mov_b32 s12, 0
                                        ; implicit-def: $vgpr3
.LBB22_1049:
	s_and_b32 vcc_lo, exec_lo, s13
	s_cbranch_vccz .LBB22_1052
; %bb.1050:
	s_cmp_eq_u32 s0, 44
	s_cbranch_scc0 .LBB22_1053
; %bb.1051:
	global_load_ubyte v3, v[0:1], off
	s_mov_b32 s4, 0
	s_mov_b32 s12, -1
	s_waitcnt vmcnt(0)
	v_lshlrev_b32_e32 v5, 23, v3
	v_cmp_ne_u32_e32 vcc_lo, 0xff, v3
	v_cvt_f16_f32_e32 v5, v5
	v_cndmask_b32_e32 v5, 0x7e00, v5, vcc_lo
	v_cmp_ne_u32_e32 vcc_lo, 0, v3
	v_cndmask_b32_e32 v3, 0, v5, vcc_lo
.LBB22_1052:
	s_branch .LBB22_1057
.LBB22_1053:
	s_mov_b32 s4, -1
                                        ; implicit-def: $vgpr3
	s_branch .LBB22_1057
.LBB22_1054:
	s_cmp_eq_u32 s0, 29
	s_cbranch_scc0 .LBB22_1056
; %bb.1055:
	global_load_dwordx2 v[5:6], v[0:1], off
	s_mov_b32 s4, 0
	s_mov_b32 s12, -1
	s_mov_b32 s13, 0
	s_waitcnt vmcnt(0)
	v_ffbh_u32_e32 v3, v6
	v_min_u32_e32 v3, 32, v3
	v_lshlrev_b64 v[5:6], v3, v[5:6]
	v_sub_nc_u32_e32 v3, 32, v3
	v_min_u32_e32 v5, 1, v5
	v_or_b32_e32 v5, v6, v5
	v_cvt_f32_u32_e32 v5, v5
	v_ldexp_f32 v3, v5, v3
	v_cvt_f16_f32_e32 v3, v3
	s_branch .LBB22_1058
.LBB22_1056:
	s_mov_b32 s4, -1
                                        ; implicit-def: $vgpr3
.LBB22_1057:
	s_mov_b32 s13, 0
.LBB22_1058:
	s_and_b32 vcc_lo, exec_lo, s13
	s_cbranch_vccz .LBB22_1076
; %bb.1059:
	s_cmp_lt_i32 s0, 27
	s_cbranch_scc1 .LBB22_1062
; %bb.1060:
	s_cmp_gt_i32 s0, 27
	s_cbranch_scc0 .LBB22_1063
; %bb.1061:
	global_load_dword v3, v[0:1], off
	s_mov_b32 s12, 0
	s_waitcnt vmcnt(0)
	v_cvt_f32_u32_e32 v3, v3
	v_cvt_f16_f32_e32 v3, v3
	s_branch .LBB22_1064
.LBB22_1062:
	s_mov_b32 s12, -1
                                        ; implicit-def: $vgpr3
	s_branch .LBB22_1067
.LBB22_1063:
	s_mov_b32 s12, -1
                                        ; implicit-def: $vgpr3
.LBB22_1064:
	s_andn2_b32 vcc_lo, exec_lo, s12
	s_cbranch_vccnz .LBB22_1066
; %bb.1065:
	global_load_ushort v3, v[0:1], off
	s_waitcnt vmcnt(0)
	v_cvt_f16_u16_e32 v3, v3
.LBB22_1066:
	s_mov_b32 s12, 0
.LBB22_1067:
	s_andn2_b32 vcc_lo, exec_lo, s12
	s_cbranch_vccnz .LBB22_1075
; %bb.1068:
	global_load_ubyte v5, v[0:1], off
	s_mov_b32 s12, 0
	s_mov_b32 s13, exec_lo
	s_waitcnt vmcnt(0)
	v_cmpx_lt_i16_e32 0x7f, v5
	s_xor_b32 s13, exec_lo, s13
	s_cbranch_execz .LBB22_1088
; %bb.1069:
	s_mov_b32 s12, -1
	s_mov_b32 s14, exec_lo
	v_cmpx_eq_u16_e32 0x80, v5
; %bb.1070:
	s_xor_b32 s12, exec_lo, -1
; %bb.1071:
	s_or_b32 exec_lo, exec_lo, s14
	s_and_b32 s12, s12, exec_lo
	s_or_saveexec_b32 s13, s13
	v_mov_b32_e32 v3, 0x7e00
	s_xor_b32 exec_lo, exec_lo, s13
	s_cbranch_execnz .LBB22_1089
.LBB22_1072:
	s_or_b32 exec_lo, exec_lo, s13
	s_and_saveexec_b32 s13, s12
	s_cbranch_execz .LBB22_1074
.LBB22_1073:
	v_and_b32_e32 v3, 0xffff, v5
	v_lshlrev_b32_e32 v5, 24, v5
	v_and_b32_e32 v6, 7, v3
	v_bfe_u32 v9, v3, 3, 4
	v_and_b32_e32 v5, 0x80000000, v5
	v_ffbh_u32_e32 v7, v6
	v_cmp_eq_u32_e32 vcc_lo, 0, v9
	v_min_u32_e32 v7, 32, v7
	v_subrev_nc_u32_e32 v8, 28, v7
	v_sub_nc_u32_e32 v7, 29, v7
	v_lshlrev_b32_e32 v3, v8, v3
	v_cndmask_b32_e32 v7, v9, v7, vcc_lo
	v_and_b32_e32 v3, 7, v3
	v_cndmask_b32_e32 v3, v6, v3, vcc_lo
	v_lshl_add_u32 v6, v7, 23, 0x3b800000
	v_lshlrev_b32_e32 v3, 20, v3
	v_or3_b32 v3, v5, v6, v3
	v_cvt_f16_f32_e32 v3, v3
.LBB22_1074:
	s_or_b32 exec_lo, exec_lo, s13
.LBB22_1075:
	s_mov_b32 s12, -1
.LBB22_1076:
	s_branch .LBB22_1108
.LBB22_1077:
	s_cmp_gt_i32 s0, 22
	s_cbranch_scc0 .LBB22_1087
; %bb.1078:
	s_cmp_lt_i32 s0, 24
	s_cbranch_scc1 .LBB22_1090
; %bb.1079:
	s_cmp_gt_i32 s0, 24
	s_cbranch_scc0 .LBB22_1091
; %bb.1080:
	global_load_ubyte v5, v[0:1], off
	s_mov_b32 s12, exec_lo
	s_waitcnt vmcnt(0)
	v_cmpx_lt_i16_e32 0x7f, v5
	s_xor_b32 s12, exec_lo, s12
	s_cbranch_execz .LBB22_1102
; %bb.1081:
	s_mov_b32 s5, -1
	s_mov_b32 s13, exec_lo
	v_cmpx_eq_u16_e32 0x80, v5
; %bb.1082:
	s_xor_b32 s5, exec_lo, -1
; %bb.1083:
	s_or_b32 exec_lo, exec_lo, s13
	s_and_b32 s5, s5, exec_lo
	s_or_saveexec_b32 s12, s12
	v_mov_b32_e32 v3, 0x7e00
	s_xor_b32 exec_lo, exec_lo, s12
	s_cbranch_execnz .LBB22_1103
.LBB22_1084:
	s_or_b32 exec_lo, exec_lo, s12
	s_and_saveexec_b32 s12, s5
	s_cbranch_execz .LBB22_1086
.LBB22_1085:
	v_and_b32_e32 v3, 0xffff, v5
	v_lshlrev_b32_e32 v5, 24, v5
	v_and_b32_e32 v6, 3, v3
	v_bfe_u32 v9, v3, 2, 5
	v_and_b32_e32 v5, 0x80000000, v5
	v_ffbh_u32_e32 v7, v6
	v_cmp_eq_u32_e32 vcc_lo, 0, v9
	v_min_u32_e32 v7, 32, v7
	v_subrev_nc_u32_e32 v8, 29, v7
	v_sub_nc_u32_e32 v7, 30, v7
	v_lshlrev_b32_e32 v3, v8, v3
	v_cndmask_b32_e32 v7, v9, v7, vcc_lo
	v_and_b32_e32 v3, 3, v3
	v_cndmask_b32_e32 v3, v6, v3, vcc_lo
	v_lshl_add_u32 v6, v7, 23, 0x37800000
	v_lshlrev_b32_e32 v3, 21, v3
	v_or3_b32 v3, v5, v6, v3
	v_cvt_f16_f32_e32 v3, v3
.LBB22_1086:
	s_or_b32 exec_lo, exec_lo, s12
	s_mov_b32 s5, 0
	s_branch .LBB22_1092
.LBB22_1087:
                                        ; implicit-def: $vgpr3
	s_mov_b32 s5, 0
	s_branch .LBB22_1098
.LBB22_1088:
	s_or_saveexec_b32 s13, s13
	v_mov_b32_e32 v3, 0x7e00
	s_xor_b32 exec_lo, exec_lo, s13
	s_cbranch_execz .LBB22_1072
.LBB22_1089:
	v_cmp_ne_u16_e32 vcc_lo, 0, v5
	v_mov_b32_e32 v3, v5
	s_andn2_b32 s12, s12, exec_lo
	s_and_b32 s14, vcc_lo, exec_lo
	s_or_b32 s12, s12, s14
	s_or_b32 exec_lo, exec_lo, s13
	s_and_saveexec_b32 s13, s12
	s_cbranch_execnz .LBB22_1073
	s_branch .LBB22_1074
.LBB22_1090:
	s_mov_b32 s5, -1
                                        ; implicit-def: $vgpr3
	s_branch .LBB22_1095
.LBB22_1091:
	s_mov_b32 s5, -1
                                        ; implicit-def: $vgpr3
.LBB22_1092:
	s_and_b32 vcc_lo, exec_lo, s5
	s_cbranch_vccz .LBB22_1094
; %bb.1093:
	global_load_ubyte v3, v[0:1], off
	s_waitcnt vmcnt(0)
	v_lshlrev_b32_e32 v3, 24, v3
	v_and_b32_e32 v5, 0x7f000000, v3
	v_ffbh_u32_e32 v6, v5
	v_add_nc_u32_e32 v8, 0x1000000, v5
	v_cmp_ne_u32_e32 vcc_lo, 0, v5
	v_min_u32_e32 v6, 32, v6
	v_sub_nc_u32_e64 v6, v6, 4 clamp
	v_lshlrev_b32_e32 v7, v6, v5
	v_lshlrev_b32_e32 v6, 23, v6
	v_lshrrev_b32_e32 v7, 4, v7
	v_sub_nc_u32_e32 v6, v7, v6
	v_ashrrev_i32_e32 v7, 8, v8
	v_add_nc_u32_e32 v6, 0x3c000000, v6
	v_and_or_b32 v6, 0x7f800000, v7, v6
	v_cndmask_b32_e32 v5, 0, v6, vcc_lo
	v_and_or_b32 v3, 0x80000000, v3, v5
	v_cvt_f16_f32_e32 v3, v3
.LBB22_1094:
	s_mov_b32 s5, 0
.LBB22_1095:
	s_andn2_b32 vcc_lo, exec_lo, s5
	s_cbranch_vccnz .LBB22_1097
; %bb.1096:
	global_load_ubyte v3, v[0:1], off
	s_waitcnt vmcnt(0)
	v_lshlrev_b32_e32 v5, 25, v3
	v_lshlrev_b16 v3, 8, v3
	v_lshrrev_b32_e32 v6, 4, v5
	v_and_or_b32 v7, 0x7f00, v3, 0.5
	v_cmp_gt_u32_e32 vcc_lo, 0x8000000, v5
	v_bfe_i32 v3, v3, 0, 16
	v_or_b32_e32 v6, 0x70000000, v6
	v_add_f32_e32 v7, -0.5, v7
	v_mul_f32_e32 v6, 0x7800000, v6
	v_cndmask_b32_e32 v5, v6, v7, vcc_lo
	v_and_or_b32 v3, 0x80000000, v3, v5
	v_cvt_f16_f32_e32 v3, v3
.LBB22_1097:
	s_mov_b32 s12, -1
	s_mov_b32 s5, 0
	s_cbranch_execnz .LBB22_1108
.LBB22_1098:
	s_cmp_gt_i32 s0, 14
	s_cbranch_scc0 .LBB22_1101
; %bb.1099:
	s_cmp_eq_u32 s0, 15
	s_cbranch_scc0 .LBB22_1104
; %bb.1100:
	global_load_ushort v3, v[0:1], off
	s_mov_b32 s4, 0
	s_mov_b32 s12, -1
	s_waitcnt vmcnt(0)
	v_lshlrev_b32_e32 v3, 16, v3
	v_cvt_f16_f32_e32 v3, v3
	s_branch .LBB22_1106
.LBB22_1101:
	s_mov_b32 s5, -1
	s_branch .LBB22_1105
.LBB22_1102:
	s_or_saveexec_b32 s12, s12
	v_mov_b32_e32 v3, 0x7e00
	s_xor_b32 exec_lo, exec_lo, s12
	s_cbranch_execz .LBB22_1084
.LBB22_1103:
	v_cmp_ne_u16_e32 vcc_lo, 0, v5
	v_mov_b32_e32 v3, v5
	s_andn2_b32 s5, s5, exec_lo
	s_and_b32 s13, vcc_lo, exec_lo
	s_or_b32 s5, s5, s13
	s_or_b32 exec_lo, exec_lo, s12
	s_and_saveexec_b32 s12, s5
	s_cbranch_execnz .LBB22_1085
	s_branch .LBB22_1086
.LBB22_1104:
	s_mov_b32 s4, -1
.LBB22_1105:
                                        ; implicit-def: $vgpr3
.LBB22_1106:
	s_and_b32 vcc_lo, exec_lo, s5
	s_mov_b32 s5, 0
	s_cbranch_vccz .LBB22_1108
; %bb.1107:
	s_cmp_lg_u32 s0, 11
	s_mov_b32 s5, -1
	s_cselect_b32 s4, -1, 0
.LBB22_1108:
	s_and_b32 vcc_lo, exec_lo, s4
	s_mov_b32 s4, s7
	s_cbranch_vccnz .LBB22_1169
; %bb.1109:
	s_andn2_b32 vcc_lo, exec_lo, s5
	s_cbranch_vccnz .LBB22_1111
.LBB22_1110:
	global_load_ubyte v3, v[0:1], off
	s_mov_b32 s12, -1
	s_waitcnt vmcnt(0)
	v_cmp_ne_u16_e32 vcc_lo, 0, v3
	v_cndmask_b32_e64 v3, 0, 0x3c00, vcc_lo
.LBB22_1111:
	s_branch .LBB22_1040
.LBB22_1112:
	s_cmp_lt_i32 s0, 5
	s_cbranch_scc1 .LBB22_1117
; %bb.1113:
	s_cmp_lt_i32 s0, 8
	s_cbranch_scc1 .LBB22_1118
; %bb.1114:
	s_cmp_lt_i32 s0, 9
	s_cbranch_scc1 .LBB22_1119
; %bb.1115:
	s_cmp_gt_i32 s0, 9
	s_cbranch_scc0 .LBB22_1120
; %bb.1116:
	global_load_dwordx2 v[5:6], v[0:1], off
	s_mov_b32 s5, 0
	s_waitcnt vmcnt(0)
	v_and_or_b32 v3, 0x1ff, v6, v5
	v_lshrrev_b32_e32 v5, 8, v6
	v_bfe_u32 v7, v6, 20, 11
	v_cmp_ne_u32_e32 vcc_lo, 0, v3
	v_sub_nc_u32_e32 v8, 0x3f1, v7
	v_add_nc_u32_e32 v7, 0xfffffc10, v7
	v_cndmask_b32_e64 v3, 0, 1, vcc_lo
	v_and_or_b32 v3, 0xffe, v5, v3
	v_med3_i32 v5, v8, 0, 13
	v_or_b32_e32 v8, 0x1000, v3
	v_lshrrev_b32_e32 v9, v5, v8
	v_lshlrev_b32_e32 v5, v5, v9
	v_cmp_ne_u32_e32 vcc_lo, v5, v8
	v_lshl_or_b32 v8, v7, 12, v3
	v_cndmask_b32_e64 v5, 0, 1, vcc_lo
	v_cmp_gt_i32_e32 vcc_lo, 1, v7
	v_or_b32_e32 v5, v9, v5
	v_cndmask_b32_e32 v5, v8, v5, vcc_lo
	v_and_b32_e32 v8, 7, v5
	v_lshrrev_b32_e32 v5, 2, v5
	v_cmp_lt_i32_e32 vcc_lo, 5, v8
	v_cndmask_b32_e64 v9, 0, 1, vcc_lo
	v_cmp_eq_u32_e32 vcc_lo, 3, v8
	v_cndmask_b32_e64 v8, 0, 1, vcc_lo
	v_cmp_ne_u32_e32 vcc_lo, 0, v3
	v_or_b32_e32 v8, v8, v9
	v_mov_b32_e32 v9, 0x7e00
	v_add_nc_u32_e32 v5, v5, v8
	v_cndmask_b32_e32 v3, 0x7c00, v9, vcc_lo
	v_cmp_gt_i32_e32 vcc_lo, 31, v7
	v_cndmask_b32_e32 v5, 0x7c00, v5, vcc_lo
	v_cmp_eq_u32_e32 vcc_lo, 0x40f, v7
	v_cndmask_b32_e32 v3, v5, v3, vcc_lo
	v_lshrrev_b32_e32 v5, 16, v6
	v_and_or_b32 v3, 0x8000, v5, v3
	s_branch .LBB22_1121
.LBB22_1117:
                                        ; implicit-def: $vgpr3
	s_branch .LBB22_1138
.LBB22_1118:
                                        ; implicit-def: $vgpr3
	s_branch .LBB22_1127
.LBB22_1119:
	s_mov_b32 s5, -1
                                        ; implicit-def: $vgpr3
	s_branch .LBB22_1124
.LBB22_1120:
	s_mov_b32 s5, -1
                                        ; implicit-def: $vgpr3
.LBB22_1121:
	s_andn2_b32 vcc_lo, exec_lo, s5
	s_cbranch_vccnz .LBB22_1123
; %bb.1122:
	global_load_dword v3, v[0:1], off
	s_waitcnt vmcnt(0)
	v_cvt_f16_f32_e32 v3, v3
.LBB22_1123:
	s_mov_b32 s5, 0
.LBB22_1124:
	s_andn2_b32 vcc_lo, exec_lo, s5
	s_cbranch_vccnz .LBB22_1126
; %bb.1125:
	global_load_dword v3, v[0:1], off
.LBB22_1126:
	s_cbranch_execnz .LBB22_1137
.LBB22_1127:
	s_cmp_lt_i32 s0, 6
	s_cbranch_scc1 .LBB22_1130
; %bb.1128:
	s_cmp_gt_i32 s0, 6
	s_cbranch_scc0 .LBB22_1131
; %bb.1129:
	global_load_dwordx2 v[5:6], v[0:1], off
	s_mov_b32 s5, 0
	s_waitcnt vmcnt(0)
	v_and_or_b32 v3, 0x1ff, v6, v5
	v_lshrrev_b32_e32 v5, 8, v6
	v_bfe_u32 v7, v6, 20, 11
	v_cmp_ne_u32_e32 vcc_lo, 0, v3
	v_sub_nc_u32_e32 v8, 0x3f1, v7
	v_add_nc_u32_e32 v7, 0xfffffc10, v7
	v_cndmask_b32_e64 v3, 0, 1, vcc_lo
	v_and_or_b32 v3, 0xffe, v5, v3
	v_med3_i32 v5, v8, 0, 13
	v_or_b32_e32 v8, 0x1000, v3
	v_lshrrev_b32_e32 v9, v5, v8
	v_lshlrev_b32_e32 v5, v5, v9
	v_cmp_ne_u32_e32 vcc_lo, v5, v8
	v_lshl_or_b32 v8, v7, 12, v3
	v_cndmask_b32_e64 v5, 0, 1, vcc_lo
	v_cmp_gt_i32_e32 vcc_lo, 1, v7
	v_or_b32_e32 v5, v9, v5
	v_cndmask_b32_e32 v5, v8, v5, vcc_lo
	v_and_b32_e32 v8, 7, v5
	v_lshrrev_b32_e32 v5, 2, v5
	v_cmp_lt_i32_e32 vcc_lo, 5, v8
	v_cndmask_b32_e64 v9, 0, 1, vcc_lo
	v_cmp_eq_u32_e32 vcc_lo, 3, v8
	v_cndmask_b32_e64 v8, 0, 1, vcc_lo
	v_cmp_ne_u32_e32 vcc_lo, 0, v3
	v_or_b32_e32 v8, v8, v9
	v_mov_b32_e32 v9, 0x7e00
	v_add_nc_u32_e32 v5, v5, v8
	v_cndmask_b32_e32 v3, 0x7c00, v9, vcc_lo
	v_cmp_gt_i32_e32 vcc_lo, 31, v7
	v_cndmask_b32_e32 v5, 0x7c00, v5, vcc_lo
	v_cmp_eq_u32_e32 vcc_lo, 0x40f, v7
	v_cndmask_b32_e32 v3, v5, v3, vcc_lo
	v_lshrrev_b32_e32 v5, 16, v6
	v_and_or_b32 v3, 0x8000, v5, v3
	s_branch .LBB22_1132
.LBB22_1130:
	s_mov_b32 s5, -1
                                        ; implicit-def: $vgpr3
	s_branch .LBB22_1135
.LBB22_1131:
	s_mov_b32 s5, -1
                                        ; implicit-def: $vgpr3
.LBB22_1132:
	s_andn2_b32 vcc_lo, exec_lo, s5
	s_cbranch_vccnz .LBB22_1134
; %bb.1133:
	global_load_dword v3, v[0:1], off
	s_waitcnt vmcnt(0)
	v_cvt_f16_f32_e32 v3, v3
.LBB22_1134:
	s_mov_b32 s5, 0
.LBB22_1135:
	s_andn2_b32 vcc_lo, exec_lo, s5
	s_cbranch_vccnz .LBB22_1137
; %bb.1136:
	global_load_ushort v3, v[0:1], off
.LBB22_1137:
	s_cbranch_execnz .LBB22_1156
.LBB22_1138:
	s_cmp_lt_i32 s0, 2
	s_cbranch_scc1 .LBB22_1142
; %bb.1139:
	s_cmp_lt_i32 s0, 3
	s_cbranch_scc1 .LBB22_1143
; %bb.1140:
	s_cmp_gt_i32 s0, 3
	s_cbranch_scc0 .LBB22_1144
; %bb.1141:
	global_load_dwordx2 v[5:6], v[0:1], off
	s_mov_b32 s5, 0
	s_waitcnt vmcnt(0)
	v_xor_b32_e32 v3, v5, v6
	v_ffbh_i32_e32 v7, v6
	v_ashrrev_i32_e32 v3, 31, v3
	v_add_nc_u32_e32 v7, -1, v7
	v_add_nc_u32_e32 v3, 32, v3
	v_min_u32_e32 v3, v7, v3
	v_lshlrev_b64 v[5:6], v3, v[5:6]
	v_sub_nc_u32_e32 v3, 32, v3
	v_min_u32_e32 v5, 1, v5
	v_or_b32_e32 v5, v6, v5
	v_cvt_f32_i32_e32 v5, v5
	v_ldexp_f32 v3, v5, v3
	v_cvt_f16_f32_e32 v3, v3
	s_branch .LBB22_1145
.LBB22_1142:
                                        ; implicit-def: $vgpr3
	s_branch .LBB22_1151
.LBB22_1143:
	s_mov_b32 s5, -1
                                        ; implicit-def: $vgpr3
	s_branch .LBB22_1148
.LBB22_1144:
	s_mov_b32 s5, -1
                                        ; implicit-def: $vgpr3
.LBB22_1145:
	s_andn2_b32 vcc_lo, exec_lo, s5
	s_cbranch_vccnz .LBB22_1147
; %bb.1146:
	global_load_dword v3, v[0:1], off
	s_waitcnt vmcnt(0)
	v_cvt_f32_i32_e32 v3, v3
	v_cvt_f16_f32_e32 v3, v3
.LBB22_1147:
	s_mov_b32 s5, 0
.LBB22_1148:
	s_andn2_b32 vcc_lo, exec_lo, s5
	s_cbranch_vccnz .LBB22_1150
; %bb.1149:
	global_load_ushort v3, v[0:1], off
	s_waitcnt vmcnt(0)
	v_cvt_f16_i16_e32 v3, v3
.LBB22_1150:
	s_cbranch_execnz .LBB22_1156
.LBB22_1151:
	s_cmp_gt_i32 s0, 0
	s_mov_b32 s5, 0
	s_cbranch_scc0 .LBB22_1153
; %bb.1152:
	global_load_sbyte v3, v[0:1], off
	s_waitcnt vmcnt(0)
	v_cvt_f16_i16_e32 v3, v3
	s_branch .LBB22_1154
.LBB22_1153:
	s_mov_b32 s5, -1
                                        ; implicit-def: $vgpr3
.LBB22_1154:
	s_andn2_b32 vcc_lo, exec_lo, s5
	s_cbranch_vccnz .LBB22_1156
; %bb.1155:
	global_load_ubyte v0, v[0:1], off
	s_waitcnt vmcnt(0)
	v_cvt_f16_u16_e32 v3, v0
.LBB22_1156:
.LBB22_1157:
	s_lshl_b32 s3, s3, 7
	s_cmp_lt_i32 s0, 11
	v_add_nc_u32_e32 v5, s3, v4
	v_ashrrev_i32_e32 v1, 31, v5
	v_add_co_u32 v0, vcc_lo, s10, v5
	v_add_co_ci_u32_e64 v1, null, s11, v1, vcc_lo
	s_cbranch_scc1 .LBB22_1164
; %bb.1158:
	s_cmp_gt_i32 s0, 25
	s_mov_b32 s12, 0
	s_cbranch_scc0 .LBB22_1166
; %bb.1159:
	s_cmp_gt_i32 s0, 28
	s_cbranch_scc0 .LBB22_1167
; %bb.1160:
	s_cmp_gt_i32 s0, 43
	;; [unrolled: 3-line block ×3, first 2 shown]
	s_cbranch_scc0 .LBB22_1170
; %bb.1162:
	s_cmp_eq_u32 s0, 46
	s_mov_b32 s14, 0
	s_cbranch_scc0 .LBB22_1173
; %bb.1163:
	global_load_dword v4, v[0:1], off
	s_mov_b32 s5, 0
	s_mov_b32 s13, -1
	s_waitcnt vmcnt(0)
	v_lshlrev_b32_e32 v4, 16, v4
	v_cvt_f16_f32_e32 v4, v4
	s_branch .LBB22_1175
.LBB22_1164:
	s_mov_b32 s13, 0
                                        ; implicit-def: $vgpr4
	s_cbranch_execnz .LBB22_1240
.LBB22_1165:
	s_andn2_b32 vcc_lo, exec_lo, s13
	s_cbranch_vccnz .LBB22_1981
	s_branch .LBB22_1287
.LBB22_1166:
	s_mov_b32 s13, 0
	s_mov_b32 s5, 0
                                        ; implicit-def: $vgpr4
	s_cbranch_execnz .LBB22_1204
	s_branch .LBB22_1236
.LBB22_1167:
	s_mov_b32 s14, -1
	s_mov_b32 s13, 0
	s_mov_b32 s5, 0
                                        ; implicit-def: $vgpr4
	s_branch .LBB22_1185
.LBB22_1168:
	s_mov_b32 s14, -1
	s_mov_b32 s13, 0
	s_mov_b32 s5, 0
                                        ; implicit-def: $vgpr4
	s_branch .LBB22_1180
.LBB22_1169:
	s_or_b32 s4, s7, exec_lo
	s_trap 2
	s_cbranch_execz .LBB22_1110
	s_branch .LBB22_1111
.LBB22_1170:
	s_mov_b32 s14, -1
	s_mov_b32 s13, 0
	s_mov_b32 s5, 0
	s_branch .LBB22_1174
.LBB22_1171:
	s_andn2_saveexec_b32 s19, s19
	s_cbranch_execz .LBB22_956
.LBB22_1172:
	v_add_f32_e64 v4, 0x42800000, |v2|
	s_andn2_b32 s18, s18, exec_lo
	v_and_b32_e32 v4, 0xff, v4
	v_cmp_ne_u32_e32 vcc_lo, 0, v4
	s_and_b32 s20, vcc_lo, exec_lo
	s_or_b32 s18, s18, s20
	s_or_b32 exec_lo, exec_lo, s19
	v_mov_b32_e32 v5, 0
	s_and_saveexec_b32 s19, s18
	s_cbranch_execnz .LBB22_957
	s_branch .LBB22_958
.LBB22_1173:
	s_mov_b32 s5, -1
	s_mov_b32 s13, 0
.LBB22_1174:
                                        ; implicit-def: $vgpr4
.LBB22_1175:
	s_and_b32 vcc_lo, exec_lo, s14
	s_cbranch_vccz .LBB22_1179
; %bb.1176:
	s_cmp_eq_u32 s0, 44
	s_cbranch_scc0 .LBB22_1178
; %bb.1177:
	global_load_ubyte v4, v[0:1], off
	s_mov_b32 s5, 0
	s_mov_b32 s13, -1
	s_waitcnt vmcnt(0)
	v_lshlrev_b32_e32 v6, 23, v4
	v_cmp_ne_u32_e32 vcc_lo, 0xff, v4
	v_cvt_f16_f32_e32 v6, v6
	v_cndmask_b32_e32 v6, 0x7e00, v6, vcc_lo
	v_cmp_ne_u32_e32 vcc_lo, 0, v4
	v_cndmask_b32_e32 v4, 0, v6, vcc_lo
	s_branch .LBB22_1179
.LBB22_1178:
	s_mov_b32 s5, -1
                                        ; implicit-def: $vgpr4
.LBB22_1179:
	s_mov_b32 s14, 0
.LBB22_1180:
	s_and_b32 vcc_lo, exec_lo, s14
	s_cbranch_vccz .LBB22_1184
; %bb.1181:
	s_cmp_eq_u32 s0, 29
	s_cbranch_scc0 .LBB22_1183
; %bb.1182:
	global_load_dwordx2 v[6:7], v[0:1], off
	s_mov_b32 s5, 0
	s_mov_b32 s13, -1
	s_mov_b32 s14, 0
	s_waitcnt vmcnt(0)
	v_ffbh_u32_e32 v4, v7
	v_min_u32_e32 v4, 32, v4
	v_lshlrev_b64 v[6:7], v4, v[6:7]
	v_sub_nc_u32_e32 v4, 32, v4
	v_min_u32_e32 v6, 1, v6
	v_or_b32_e32 v6, v7, v6
	v_cvt_f32_u32_e32 v6, v6
	v_ldexp_f32 v4, v6, v4
	v_cvt_f16_f32_e32 v4, v4
	s_branch .LBB22_1185
.LBB22_1183:
	s_mov_b32 s5, -1
                                        ; implicit-def: $vgpr4
.LBB22_1184:
	s_mov_b32 s14, 0
.LBB22_1185:
	s_and_b32 vcc_lo, exec_lo, s14
	s_cbranch_vccz .LBB22_1203
; %bb.1186:
	s_cmp_lt_i32 s0, 27
	s_cbranch_scc1 .LBB22_1189
; %bb.1187:
	s_cmp_gt_i32 s0, 27
	s_cbranch_scc0 .LBB22_1190
; %bb.1188:
	global_load_dword v4, v[0:1], off
	s_mov_b32 s13, 0
	s_waitcnt vmcnt(0)
	v_cvt_f32_u32_e32 v4, v4
	v_cvt_f16_f32_e32 v4, v4
	s_branch .LBB22_1191
.LBB22_1189:
	s_mov_b32 s13, -1
                                        ; implicit-def: $vgpr4
	s_branch .LBB22_1194
.LBB22_1190:
	s_mov_b32 s13, -1
                                        ; implicit-def: $vgpr4
.LBB22_1191:
	s_andn2_b32 vcc_lo, exec_lo, s13
	s_cbranch_vccnz .LBB22_1193
; %bb.1192:
	global_load_ushort v4, v[0:1], off
	s_waitcnt vmcnt(0)
	v_cvt_f16_u16_e32 v4, v4
.LBB22_1193:
	s_mov_b32 s13, 0
.LBB22_1194:
	s_andn2_b32 vcc_lo, exec_lo, s13
	s_cbranch_vccnz .LBB22_1202
; %bb.1195:
	global_load_ubyte v6, v[0:1], off
	s_mov_b32 s13, 0
	s_mov_b32 s14, exec_lo
	s_waitcnt vmcnt(0)
	v_cmpx_lt_i16_e32 0x7f, v6
	s_xor_b32 s14, exec_lo, s14
	s_cbranch_execz .LBB22_1215
; %bb.1196:
	s_mov_b32 s13, -1
	s_mov_b32 s15, exec_lo
	v_cmpx_eq_u16_e32 0x80, v6
; %bb.1197:
	s_xor_b32 s13, exec_lo, -1
; %bb.1198:
	s_or_b32 exec_lo, exec_lo, s15
	s_and_b32 s13, s13, exec_lo
	s_or_saveexec_b32 s14, s14
	v_mov_b32_e32 v4, 0x7e00
	s_xor_b32 exec_lo, exec_lo, s14
	s_cbranch_execnz .LBB22_1216
.LBB22_1199:
	s_or_b32 exec_lo, exec_lo, s14
	s_and_saveexec_b32 s14, s13
	s_cbranch_execz .LBB22_1201
.LBB22_1200:
	v_and_b32_e32 v4, 0xffff, v6
	v_lshlrev_b32_e32 v6, 24, v6
	v_and_b32_e32 v7, 7, v4
	v_bfe_u32 v10, v4, 3, 4
	v_and_b32_e32 v6, 0x80000000, v6
	v_ffbh_u32_e32 v8, v7
	v_cmp_eq_u32_e32 vcc_lo, 0, v10
	v_min_u32_e32 v8, 32, v8
	v_subrev_nc_u32_e32 v9, 28, v8
	v_sub_nc_u32_e32 v8, 29, v8
	v_lshlrev_b32_e32 v4, v9, v4
	v_cndmask_b32_e32 v8, v10, v8, vcc_lo
	v_and_b32_e32 v4, 7, v4
	v_cndmask_b32_e32 v4, v7, v4, vcc_lo
	v_lshl_add_u32 v7, v8, 23, 0x3b800000
	v_lshlrev_b32_e32 v4, 20, v4
	v_or3_b32 v4, v6, v7, v4
	v_cvt_f16_f32_e32 v4, v4
.LBB22_1201:
	s_or_b32 exec_lo, exec_lo, s14
.LBB22_1202:
	s_mov_b32 s13, -1
.LBB22_1203:
	s_branch .LBB22_1236
.LBB22_1204:
	s_cmp_gt_i32 s0, 22
	s_cbranch_scc0 .LBB22_1214
; %bb.1205:
	s_cmp_lt_i32 s0, 24
	s_cbranch_scc1 .LBB22_1217
; %bb.1206:
	s_cmp_gt_i32 s0, 24
	s_cbranch_scc0 .LBB22_1218
; %bb.1207:
	global_load_ubyte v6, v[0:1], off
	s_mov_b32 s13, exec_lo
	s_waitcnt vmcnt(0)
	v_cmpx_lt_i16_e32 0x7f, v6
	s_xor_b32 s13, exec_lo, s13
	s_cbranch_execz .LBB22_1230
; %bb.1208:
	s_mov_b32 s12, -1
	s_mov_b32 s14, exec_lo
	v_cmpx_eq_u16_e32 0x80, v6
; %bb.1209:
	s_xor_b32 s12, exec_lo, -1
; %bb.1210:
	s_or_b32 exec_lo, exec_lo, s14
	s_and_b32 s12, s12, exec_lo
	s_or_saveexec_b32 s13, s13
	v_mov_b32_e32 v4, 0x7e00
	s_xor_b32 exec_lo, exec_lo, s13
	s_cbranch_execnz .LBB22_1231
.LBB22_1211:
	s_or_b32 exec_lo, exec_lo, s13
	s_and_saveexec_b32 s13, s12
	s_cbranch_execz .LBB22_1213
.LBB22_1212:
	v_and_b32_e32 v4, 0xffff, v6
	v_lshlrev_b32_e32 v6, 24, v6
	v_and_b32_e32 v7, 3, v4
	v_bfe_u32 v10, v4, 2, 5
	v_and_b32_e32 v6, 0x80000000, v6
	v_ffbh_u32_e32 v8, v7
	v_cmp_eq_u32_e32 vcc_lo, 0, v10
	v_min_u32_e32 v8, 32, v8
	v_subrev_nc_u32_e32 v9, 29, v8
	v_sub_nc_u32_e32 v8, 30, v8
	v_lshlrev_b32_e32 v4, v9, v4
	v_cndmask_b32_e32 v8, v10, v8, vcc_lo
	v_and_b32_e32 v4, 3, v4
	v_cndmask_b32_e32 v4, v7, v4, vcc_lo
	v_lshl_add_u32 v7, v8, 23, 0x37800000
	v_lshlrev_b32_e32 v4, 21, v4
	v_or3_b32 v4, v6, v7, v4
	v_cvt_f16_f32_e32 v4, v4
.LBB22_1213:
	s_or_b32 exec_lo, exec_lo, s13
	s_mov_b32 s12, 0
	s_branch .LBB22_1219
.LBB22_1214:
	s_mov_b32 s12, -1
                                        ; implicit-def: $vgpr4
	s_branch .LBB22_1225
.LBB22_1215:
	s_or_saveexec_b32 s14, s14
	v_mov_b32_e32 v4, 0x7e00
	s_xor_b32 exec_lo, exec_lo, s14
	s_cbranch_execz .LBB22_1199
.LBB22_1216:
	v_cmp_ne_u16_e32 vcc_lo, 0, v6
	v_mov_b32_e32 v4, v6
	s_andn2_b32 s13, s13, exec_lo
	s_and_b32 s15, vcc_lo, exec_lo
	s_or_b32 s13, s13, s15
	s_or_b32 exec_lo, exec_lo, s14
	s_and_saveexec_b32 s14, s13
	s_cbranch_execnz .LBB22_1200
	s_branch .LBB22_1201
.LBB22_1217:
	s_mov_b32 s12, -1
                                        ; implicit-def: $vgpr4
	s_branch .LBB22_1222
.LBB22_1218:
	s_mov_b32 s12, -1
                                        ; implicit-def: $vgpr4
.LBB22_1219:
	s_and_b32 vcc_lo, exec_lo, s12
	s_cbranch_vccz .LBB22_1221
; %bb.1220:
	global_load_ubyte v4, v[0:1], off
	s_waitcnt vmcnt(0)
	v_lshlrev_b32_e32 v4, 24, v4
	v_and_b32_e32 v6, 0x7f000000, v4
	v_ffbh_u32_e32 v7, v6
	v_add_nc_u32_e32 v9, 0x1000000, v6
	v_cmp_ne_u32_e32 vcc_lo, 0, v6
	v_min_u32_e32 v7, 32, v7
	v_sub_nc_u32_e64 v7, v7, 4 clamp
	v_lshlrev_b32_e32 v8, v7, v6
	v_lshlrev_b32_e32 v7, 23, v7
	v_lshrrev_b32_e32 v8, 4, v8
	v_sub_nc_u32_e32 v7, v8, v7
	v_ashrrev_i32_e32 v8, 8, v9
	v_add_nc_u32_e32 v7, 0x3c000000, v7
	v_and_or_b32 v7, 0x7f800000, v8, v7
	v_cndmask_b32_e32 v6, 0, v7, vcc_lo
	v_and_or_b32 v4, 0x80000000, v4, v6
	v_cvt_f16_f32_e32 v4, v4
.LBB22_1221:
	s_mov_b32 s12, 0
.LBB22_1222:
	s_andn2_b32 vcc_lo, exec_lo, s12
	s_cbranch_vccnz .LBB22_1224
; %bb.1223:
	global_load_ubyte v4, v[0:1], off
	s_waitcnt vmcnt(0)
	v_lshlrev_b32_e32 v6, 25, v4
	v_lshlrev_b16 v4, 8, v4
	v_lshrrev_b32_e32 v7, 4, v6
	v_and_or_b32 v8, 0x7f00, v4, 0.5
	v_cmp_gt_u32_e32 vcc_lo, 0x8000000, v6
	v_bfe_i32 v4, v4, 0, 16
	v_or_b32_e32 v7, 0x70000000, v7
	v_add_f32_e32 v8, -0.5, v8
	v_mul_f32_e32 v7, 0x7800000, v7
	v_cndmask_b32_e32 v6, v7, v8, vcc_lo
	v_and_or_b32 v4, 0x80000000, v4, v6
	v_cvt_f16_f32_e32 v4, v4
.LBB22_1224:
	s_mov_b32 s12, 0
	s_mov_b32 s13, -1
.LBB22_1225:
	s_andn2_b32 vcc_lo, exec_lo, s12
	s_mov_b32 s12, 0
	s_cbranch_vccnz .LBB22_1236
; %bb.1226:
	s_cmp_gt_i32 s0, 14
	s_cbranch_scc0 .LBB22_1229
; %bb.1227:
	s_cmp_eq_u32 s0, 15
	s_cbranch_scc0 .LBB22_1232
; %bb.1228:
	global_load_ushort v4, v[0:1], off
	s_mov_b32 s5, 0
	s_mov_b32 s13, -1
	s_waitcnt vmcnt(0)
	v_lshlrev_b32_e32 v4, 16, v4
	v_cvt_f16_f32_e32 v4, v4
	s_branch .LBB22_1234
.LBB22_1229:
	s_mov_b32 s12, -1
	s_branch .LBB22_1233
.LBB22_1230:
	s_or_saveexec_b32 s13, s13
	v_mov_b32_e32 v4, 0x7e00
	s_xor_b32 exec_lo, exec_lo, s13
	s_cbranch_execz .LBB22_1211
.LBB22_1231:
	v_cmp_ne_u16_e32 vcc_lo, 0, v6
	v_mov_b32_e32 v4, v6
	s_andn2_b32 s12, s12, exec_lo
	s_and_b32 s14, vcc_lo, exec_lo
	s_or_b32 s12, s12, s14
	s_or_b32 exec_lo, exec_lo, s13
	s_and_saveexec_b32 s13, s12
	s_cbranch_execnz .LBB22_1212
	s_branch .LBB22_1213
.LBB22_1232:
	s_mov_b32 s5, -1
.LBB22_1233:
                                        ; implicit-def: $vgpr4
.LBB22_1234:
	s_and_b32 vcc_lo, exec_lo, s12
	s_mov_b32 s12, 0
	s_cbranch_vccz .LBB22_1236
; %bb.1235:
	s_cmp_lg_u32 s0, 11
	s_mov_b32 s12, -1
	s_cselect_b32 s5, -1, 0
.LBB22_1236:
	s_and_b32 vcc_lo, exec_lo, s5
	s_cbranch_vccnz .LBB22_1299
; %bb.1237:
	s_andn2_b32 vcc_lo, exec_lo, s12
	s_cbranch_vccnz .LBB22_1239
.LBB22_1238:
	global_load_ubyte v4, v[0:1], off
	s_mov_b32 s13, -1
	s_waitcnt vmcnt(0)
	v_cmp_ne_u16_e32 vcc_lo, 0, v4
	v_cndmask_b32_e64 v4, 0, 0x3c00, vcc_lo
.LBB22_1239:
	s_branch .LBB22_1165
.LBB22_1240:
	s_cmp_lt_i32 s0, 5
	s_cbranch_scc1 .LBB22_1245
; %bb.1241:
	s_cmp_lt_i32 s0, 8
	s_cbranch_scc1 .LBB22_1246
; %bb.1242:
	;; [unrolled: 3-line block ×3, first 2 shown]
	s_cmp_gt_i32 s0, 9
	s_cbranch_scc0 .LBB22_1248
; %bb.1244:
	global_load_dwordx2 v[6:7], v[0:1], off
	s_mov_b32 s5, 0
	s_waitcnt vmcnt(0)
	v_and_or_b32 v4, 0x1ff, v7, v6
	v_lshrrev_b32_e32 v6, 8, v7
	v_bfe_u32 v8, v7, 20, 11
	v_cmp_ne_u32_e32 vcc_lo, 0, v4
	v_sub_nc_u32_e32 v9, 0x3f1, v8
	v_add_nc_u32_e32 v8, 0xfffffc10, v8
	v_cndmask_b32_e64 v4, 0, 1, vcc_lo
	v_and_or_b32 v4, 0xffe, v6, v4
	v_med3_i32 v6, v9, 0, 13
	v_or_b32_e32 v9, 0x1000, v4
	v_lshrrev_b32_e32 v10, v6, v9
	v_lshlrev_b32_e32 v6, v6, v10
	v_cmp_ne_u32_e32 vcc_lo, v6, v9
	v_lshl_or_b32 v9, v8, 12, v4
	v_cndmask_b32_e64 v6, 0, 1, vcc_lo
	v_cmp_gt_i32_e32 vcc_lo, 1, v8
	v_or_b32_e32 v6, v10, v6
	v_cndmask_b32_e32 v6, v9, v6, vcc_lo
	v_and_b32_e32 v9, 7, v6
	v_lshrrev_b32_e32 v6, 2, v6
	v_cmp_lt_i32_e32 vcc_lo, 5, v9
	v_cndmask_b32_e64 v10, 0, 1, vcc_lo
	v_cmp_eq_u32_e32 vcc_lo, 3, v9
	v_cndmask_b32_e64 v9, 0, 1, vcc_lo
	v_cmp_ne_u32_e32 vcc_lo, 0, v4
	v_or_b32_e32 v9, v9, v10
	v_mov_b32_e32 v10, 0x7e00
	v_add_nc_u32_e32 v6, v6, v9
	v_cndmask_b32_e32 v4, 0x7c00, v10, vcc_lo
	v_cmp_gt_i32_e32 vcc_lo, 31, v8
	v_cndmask_b32_e32 v6, 0x7c00, v6, vcc_lo
	v_cmp_eq_u32_e32 vcc_lo, 0x40f, v8
	v_cndmask_b32_e32 v4, v6, v4, vcc_lo
	v_lshrrev_b32_e32 v6, 16, v7
	v_and_or_b32 v4, 0x8000, v6, v4
	s_branch .LBB22_1249
.LBB22_1245:
                                        ; implicit-def: $vgpr4
	s_branch .LBB22_1267
.LBB22_1246:
	s_mov_b32 s5, -1
                                        ; implicit-def: $vgpr4
	s_branch .LBB22_1255
.LBB22_1247:
	s_mov_b32 s5, -1
                                        ; implicit-def: $vgpr4
	s_branch .LBB22_1252
.LBB22_1248:
	s_mov_b32 s5, -1
                                        ; implicit-def: $vgpr4
.LBB22_1249:
	s_andn2_b32 vcc_lo, exec_lo, s5
	s_cbranch_vccnz .LBB22_1251
; %bb.1250:
	global_load_dword v4, v[0:1], off
	s_waitcnt vmcnt(0)
	v_cvt_f16_f32_e32 v4, v4
.LBB22_1251:
	s_mov_b32 s5, 0
.LBB22_1252:
	s_andn2_b32 vcc_lo, exec_lo, s5
	s_cbranch_vccnz .LBB22_1254
; %bb.1253:
	global_load_dword v4, v[0:1], off
.LBB22_1254:
	s_mov_b32 s5, 0
.LBB22_1255:
	s_andn2_b32 vcc_lo, exec_lo, s5
	s_cbranch_vccnz .LBB22_1266
; %bb.1256:
	s_cmp_lt_i32 s0, 6
	s_cbranch_scc1 .LBB22_1259
; %bb.1257:
	s_cmp_gt_i32 s0, 6
	s_cbranch_scc0 .LBB22_1260
; %bb.1258:
	global_load_dwordx2 v[6:7], v[0:1], off
	s_mov_b32 s5, 0
	s_waitcnt vmcnt(0)
	v_and_or_b32 v4, 0x1ff, v7, v6
	v_lshrrev_b32_e32 v6, 8, v7
	v_bfe_u32 v8, v7, 20, 11
	v_cmp_ne_u32_e32 vcc_lo, 0, v4
	v_sub_nc_u32_e32 v9, 0x3f1, v8
	v_add_nc_u32_e32 v8, 0xfffffc10, v8
	v_cndmask_b32_e64 v4, 0, 1, vcc_lo
	v_and_or_b32 v4, 0xffe, v6, v4
	v_med3_i32 v6, v9, 0, 13
	v_or_b32_e32 v9, 0x1000, v4
	v_lshrrev_b32_e32 v10, v6, v9
	v_lshlrev_b32_e32 v6, v6, v10
	v_cmp_ne_u32_e32 vcc_lo, v6, v9
	v_lshl_or_b32 v9, v8, 12, v4
	v_cndmask_b32_e64 v6, 0, 1, vcc_lo
	v_cmp_gt_i32_e32 vcc_lo, 1, v8
	v_or_b32_e32 v6, v10, v6
	v_cndmask_b32_e32 v6, v9, v6, vcc_lo
	v_and_b32_e32 v9, 7, v6
	v_lshrrev_b32_e32 v6, 2, v6
	v_cmp_lt_i32_e32 vcc_lo, 5, v9
	v_cndmask_b32_e64 v10, 0, 1, vcc_lo
	v_cmp_eq_u32_e32 vcc_lo, 3, v9
	v_cndmask_b32_e64 v9, 0, 1, vcc_lo
	v_cmp_ne_u32_e32 vcc_lo, 0, v4
	v_or_b32_e32 v9, v9, v10
	v_mov_b32_e32 v10, 0x7e00
	v_add_nc_u32_e32 v6, v6, v9
	v_cndmask_b32_e32 v4, 0x7c00, v10, vcc_lo
	v_cmp_gt_i32_e32 vcc_lo, 31, v8
	v_cndmask_b32_e32 v6, 0x7c00, v6, vcc_lo
	v_cmp_eq_u32_e32 vcc_lo, 0x40f, v8
	v_cndmask_b32_e32 v4, v6, v4, vcc_lo
	v_lshrrev_b32_e32 v6, 16, v7
	v_and_or_b32 v4, 0x8000, v6, v4
	s_branch .LBB22_1261
.LBB22_1259:
	s_mov_b32 s5, -1
                                        ; implicit-def: $vgpr4
	s_branch .LBB22_1264
.LBB22_1260:
	s_mov_b32 s5, -1
                                        ; implicit-def: $vgpr4
.LBB22_1261:
	s_andn2_b32 vcc_lo, exec_lo, s5
	s_cbranch_vccnz .LBB22_1263
; %bb.1262:
	global_load_dword v4, v[0:1], off
	s_waitcnt vmcnt(0)
	v_cvt_f16_f32_e32 v4, v4
.LBB22_1263:
	s_mov_b32 s5, 0
.LBB22_1264:
	s_andn2_b32 vcc_lo, exec_lo, s5
	s_cbranch_vccnz .LBB22_1266
; %bb.1265:
	global_load_ushort v4, v[0:1], off
.LBB22_1266:
	s_cbranch_execnz .LBB22_1286
.LBB22_1267:
	s_cmp_lt_i32 s0, 2
	s_cbranch_scc1 .LBB22_1271
; %bb.1268:
	s_cmp_lt_i32 s0, 3
	s_cbranch_scc1 .LBB22_1272
; %bb.1269:
	s_cmp_gt_i32 s0, 3
	s_cbranch_scc0 .LBB22_1273
; %bb.1270:
	global_load_dwordx2 v[6:7], v[0:1], off
	s_mov_b32 s5, 0
	s_waitcnt vmcnt(0)
	v_xor_b32_e32 v4, v6, v7
	v_ffbh_i32_e32 v8, v7
	v_ashrrev_i32_e32 v4, 31, v4
	v_add_nc_u32_e32 v8, -1, v8
	v_add_nc_u32_e32 v4, 32, v4
	v_min_u32_e32 v4, v8, v4
	v_lshlrev_b64 v[6:7], v4, v[6:7]
	v_sub_nc_u32_e32 v4, 32, v4
	v_min_u32_e32 v6, 1, v6
	v_or_b32_e32 v6, v7, v6
	v_cvt_f32_i32_e32 v6, v6
	v_ldexp_f32 v4, v6, v4
	v_cvt_f16_f32_e32 v4, v4
	s_branch .LBB22_1274
.LBB22_1271:
	s_mov_b32 s5, -1
                                        ; implicit-def: $vgpr4
	s_branch .LBB22_1280
.LBB22_1272:
	s_mov_b32 s5, -1
                                        ; implicit-def: $vgpr4
	s_branch .LBB22_1277
.LBB22_1273:
	s_mov_b32 s5, -1
                                        ; implicit-def: $vgpr4
.LBB22_1274:
	s_andn2_b32 vcc_lo, exec_lo, s5
	s_cbranch_vccnz .LBB22_1276
; %bb.1275:
	global_load_dword v4, v[0:1], off
	s_waitcnt vmcnt(0)
	v_cvt_f32_i32_e32 v4, v4
	v_cvt_f16_f32_e32 v4, v4
.LBB22_1276:
	s_mov_b32 s5, 0
.LBB22_1277:
	s_andn2_b32 vcc_lo, exec_lo, s5
	s_cbranch_vccnz .LBB22_1279
; %bb.1278:
	global_load_ushort v4, v[0:1], off
	s_waitcnt vmcnt(0)
	v_cvt_f16_i16_e32 v4, v4
.LBB22_1279:
	s_mov_b32 s5, 0
.LBB22_1280:
	s_andn2_b32 vcc_lo, exec_lo, s5
	s_cbranch_vccnz .LBB22_1286
; %bb.1281:
	s_cmp_gt_i32 s0, 0
	s_mov_b32 s5, 0
	s_cbranch_scc0 .LBB22_1283
; %bb.1282:
	global_load_sbyte v4, v[0:1], off
	s_waitcnt vmcnt(0)
	v_cvt_f16_i16_e32 v4, v4
	s_branch .LBB22_1284
.LBB22_1283:
	s_mov_b32 s5, -1
                                        ; implicit-def: $vgpr4
.LBB22_1284:
	s_andn2_b32 vcc_lo, exec_lo, s5
	s_cbranch_vccnz .LBB22_1286
; %bb.1285:
	global_load_ubyte v0, v[0:1], off
	s_waitcnt vmcnt(0)
	v_cvt_f16_u16_e32 v4, v0
.LBB22_1286:
.LBB22_1287:
	v_add_nc_u32_e32 v6, s3, v5
	s_cmp_lt_i32 s0, 11
	v_ashrrev_i32_e32 v1, 31, v6
	v_add_co_u32 v0, vcc_lo, s10, v6
	v_add_co_ci_u32_e64 v1, null, s11, v1, vcc_lo
	s_cbranch_scc1 .LBB22_1294
; %bb.1288:
	s_cmp_gt_i32 s0, 25
	s_mov_b32 s12, 0
	s_cbranch_scc0 .LBB22_1296
; %bb.1289:
	s_cmp_gt_i32 s0, 28
	s_cbranch_scc0 .LBB22_1297
; %bb.1290:
	s_cmp_gt_i32 s0, 43
	;; [unrolled: 3-line block ×3, first 2 shown]
	s_cbranch_scc0 .LBB22_1300
; %bb.1292:
	s_cmp_eq_u32 s0, 46
	s_mov_b32 s14, 0
	s_cbranch_scc0 .LBB22_1301
; %bb.1293:
	global_load_dword v5, v[0:1], off
	s_mov_b32 s5, 0
	s_mov_b32 s13, -1
	s_waitcnt vmcnt(0)
	v_lshlrev_b32_e32 v5, 16, v5
	v_cvt_f16_f32_e32 v5, v5
	s_branch .LBB22_1303
.LBB22_1294:
	s_mov_b32 s13, 0
                                        ; implicit-def: $vgpr5
	s_cbranch_execnz .LBB22_1369
.LBB22_1295:
	s_andn2_b32 vcc_lo, exec_lo, s13
	s_cbranch_vccnz .LBB22_1981
	s_branch .LBB22_1417
.LBB22_1296:
	s_mov_b32 s14, -1
	s_mov_b32 s13, 0
	s_mov_b32 s5, 0
                                        ; implicit-def: $vgpr5
	s_branch .LBB22_1332
.LBB22_1297:
	s_mov_b32 s14, -1
	s_mov_b32 s13, 0
	s_mov_b32 s5, 0
                                        ; implicit-def: $vgpr5
	s_branch .LBB22_1313
.LBB22_1298:
	s_mov_b32 s14, -1
	s_mov_b32 s13, 0
	s_mov_b32 s5, 0
                                        ; implicit-def: $vgpr5
	s_branch .LBB22_1308
.LBB22_1299:
	s_or_b32 s4, s4, exec_lo
	s_trap 2
	s_cbranch_execz .LBB22_1238
	s_branch .LBB22_1239
.LBB22_1300:
	s_mov_b32 s14, -1
	s_mov_b32 s13, 0
	s_mov_b32 s5, 0
	s_branch .LBB22_1302
.LBB22_1301:
	s_mov_b32 s5, -1
	s_mov_b32 s13, 0
.LBB22_1302:
                                        ; implicit-def: $vgpr5
.LBB22_1303:
	s_and_b32 vcc_lo, exec_lo, s14
	s_cbranch_vccz .LBB22_1307
; %bb.1304:
	s_cmp_eq_u32 s0, 44
	s_cbranch_scc0 .LBB22_1306
; %bb.1305:
	global_load_ubyte v5, v[0:1], off
	s_mov_b32 s5, 0
	s_mov_b32 s13, -1
	s_waitcnt vmcnt(0)
	v_lshlrev_b32_e32 v7, 23, v5
	v_cmp_ne_u32_e32 vcc_lo, 0xff, v5
	v_cvt_f16_f32_e32 v7, v7
	v_cndmask_b32_e32 v7, 0x7e00, v7, vcc_lo
	v_cmp_ne_u32_e32 vcc_lo, 0, v5
	v_cndmask_b32_e32 v5, 0, v7, vcc_lo
	s_branch .LBB22_1307
.LBB22_1306:
	s_mov_b32 s5, -1
                                        ; implicit-def: $vgpr5
.LBB22_1307:
	s_mov_b32 s14, 0
.LBB22_1308:
	s_and_b32 vcc_lo, exec_lo, s14
	s_cbranch_vccz .LBB22_1312
; %bb.1309:
	s_cmp_eq_u32 s0, 29
	s_cbranch_scc0 .LBB22_1311
; %bb.1310:
	global_load_dwordx2 v[7:8], v[0:1], off
	s_mov_b32 s5, 0
	s_mov_b32 s13, -1
	s_mov_b32 s14, 0
	s_waitcnt vmcnt(0)
	v_ffbh_u32_e32 v5, v8
	v_min_u32_e32 v5, 32, v5
	v_lshlrev_b64 v[7:8], v5, v[7:8]
	v_sub_nc_u32_e32 v5, 32, v5
	v_min_u32_e32 v7, 1, v7
	v_or_b32_e32 v7, v8, v7
	v_cvt_f32_u32_e32 v7, v7
	v_ldexp_f32 v5, v7, v5
	v_cvt_f16_f32_e32 v5, v5
	s_branch .LBB22_1313
.LBB22_1311:
	s_mov_b32 s5, -1
                                        ; implicit-def: $vgpr5
.LBB22_1312:
	s_mov_b32 s14, 0
.LBB22_1313:
	s_and_b32 vcc_lo, exec_lo, s14
	s_cbranch_vccz .LBB22_1331
; %bb.1314:
	s_cmp_lt_i32 s0, 27
	s_cbranch_scc1 .LBB22_1317
; %bb.1315:
	s_cmp_gt_i32 s0, 27
	s_cbranch_scc0 .LBB22_1318
; %bb.1316:
	global_load_dword v5, v[0:1], off
	s_mov_b32 s13, 0
	s_waitcnt vmcnt(0)
	v_cvt_f32_u32_e32 v5, v5
	v_cvt_f16_f32_e32 v5, v5
	s_branch .LBB22_1319
.LBB22_1317:
	s_mov_b32 s13, -1
                                        ; implicit-def: $vgpr5
	s_branch .LBB22_1322
.LBB22_1318:
	s_mov_b32 s13, -1
                                        ; implicit-def: $vgpr5
.LBB22_1319:
	s_andn2_b32 vcc_lo, exec_lo, s13
	s_cbranch_vccnz .LBB22_1321
; %bb.1320:
	global_load_ushort v5, v[0:1], off
	s_waitcnt vmcnt(0)
	v_cvt_f16_u16_e32 v5, v5
.LBB22_1321:
	s_mov_b32 s13, 0
.LBB22_1322:
	s_andn2_b32 vcc_lo, exec_lo, s13
	s_cbranch_vccnz .LBB22_1330
; %bb.1323:
	global_load_ubyte v7, v[0:1], off
	s_mov_b32 s13, 0
	s_mov_b32 s14, exec_lo
	s_waitcnt vmcnt(0)
	v_cmpx_lt_i16_e32 0x7f, v7
	s_xor_b32 s14, exec_lo, s14
	s_cbranch_execz .LBB22_1344
; %bb.1324:
	s_mov_b32 s13, -1
	s_mov_b32 s15, exec_lo
	v_cmpx_eq_u16_e32 0x80, v7
; %bb.1325:
	s_xor_b32 s13, exec_lo, -1
; %bb.1326:
	s_or_b32 exec_lo, exec_lo, s15
	s_and_b32 s13, s13, exec_lo
	s_or_saveexec_b32 s14, s14
	v_mov_b32_e32 v5, 0x7e00
	s_xor_b32 exec_lo, exec_lo, s14
	s_cbranch_execnz .LBB22_1345
.LBB22_1327:
	s_or_b32 exec_lo, exec_lo, s14
	s_and_saveexec_b32 s14, s13
	s_cbranch_execz .LBB22_1329
.LBB22_1328:
	v_and_b32_e32 v5, 0xffff, v7
	v_lshlrev_b32_e32 v7, 24, v7
	v_and_b32_e32 v8, 7, v5
	v_bfe_u32 v11, v5, 3, 4
	v_and_b32_e32 v7, 0x80000000, v7
	v_ffbh_u32_e32 v9, v8
	v_cmp_eq_u32_e32 vcc_lo, 0, v11
	v_min_u32_e32 v9, 32, v9
	v_subrev_nc_u32_e32 v10, 28, v9
	v_sub_nc_u32_e32 v9, 29, v9
	v_lshlrev_b32_e32 v5, v10, v5
	v_cndmask_b32_e32 v9, v11, v9, vcc_lo
	v_and_b32_e32 v5, 7, v5
	v_cndmask_b32_e32 v5, v8, v5, vcc_lo
	v_lshl_add_u32 v8, v9, 23, 0x3b800000
	v_lshlrev_b32_e32 v5, 20, v5
	v_or3_b32 v5, v7, v8, v5
	v_cvt_f16_f32_e32 v5, v5
.LBB22_1329:
	s_or_b32 exec_lo, exec_lo, s14
.LBB22_1330:
	s_mov_b32 s13, -1
.LBB22_1331:
	s_mov_b32 s14, 0
.LBB22_1332:
	s_and_b32 vcc_lo, exec_lo, s14
	s_cbranch_vccz .LBB22_1365
; %bb.1333:
	s_cmp_gt_i32 s0, 22
	s_cbranch_scc0 .LBB22_1343
; %bb.1334:
	s_cmp_lt_i32 s0, 24
	s_cbranch_scc1 .LBB22_1346
; %bb.1335:
	s_cmp_gt_i32 s0, 24
	s_cbranch_scc0 .LBB22_1347
; %bb.1336:
	global_load_ubyte v7, v[0:1], off
	s_mov_b32 s13, exec_lo
	s_waitcnt vmcnt(0)
	v_cmpx_lt_i16_e32 0x7f, v7
	s_xor_b32 s13, exec_lo, s13
	s_cbranch_execz .LBB22_1359
; %bb.1337:
	s_mov_b32 s12, -1
	s_mov_b32 s14, exec_lo
	v_cmpx_eq_u16_e32 0x80, v7
; %bb.1338:
	s_xor_b32 s12, exec_lo, -1
; %bb.1339:
	s_or_b32 exec_lo, exec_lo, s14
	s_and_b32 s12, s12, exec_lo
	s_or_saveexec_b32 s13, s13
	v_mov_b32_e32 v5, 0x7e00
	s_xor_b32 exec_lo, exec_lo, s13
	s_cbranch_execnz .LBB22_1360
.LBB22_1340:
	s_or_b32 exec_lo, exec_lo, s13
	s_and_saveexec_b32 s13, s12
	s_cbranch_execz .LBB22_1342
.LBB22_1341:
	v_and_b32_e32 v5, 0xffff, v7
	v_lshlrev_b32_e32 v7, 24, v7
	v_and_b32_e32 v8, 3, v5
	v_bfe_u32 v11, v5, 2, 5
	v_and_b32_e32 v7, 0x80000000, v7
	v_ffbh_u32_e32 v9, v8
	v_cmp_eq_u32_e32 vcc_lo, 0, v11
	v_min_u32_e32 v9, 32, v9
	v_subrev_nc_u32_e32 v10, 29, v9
	v_sub_nc_u32_e32 v9, 30, v9
	v_lshlrev_b32_e32 v5, v10, v5
	v_cndmask_b32_e32 v9, v11, v9, vcc_lo
	v_and_b32_e32 v5, 3, v5
	v_cndmask_b32_e32 v5, v8, v5, vcc_lo
	v_lshl_add_u32 v8, v9, 23, 0x37800000
	v_lshlrev_b32_e32 v5, 21, v5
	v_or3_b32 v5, v7, v8, v5
	v_cvt_f16_f32_e32 v5, v5
.LBB22_1342:
	s_or_b32 exec_lo, exec_lo, s13
	s_mov_b32 s12, 0
	s_branch .LBB22_1348
.LBB22_1343:
	s_mov_b32 s12, -1
                                        ; implicit-def: $vgpr5
	s_branch .LBB22_1354
.LBB22_1344:
	s_or_saveexec_b32 s14, s14
	v_mov_b32_e32 v5, 0x7e00
	s_xor_b32 exec_lo, exec_lo, s14
	s_cbranch_execz .LBB22_1327
.LBB22_1345:
	v_cmp_ne_u16_e32 vcc_lo, 0, v7
	v_mov_b32_e32 v5, v7
	s_andn2_b32 s13, s13, exec_lo
	s_and_b32 s15, vcc_lo, exec_lo
	s_or_b32 s13, s13, s15
	s_or_b32 exec_lo, exec_lo, s14
	s_and_saveexec_b32 s14, s13
	s_cbranch_execnz .LBB22_1328
	s_branch .LBB22_1329
.LBB22_1346:
	s_mov_b32 s12, -1
                                        ; implicit-def: $vgpr5
	s_branch .LBB22_1351
.LBB22_1347:
	s_mov_b32 s12, -1
                                        ; implicit-def: $vgpr5
.LBB22_1348:
	s_and_b32 vcc_lo, exec_lo, s12
	s_cbranch_vccz .LBB22_1350
; %bb.1349:
	global_load_ubyte v5, v[0:1], off
	s_waitcnt vmcnt(0)
	v_lshlrev_b32_e32 v5, 24, v5
	v_and_b32_e32 v7, 0x7f000000, v5
	v_ffbh_u32_e32 v8, v7
	v_add_nc_u32_e32 v10, 0x1000000, v7
	v_cmp_ne_u32_e32 vcc_lo, 0, v7
	v_min_u32_e32 v8, 32, v8
	v_sub_nc_u32_e64 v8, v8, 4 clamp
	v_lshlrev_b32_e32 v9, v8, v7
	v_lshlrev_b32_e32 v8, 23, v8
	v_lshrrev_b32_e32 v9, 4, v9
	v_sub_nc_u32_e32 v8, v9, v8
	v_ashrrev_i32_e32 v9, 8, v10
	v_add_nc_u32_e32 v8, 0x3c000000, v8
	v_and_or_b32 v8, 0x7f800000, v9, v8
	v_cndmask_b32_e32 v7, 0, v8, vcc_lo
	v_and_or_b32 v5, 0x80000000, v5, v7
	v_cvt_f16_f32_e32 v5, v5
.LBB22_1350:
	s_mov_b32 s12, 0
.LBB22_1351:
	s_andn2_b32 vcc_lo, exec_lo, s12
	s_cbranch_vccnz .LBB22_1353
; %bb.1352:
	global_load_ubyte v5, v[0:1], off
	s_waitcnt vmcnt(0)
	v_lshlrev_b32_e32 v7, 25, v5
	v_lshlrev_b16 v5, 8, v5
	v_lshrrev_b32_e32 v8, 4, v7
	v_and_or_b32 v9, 0x7f00, v5, 0.5
	v_cmp_gt_u32_e32 vcc_lo, 0x8000000, v7
	v_bfe_i32 v5, v5, 0, 16
	v_or_b32_e32 v8, 0x70000000, v8
	v_add_f32_e32 v9, -0.5, v9
	v_mul_f32_e32 v8, 0x7800000, v8
	v_cndmask_b32_e32 v7, v8, v9, vcc_lo
	v_and_or_b32 v5, 0x80000000, v5, v7
	v_cvt_f16_f32_e32 v5, v5
.LBB22_1353:
	s_mov_b32 s12, 0
	s_mov_b32 s13, -1
.LBB22_1354:
	s_andn2_b32 vcc_lo, exec_lo, s12
	s_mov_b32 s12, 0
	s_cbranch_vccnz .LBB22_1365
; %bb.1355:
	s_cmp_gt_i32 s0, 14
	s_cbranch_scc0 .LBB22_1358
; %bb.1356:
	s_cmp_eq_u32 s0, 15
	s_cbranch_scc0 .LBB22_1361
; %bb.1357:
	global_load_ushort v5, v[0:1], off
	s_mov_b32 s5, 0
	s_mov_b32 s13, -1
	s_waitcnt vmcnt(0)
	v_lshlrev_b32_e32 v5, 16, v5
	v_cvt_f16_f32_e32 v5, v5
	s_branch .LBB22_1363
.LBB22_1358:
	s_mov_b32 s12, -1
	s_branch .LBB22_1362
.LBB22_1359:
	s_or_saveexec_b32 s13, s13
	v_mov_b32_e32 v5, 0x7e00
	s_xor_b32 exec_lo, exec_lo, s13
	s_cbranch_execz .LBB22_1340
.LBB22_1360:
	v_cmp_ne_u16_e32 vcc_lo, 0, v7
	v_mov_b32_e32 v5, v7
	s_andn2_b32 s12, s12, exec_lo
	s_and_b32 s14, vcc_lo, exec_lo
	s_or_b32 s12, s12, s14
	s_or_b32 exec_lo, exec_lo, s13
	s_and_saveexec_b32 s13, s12
	s_cbranch_execnz .LBB22_1341
	s_branch .LBB22_1342
.LBB22_1361:
	s_mov_b32 s5, -1
.LBB22_1362:
                                        ; implicit-def: $vgpr5
.LBB22_1363:
	s_and_b32 vcc_lo, exec_lo, s12
	s_mov_b32 s12, 0
	s_cbranch_vccz .LBB22_1365
; %bb.1364:
	s_cmp_lg_u32 s0, 11
	s_mov_b32 s12, -1
	s_cselect_b32 s5, -1, 0
.LBB22_1365:
	s_and_b32 vcc_lo, exec_lo, s5
	s_cbranch_vccnz .LBB22_1428
; %bb.1366:
	s_andn2_b32 vcc_lo, exec_lo, s12
	s_cbranch_vccnz .LBB22_1368
.LBB22_1367:
	global_load_ubyte v5, v[0:1], off
	s_mov_b32 s13, -1
	s_waitcnt vmcnt(0)
	v_cmp_ne_u16_e32 vcc_lo, 0, v5
	v_cndmask_b32_e64 v5, 0, 0x3c00, vcc_lo
.LBB22_1368:
	s_branch .LBB22_1295
.LBB22_1369:
	s_cmp_lt_i32 s0, 5
	s_cbranch_scc1 .LBB22_1374
; %bb.1370:
	s_cmp_lt_i32 s0, 8
	s_cbranch_scc1 .LBB22_1375
; %bb.1371:
	;; [unrolled: 3-line block ×3, first 2 shown]
	s_cmp_gt_i32 s0, 9
	s_cbranch_scc0 .LBB22_1377
; %bb.1373:
	global_load_dwordx2 v[7:8], v[0:1], off
	s_mov_b32 s5, 0
	s_waitcnt vmcnt(0)
	v_and_or_b32 v5, 0x1ff, v8, v7
	v_lshrrev_b32_e32 v7, 8, v8
	v_bfe_u32 v9, v8, 20, 11
	v_cmp_ne_u32_e32 vcc_lo, 0, v5
	v_sub_nc_u32_e32 v10, 0x3f1, v9
	v_add_nc_u32_e32 v9, 0xfffffc10, v9
	v_cndmask_b32_e64 v5, 0, 1, vcc_lo
	v_and_or_b32 v5, 0xffe, v7, v5
	v_med3_i32 v7, v10, 0, 13
	v_or_b32_e32 v10, 0x1000, v5
	v_lshrrev_b32_e32 v11, v7, v10
	v_lshlrev_b32_e32 v7, v7, v11
	v_cmp_ne_u32_e32 vcc_lo, v7, v10
	v_lshl_or_b32 v10, v9, 12, v5
	v_cndmask_b32_e64 v7, 0, 1, vcc_lo
	v_cmp_gt_i32_e32 vcc_lo, 1, v9
	v_or_b32_e32 v7, v11, v7
	v_cndmask_b32_e32 v7, v10, v7, vcc_lo
	v_and_b32_e32 v10, 7, v7
	v_lshrrev_b32_e32 v7, 2, v7
	v_cmp_lt_i32_e32 vcc_lo, 5, v10
	v_cndmask_b32_e64 v11, 0, 1, vcc_lo
	v_cmp_eq_u32_e32 vcc_lo, 3, v10
	v_cndmask_b32_e64 v10, 0, 1, vcc_lo
	v_cmp_ne_u32_e32 vcc_lo, 0, v5
	v_or_b32_e32 v10, v10, v11
	v_mov_b32_e32 v11, 0x7e00
	v_add_nc_u32_e32 v7, v7, v10
	v_cndmask_b32_e32 v5, 0x7c00, v11, vcc_lo
	v_cmp_gt_i32_e32 vcc_lo, 31, v9
	v_cndmask_b32_e32 v7, 0x7c00, v7, vcc_lo
	v_cmp_eq_u32_e32 vcc_lo, 0x40f, v9
	v_cndmask_b32_e32 v5, v7, v5, vcc_lo
	v_lshrrev_b32_e32 v7, 16, v8
	v_and_or_b32 v5, 0x8000, v7, v5
	s_branch .LBB22_1378
.LBB22_1374:
	s_mov_b32 s5, -1
                                        ; implicit-def: $vgpr5
	s_branch .LBB22_1396
.LBB22_1375:
	s_mov_b32 s5, -1
                                        ; implicit-def: $vgpr5
	s_branch .LBB22_1384
.LBB22_1376:
	s_mov_b32 s5, -1
                                        ; implicit-def: $vgpr5
	s_branch .LBB22_1381
.LBB22_1377:
	s_mov_b32 s5, -1
                                        ; implicit-def: $vgpr5
.LBB22_1378:
	s_andn2_b32 vcc_lo, exec_lo, s5
	s_cbranch_vccnz .LBB22_1380
; %bb.1379:
	global_load_dword v5, v[0:1], off
	s_waitcnt vmcnt(0)
	v_cvt_f16_f32_e32 v5, v5
.LBB22_1380:
	s_mov_b32 s5, 0
.LBB22_1381:
	s_andn2_b32 vcc_lo, exec_lo, s5
	s_cbranch_vccnz .LBB22_1383
; %bb.1382:
	global_load_dword v5, v[0:1], off
.LBB22_1383:
	s_mov_b32 s5, 0
.LBB22_1384:
	s_andn2_b32 vcc_lo, exec_lo, s5
	s_cbranch_vccnz .LBB22_1395
; %bb.1385:
	s_cmp_lt_i32 s0, 6
	s_cbranch_scc1 .LBB22_1388
; %bb.1386:
	s_cmp_gt_i32 s0, 6
	s_cbranch_scc0 .LBB22_1389
; %bb.1387:
	global_load_dwordx2 v[7:8], v[0:1], off
	s_mov_b32 s5, 0
	s_waitcnt vmcnt(0)
	v_and_or_b32 v5, 0x1ff, v8, v7
	v_lshrrev_b32_e32 v7, 8, v8
	v_bfe_u32 v9, v8, 20, 11
	v_cmp_ne_u32_e32 vcc_lo, 0, v5
	v_sub_nc_u32_e32 v10, 0x3f1, v9
	v_add_nc_u32_e32 v9, 0xfffffc10, v9
	v_cndmask_b32_e64 v5, 0, 1, vcc_lo
	v_and_or_b32 v5, 0xffe, v7, v5
	v_med3_i32 v7, v10, 0, 13
	v_or_b32_e32 v10, 0x1000, v5
	v_lshrrev_b32_e32 v11, v7, v10
	v_lshlrev_b32_e32 v7, v7, v11
	v_cmp_ne_u32_e32 vcc_lo, v7, v10
	v_lshl_or_b32 v10, v9, 12, v5
	v_cndmask_b32_e64 v7, 0, 1, vcc_lo
	v_cmp_gt_i32_e32 vcc_lo, 1, v9
	v_or_b32_e32 v7, v11, v7
	v_cndmask_b32_e32 v7, v10, v7, vcc_lo
	v_and_b32_e32 v10, 7, v7
	v_lshrrev_b32_e32 v7, 2, v7
	v_cmp_lt_i32_e32 vcc_lo, 5, v10
	v_cndmask_b32_e64 v11, 0, 1, vcc_lo
	v_cmp_eq_u32_e32 vcc_lo, 3, v10
	v_cndmask_b32_e64 v10, 0, 1, vcc_lo
	v_cmp_ne_u32_e32 vcc_lo, 0, v5
	v_or_b32_e32 v10, v10, v11
	v_mov_b32_e32 v11, 0x7e00
	v_add_nc_u32_e32 v7, v7, v10
	v_cndmask_b32_e32 v5, 0x7c00, v11, vcc_lo
	v_cmp_gt_i32_e32 vcc_lo, 31, v9
	v_cndmask_b32_e32 v7, 0x7c00, v7, vcc_lo
	v_cmp_eq_u32_e32 vcc_lo, 0x40f, v9
	v_cndmask_b32_e32 v5, v7, v5, vcc_lo
	v_lshrrev_b32_e32 v7, 16, v8
	v_and_or_b32 v5, 0x8000, v7, v5
	s_branch .LBB22_1390
.LBB22_1388:
	s_mov_b32 s5, -1
                                        ; implicit-def: $vgpr5
	s_branch .LBB22_1393
.LBB22_1389:
	s_mov_b32 s5, -1
                                        ; implicit-def: $vgpr5
.LBB22_1390:
	s_andn2_b32 vcc_lo, exec_lo, s5
	s_cbranch_vccnz .LBB22_1392
; %bb.1391:
	global_load_dword v5, v[0:1], off
	s_waitcnt vmcnt(0)
	v_cvt_f16_f32_e32 v5, v5
.LBB22_1392:
	s_mov_b32 s5, 0
.LBB22_1393:
	s_andn2_b32 vcc_lo, exec_lo, s5
	s_cbranch_vccnz .LBB22_1395
; %bb.1394:
	global_load_ushort v5, v[0:1], off
.LBB22_1395:
	s_mov_b32 s5, 0
.LBB22_1396:
	s_andn2_b32 vcc_lo, exec_lo, s5
	s_cbranch_vccnz .LBB22_1416
; %bb.1397:
	s_cmp_lt_i32 s0, 2
	s_cbranch_scc1 .LBB22_1401
; %bb.1398:
	s_cmp_lt_i32 s0, 3
	s_cbranch_scc1 .LBB22_1402
; %bb.1399:
	s_cmp_gt_i32 s0, 3
	s_cbranch_scc0 .LBB22_1403
; %bb.1400:
	global_load_dwordx2 v[7:8], v[0:1], off
	s_mov_b32 s5, 0
	s_waitcnt vmcnt(0)
	v_xor_b32_e32 v5, v7, v8
	v_ffbh_i32_e32 v9, v8
	v_ashrrev_i32_e32 v5, 31, v5
	v_add_nc_u32_e32 v9, -1, v9
	v_add_nc_u32_e32 v5, 32, v5
	v_min_u32_e32 v5, v9, v5
	v_lshlrev_b64 v[7:8], v5, v[7:8]
	v_sub_nc_u32_e32 v5, 32, v5
	v_min_u32_e32 v7, 1, v7
	v_or_b32_e32 v7, v8, v7
	v_cvt_f32_i32_e32 v7, v7
	v_ldexp_f32 v5, v7, v5
	v_cvt_f16_f32_e32 v5, v5
	s_branch .LBB22_1404
.LBB22_1401:
	s_mov_b32 s5, -1
                                        ; implicit-def: $vgpr5
	s_branch .LBB22_1410
.LBB22_1402:
	s_mov_b32 s5, -1
                                        ; implicit-def: $vgpr5
	s_branch .LBB22_1407
.LBB22_1403:
	s_mov_b32 s5, -1
                                        ; implicit-def: $vgpr5
.LBB22_1404:
	s_andn2_b32 vcc_lo, exec_lo, s5
	s_cbranch_vccnz .LBB22_1406
; %bb.1405:
	global_load_dword v5, v[0:1], off
	s_waitcnt vmcnt(0)
	v_cvt_f32_i32_e32 v5, v5
	v_cvt_f16_f32_e32 v5, v5
.LBB22_1406:
	s_mov_b32 s5, 0
.LBB22_1407:
	s_andn2_b32 vcc_lo, exec_lo, s5
	s_cbranch_vccnz .LBB22_1409
; %bb.1408:
	global_load_ushort v5, v[0:1], off
	s_waitcnt vmcnt(0)
	v_cvt_f16_i16_e32 v5, v5
.LBB22_1409:
	s_mov_b32 s5, 0
.LBB22_1410:
	s_andn2_b32 vcc_lo, exec_lo, s5
	s_cbranch_vccnz .LBB22_1416
; %bb.1411:
	s_cmp_gt_i32 s0, 0
	s_mov_b32 s5, 0
	s_cbranch_scc0 .LBB22_1413
; %bb.1412:
	global_load_sbyte v5, v[0:1], off
	s_waitcnt vmcnt(0)
	v_cvt_f16_i16_e32 v5, v5
	s_branch .LBB22_1414
.LBB22_1413:
	s_mov_b32 s5, -1
                                        ; implicit-def: $vgpr5
.LBB22_1414:
	s_andn2_b32 vcc_lo, exec_lo, s5
	s_cbranch_vccnz .LBB22_1416
; %bb.1415:
	global_load_ubyte v0, v[0:1], off
	s_waitcnt vmcnt(0)
	v_cvt_f16_u16_e32 v5, v0
.LBB22_1416:
.LBB22_1417:
	v_add_nc_u32_e32 v0, s3, v6
	s_cmp_lt_i32 s0, 11
	v_ashrrev_i32_e32 v1, 31, v0
	v_add_co_u32 v0, vcc_lo, s10, v0
	v_add_co_ci_u32_e64 v1, null, s11, v1, vcc_lo
	s_cbranch_scc1 .LBB22_1424
; %bb.1418:
	s_cmp_gt_i32 s0, 25
	s_mov_b32 s5, 0
	s_cbranch_scc0 .LBB22_1425
; %bb.1419:
	s_cmp_gt_i32 s0, 28
	s_cbranch_scc0 .LBB22_1426
; %bb.1420:
	s_cmp_gt_i32 s0, 43
	;; [unrolled: 3-line block ×3, first 2 shown]
	s_cbranch_scc0 .LBB22_1429
; %bb.1422:
	s_cmp_eq_u32 s0, 46
	s_mov_b32 s11, 0
	s_cbranch_scc0 .LBB22_1430
; %bb.1423:
	global_load_dword v6, v[0:1], off
	s_mov_b32 s3, 0
	s_mov_b32 s10, -1
	s_waitcnt vmcnt(0)
	v_lshlrev_b32_e32 v6, 16, v6
	v_cvt_f16_f32_e32 v6, v6
	s_branch .LBB22_1432
.LBB22_1424:
	s_mov_b32 s3, -1
	s_mov_b32 s10, 0
                                        ; implicit-def: $vgpr6
	s_branch .LBB22_1498
.LBB22_1425:
	s_mov_b32 s11, -1
	s_mov_b32 s10, 0
	s_mov_b32 s3, 0
                                        ; implicit-def: $vgpr6
	s_branch .LBB22_1461
.LBB22_1426:
	s_mov_b32 s11, -1
	s_mov_b32 s10, 0
	s_mov_b32 s3, 0
                                        ; implicit-def: $vgpr6
	s_branch .LBB22_1442
.LBB22_1427:
	s_mov_b32 s11, -1
	s_mov_b32 s10, 0
	s_mov_b32 s3, 0
                                        ; implicit-def: $vgpr6
	s_branch .LBB22_1437
.LBB22_1428:
	s_or_b32 s4, s4, exec_lo
	s_trap 2
	s_cbranch_execz .LBB22_1367
	s_branch .LBB22_1368
.LBB22_1429:
	s_mov_b32 s11, -1
	s_mov_b32 s10, 0
	s_mov_b32 s3, 0
	s_branch .LBB22_1431
.LBB22_1430:
	s_mov_b32 s3, -1
	s_mov_b32 s10, 0
.LBB22_1431:
                                        ; implicit-def: $vgpr6
.LBB22_1432:
	s_and_b32 vcc_lo, exec_lo, s11
	s_cbranch_vccz .LBB22_1436
; %bb.1433:
	s_cmp_eq_u32 s0, 44
	s_cbranch_scc0 .LBB22_1435
; %bb.1434:
	global_load_ubyte v6, v[0:1], off
	s_mov_b32 s3, 0
	s_mov_b32 s10, -1
	s_waitcnt vmcnt(0)
	v_lshlrev_b32_e32 v7, 23, v6
	v_cmp_ne_u32_e32 vcc_lo, 0xff, v6
	v_cvt_f16_f32_e32 v7, v7
	v_cndmask_b32_e32 v7, 0x7e00, v7, vcc_lo
	v_cmp_ne_u32_e32 vcc_lo, 0, v6
	v_cndmask_b32_e32 v6, 0, v7, vcc_lo
	s_branch .LBB22_1436
.LBB22_1435:
	s_mov_b32 s3, -1
                                        ; implicit-def: $vgpr6
.LBB22_1436:
	s_mov_b32 s11, 0
.LBB22_1437:
	s_and_b32 vcc_lo, exec_lo, s11
	s_cbranch_vccz .LBB22_1441
; %bb.1438:
	s_cmp_eq_u32 s0, 29
	s_cbranch_scc0 .LBB22_1440
; %bb.1439:
	global_load_dwordx2 v[6:7], v[0:1], off
	s_mov_b32 s3, 0
	s_mov_b32 s10, -1
	s_mov_b32 s11, 0
	s_waitcnt vmcnt(0)
	v_ffbh_u32_e32 v8, v7
	v_min_u32_e32 v8, 32, v8
	v_lshlrev_b64 v[6:7], v8, v[6:7]
	v_min_u32_e32 v6, 1, v6
	v_or_b32_e32 v6, v7, v6
	v_sub_nc_u32_e32 v7, 32, v8
	v_cvt_f32_u32_e32 v6, v6
	v_ldexp_f32 v6, v6, v7
	v_cvt_f16_f32_e32 v6, v6
	s_branch .LBB22_1442
.LBB22_1440:
	s_mov_b32 s3, -1
                                        ; implicit-def: $vgpr6
.LBB22_1441:
	s_mov_b32 s11, 0
.LBB22_1442:
	s_and_b32 vcc_lo, exec_lo, s11
	s_cbranch_vccz .LBB22_1460
; %bb.1443:
	s_cmp_lt_i32 s0, 27
	s_cbranch_scc1 .LBB22_1446
; %bb.1444:
	s_cmp_gt_i32 s0, 27
	s_cbranch_scc0 .LBB22_1447
; %bb.1445:
	global_load_dword v6, v[0:1], off
	s_mov_b32 s10, 0
	s_waitcnt vmcnt(0)
	v_cvt_f32_u32_e32 v6, v6
	v_cvt_f16_f32_e32 v6, v6
	s_branch .LBB22_1448
.LBB22_1446:
	s_mov_b32 s10, -1
                                        ; implicit-def: $vgpr6
	s_branch .LBB22_1451
.LBB22_1447:
	s_mov_b32 s10, -1
                                        ; implicit-def: $vgpr6
.LBB22_1448:
	s_andn2_b32 vcc_lo, exec_lo, s10
	s_cbranch_vccnz .LBB22_1450
; %bb.1449:
	global_load_ushort v6, v[0:1], off
	s_waitcnt vmcnt(0)
	v_cvt_f16_u16_e32 v6, v6
.LBB22_1450:
	s_mov_b32 s10, 0
.LBB22_1451:
	s_andn2_b32 vcc_lo, exec_lo, s10
	s_cbranch_vccnz .LBB22_1459
; %bb.1452:
	global_load_ubyte v7, v[0:1], off
	s_mov_b32 s10, 0
	s_mov_b32 s11, exec_lo
	s_waitcnt vmcnt(0)
	v_cmpx_lt_i16_e32 0x7f, v7
	s_xor_b32 s11, exec_lo, s11
	s_cbranch_execz .LBB22_1473
; %bb.1453:
	s_mov_b32 s10, -1
	s_mov_b32 s12, exec_lo
	v_cmpx_eq_u16_e32 0x80, v7
; %bb.1454:
	s_xor_b32 s10, exec_lo, -1
; %bb.1455:
	s_or_b32 exec_lo, exec_lo, s12
	s_and_b32 s10, s10, exec_lo
	s_or_saveexec_b32 s11, s11
	v_mov_b32_e32 v6, 0x7e00
	s_xor_b32 exec_lo, exec_lo, s11
	s_cbranch_execnz .LBB22_1474
.LBB22_1456:
	s_or_b32 exec_lo, exec_lo, s11
	s_and_saveexec_b32 s11, s10
	s_cbranch_execz .LBB22_1458
.LBB22_1457:
	v_and_b32_e32 v6, 0xffff, v7
	v_lshlrev_b32_e32 v7, 24, v7
	v_and_b32_e32 v8, 7, v6
	v_bfe_u32 v11, v6, 3, 4
	v_and_b32_e32 v7, 0x80000000, v7
	v_ffbh_u32_e32 v9, v8
	v_cmp_eq_u32_e32 vcc_lo, 0, v11
	v_min_u32_e32 v9, 32, v9
	v_subrev_nc_u32_e32 v10, 28, v9
	v_sub_nc_u32_e32 v9, 29, v9
	v_lshlrev_b32_e32 v6, v10, v6
	v_cndmask_b32_e32 v9, v11, v9, vcc_lo
	v_and_b32_e32 v6, 7, v6
	v_cndmask_b32_e32 v6, v8, v6, vcc_lo
	v_lshl_add_u32 v8, v9, 23, 0x3b800000
	v_lshlrev_b32_e32 v6, 20, v6
	v_or3_b32 v6, v7, v8, v6
	v_cvt_f16_f32_e32 v6, v6
.LBB22_1458:
	s_or_b32 exec_lo, exec_lo, s11
.LBB22_1459:
	s_mov_b32 s10, -1
.LBB22_1460:
	s_mov_b32 s11, 0
.LBB22_1461:
	s_and_b32 vcc_lo, exec_lo, s11
	s_cbranch_vccz .LBB22_1494
; %bb.1462:
	s_cmp_gt_i32 s0, 22
	s_cbranch_scc0 .LBB22_1472
; %bb.1463:
	s_cmp_lt_i32 s0, 24
	s_cbranch_scc1 .LBB22_1475
; %bb.1464:
	s_cmp_gt_i32 s0, 24
	s_cbranch_scc0 .LBB22_1476
; %bb.1465:
	global_load_ubyte v7, v[0:1], off
	s_mov_b32 s10, exec_lo
	s_waitcnt vmcnt(0)
	v_cmpx_lt_i16_e32 0x7f, v7
	s_xor_b32 s10, exec_lo, s10
	s_cbranch_execz .LBB22_1488
; %bb.1466:
	s_mov_b32 s5, -1
	s_mov_b32 s11, exec_lo
	v_cmpx_eq_u16_e32 0x80, v7
; %bb.1467:
	s_xor_b32 s5, exec_lo, -1
; %bb.1468:
	s_or_b32 exec_lo, exec_lo, s11
	s_and_b32 s5, s5, exec_lo
	s_or_saveexec_b32 s10, s10
	v_mov_b32_e32 v6, 0x7e00
	s_xor_b32 exec_lo, exec_lo, s10
	s_cbranch_execnz .LBB22_1489
.LBB22_1469:
	s_or_b32 exec_lo, exec_lo, s10
	s_and_saveexec_b32 s10, s5
	s_cbranch_execz .LBB22_1471
.LBB22_1470:
	v_and_b32_e32 v6, 0xffff, v7
	v_lshlrev_b32_e32 v7, 24, v7
	v_and_b32_e32 v8, 3, v6
	v_bfe_u32 v11, v6, 2, 5
	v_and_b32_e32 v7, 0x80000000, v7
	v_ffbh_u32_e32 v9, v8
	v_cmp_eq_u32_e32 vcc_lo, 0, v11
	v_min_u32_e32 v9, 32, v9
	v_subrev_nc_u32_e32 v10, 29, v9
	v_sub_nc_u32_e32 v9, 30, v9
	v_lshlrev_b32_e32 v6, v10, v6
	v_cndmask_b32_e32 v9, v11, v9, vcc_lo
	v_and_b32_e32 v6, 3, v6
	v_cndmask_b32_e32 v6, v8, v6, vcc_lo
	v_lshl_add_u32 v8, v9, 23, 0x37800000
	v_lshlrev_b32_e32 v6, 21, v6
	v_or3_b32 v6, v7, v8, v6
	v_cvt_f16_f32_e32 v6, v6
.LBB22_1471:
	s_or_b32 exec_lo, exec_lo, s10
	s_mov_b32 s5, 0
	s_branch .LBB22_1477
.LBB22_1472:
	s_mov_b32 s5, -1
                                        ; implicit-def: $vgpr6
	s_branch .LBB22_1483
.LBB22_1473:
	s_or_saveexec_b32 s11, s11
	v_mov_b32_e32 v6, 0x7e00
	s_xor_b32 exec_lo, exec_lo, s11
	s_cbranch_execz .LBB22_1456
.LBB22_1474:
	v_cmp_ne_u16_e32 vcc_lo, 0, v7
	v_mov_b32_e32 v6, v7
	s_andn2_b32 s10, s10, exec_lo
	s_and_b32 s12, vcc_lo, exec_lo
	s_or_b32 s10, s10, s12
	s_or_b32 exec_lo, exec_lo, s11
	s_and_saveexec_b32 s11, s10
	s_cbranch_execnz .LBB22_1457
	s_branch .LBB22_1458
.LBB22_1475:
	s_mov_b32 s5, -1
                                        ; implicit-def: $vgpr6
	s_branch .LBB22_1480
.LBB22_1476:
	s_mov_b32 s5, -1
                                        ; implicit-def: $vgpr6
.LBB22_1477:
	s_and_b32 vcc_lo, exec_lo, s5
	s_cbranch_vccz .LBB22_1479
; %bb.1478:
	global_load_ubyte v6, v[0:1], off
	s_waitcnt vmcnt(0)
	v_lshlrev_b32_e32 v6, 24, v6
	v_and_b32_e32 v7, 0x7f000000, v6
	v_ffbh_u32_e32 v8, v7
	v_add_nc_u32_e32 v10, 0x1000000, v7
	v_cmp_ne_u32_e32 vcc_lo, 0, v7
	v_min_u32_e32 v8, 32, v8
	v_sub_nc_u32_e64 v8, v8, 4 clamp
	v_lshlrev_b32_e32 v9, v8, v7
	v_lshlrev_b32_e32 v8, 23, v8
	v_lshrrev_b32_e32 v9, 4, v9
	v_sub_nc_u32_e32 v8, v9, v8
	v_ashrrev_i32_e32 v9, 8, v10
	v_add_nc_u32_e32 v8, 0x3c000000, v8
	v_and_or_b32 v8, 0x7f800000, v9, v8
	v_cndmask_b32_e32 v7, 0, v8, vcc_lo
	v_and_or_b32 v6, 0x80000000, v6, v7
	v_cvt_f16_f32_e32 v6, v6
.LBB22_1479:
	s_mov_b32 s5, 0
.LBB22_1480:
	s_andn2_b32 vcc_lo, exec_lo, s5
	s_cbranch_vccnz .LBB22_1482
; %bb.1481:
	global_load_ubyte v6, v[0:1], off
	s_waitcnt vmcnt(0)
	v_lshlrev_b32_e32 v7, 25, v6
	v_lshlrev_b16 v6, 8, v6
	v_lshrrev_b32_e32 v8, 4, v7
	v_and_or_b32 v9, 0x7f00, v6, 0.5
	v_cmp_gt_u32_e32 vcc_lo, 0x8000000, v7
	v_bfe_i32 v6, v6, 0, 16
	v_or_b32_e32 v8, 0x70000000, v8
	v_add_f32_e32 v9, -0.5, v9
	v_mul_f32_e32 v8, 0x7800000, v8
	v_cndmask_b32_e32 v7, v8, v9, vcc_lo
	v_and_or_b32 v6, 0x80000000, v6, v7
	v_cvt_f16_f32_e32 v6, v6
.LBB22_1482:
	s_mov_b32 s5, 0
	s_mov_b32 s10, -1
.LBB22_1483:
	s_andn2_b32 vcc_lo, exec_lo, s5
	s_mov_b32 s5, 0
	s_cbranch_vccnz .LBB22_1494
; %bb.1484:
	s_cmp_gt_i32 s0, 14
	s_cbranch_scc0 .LBB22_1487
; %bb.1485:
	s_cmp_eq_u32 s0, 15
	s_cbranch_scc0 .LBB22_1490
; %bb.1486:
	global_load_ushort v6, v[0:1], off
	s_mov_b32 s3, 0
	s_mov_b32 s10, -1
	s_waitcnt vmcnt(0)
	v_lshlrev_b32_e32 v6, 16, v6
	v_cvt_f16_f32_e32 v6, v6
	s_branch .LBB22_1492
.LBB22_1487:
	s_mov_b32 s5, -1
	s_branch .LBB22_1491
.LBB22_1488:
	s_or_saveexec_b32 s10, s10
	v_mov_b32_e32 v6, 0x7e00
	s_xor_b32 exec_lo, exec_lo, s10
	s_cbranch_execz .LBB22_1469
.LBB22_1489:
	v_cmp_ne_u16_e32 vcc_lo, 0, v7
	v_mov_b32_e32 v6, v7
	s_andn2_b32 s5, s5, exec_lo
	s_and_b32 s11, vcc_lo, exec_lo
	s_or_b32 s5, s5, s11
	s_or_b32 exec_lo, exec_lo, s10
	s_and_saveexec_b32 s10, s5
	s_cbranch_execnz .LBB22_1470
	s_branch .LBB22_1471
.LBB22_1490:
	s_mov_b32 s3, -1
.LBB22_1491:
                                        ; implicit-def: $vgpr6
.LBB22_1492:
	s_and_b32 vcc_lo, exec_lo, s5
	s_mov_b32 s5, 0
	s_cbranch_vccz .LBB22_1494
; %bb.1493:
	s_cmp_lg_u32 s0, 11
	s_mov_b32 s5, -1
	s_cselect_b32 s3, -1, 0
.LBB22_1494:
	s_and_b32 vcc_lo, exec_lo, s3
	s_cbranch_vccnz .LBB22_2027
; %bb.1495:
	s_andn2_b32 vcc_lo, exec_lo, s5
	s_cbranch_vccnz .LBB22_1497
.LBB22_1496:
	global_load_ubyte v6, v[0:1], off
	s_mov_b32 s10, -1
	s_waitcnt vmcnt(0)
	v_cmp_ne_u16_e32 vcc_lo, 0, v6
	v_cndmask_b32_e64 v6, 0, 0x3c00, vcc_lo
.LBB22_1497:
	s_mov_b32 s3, 0
.LBB22_1498:
	s_and_b32 vcc_lo, exec_lo, s3
	s_cbranch_vccz .LBB22_1547
; %bb.1499:
	s_cmp_lt_i32 s0, 5
	s_cbranch_scc1 .LBB22_1504
; %bb.1500:
	s_cmp_lt_i32 s0, 8
	s_cbranch_scc1 .LBB22_1505
	;; [unrolled: 3-line block ×3, first 2 shown]
; %bb.1502:
	s_cmp_gt_i32 s0, 9
	s_cbranch_scc0 .LBB22_1507
; %bb.1503:
	global_load_dwordx2 v[6:7], v[0:1], off
	s_mov_b32 s3, 0
	s_waitcnt vmcnt(0)
	v_and_or_b32 v6, 0x1ff, v7, v6
	v_lshrrev_b32_e32 v8, 8, v7
	v_bfe_u32 v9, v7, 20, 11
	v_lshrrev_b32_e32 v7, 16, v7
	v_cmp_ne_u32_e32 vcc_lo, 0, v6
	v_sub_nc_u32_e32 v10, 0x3f1, v9
	v_add_nc_u32_e32 v9, 0xfffffc10, v9
	v_cndmask_b32_e64 v6, 0, 1, vcc_lo
	v_and_or_b32 v6, 0xffe, v8, v6
	v_med3_i32 v8, v10, 0, 13
	v_or_b32_e32 v10, 0x1000, v6
	v_lshrrev_b32_e32 v11, v8, v10
	v_lshlrev_b32_e32 v8, v8, v11
	v_cmp_ne_u32_e32 vcc_lo, v8, v10
	v_lshl_or_b32 v10, v9, 12, v6
	v_cndmask_b32_e64 v8, 0, 1, vcc_lo
	v_cmp_gt_i32_e32 vcc_lo, 1, v9
	v_or_b32_e32 v8, v11, v8
	v_cndmask_b32_e32 v8, v10, v8, vcc_lo
	v_and_b32_e32 v10, 7, v8
	v_lshrrev_b32_e32 v8, 2, v8
	v_cmp_lt_i32_e32 vcc_lo, 5, v10
	v_cndmask_b32_e64 v11, 0, 1, vcc_lo
	v_cmp_eq_u32_e32 vcc_lo, 3, v10
	v_cndmask_b32_e64 v10, 0, 1, vcc_lo
	v_cmp_ne_u32_e32 vcc_lo, 0, v6
	v_or_b32_e32 v10, v10, v11
	v_mov_b32_e32 v11, 0x7e00
	v_add_nc_u32_e32 v8, v8, v10
	v_cndmask_b32_e32 v6, 0x7c00, v11, vcc_lo
	v_cmp_gt_i32_e32 vcc_lo, 31, v9
	v_cndmask_b32_e32 v8, 0x7c00, v8, vcc_lo
	v_cmp_eq_u32_e32 vcc_lo, 0x40f, v9
	v_cndmask_b32_e32 v6, v8, v6, vcc_lo
	v_and_or_b32 v6, 0x8000, v7, v6
	s_branch .LBB22_1508
.LBB22_1504:
	s_mov_b32 s3, -1
                                        ; implicit-def: $vgpr6
	s_branch .LBB22_1526
.LBB22_1505:
	s_mov_b32 s3, -1
                                        ; implicit-def: $vgpr6
	s_branch .LBB22_1514
.LBB22_1506:
	s_mov_b32 s3, -1
                                        ; implicit-def: $vgpr6
	s_branch .LBB22_1511
.LBB22_1507:
	s_mov_b32 s3, -1
                                        ; implicit-def: $vgpr6
.LBB22_1508:
	s_andn2_b32 vcc_lo, exec_lo, s3
	s_cbranch_vccnz .LBB22_1510
; %bb.1509:
	global_load_dword v6, v[0:1], off
	s_waitcnt vmcnt(0)
	v_cvt_f16_f32_e32 v6, v6
.LBB22_1510:
	s_mov_b32 s3, 0
.LBB22_1511:
	s_andn2_b32 vcc_lo, exec_lo, s3
	s_cbranch_vccnz .LBB22_1513
; %bb.1512:
	global_load_dword v6, v[0:1], off
.LBB22_1513:
	s_mov_b32 s3, 0
.LBB22_1514:
	s_andn2_b32 vcc_lo, exec_lo, s3
	s_cbranch_vccnz .LBB22_1525
; %bb.1515:
	s_cmp_lt_i32 s0, 6
	s_cbranch_scc1 .LBB22_1518
; %bb.1516:
	s_cmp_gt_i32 s0, 6
	s_cbranch_scc0 .LBB22_1519
; %bb.1517:
	global_load_dwordx2 v[6:7], v[0:1], off
	s_mov_b32 s3, 0
	s_waitcnt vmcnt(0)
	v_and_or_b32 v6, 0x1ff, v7, v6
	v_lshrrev_b32_e32 v8, 8, v7
	v_bfe_u32 v9, v7, 20, 11
	v_lshrrev_b32_e32 v7, 16, v7
	v_cmp_ne_u32_e32 vcc_lo, 0, v6
	v_sub_nc_u32_e32 v10, 0x3f1, v9
	v_add_nc_u32_e32 v9, 0xfffffc10, v9
	v_cndmask_b32_e64 v6, 0, 1, vcc_lo
	v_and_or_b32 v6, 0xffe, v8, v6
	v_med3_i32 v8, v10, 0, 13
	v_or_b32_e32 v10, 0x1000, v6
	v_lshrrev_b32_e32 v11, v8, v10
	v_lshlrev_b32_e32 v8, v8, v11
	v_cmp_ne_u32_e32 vcc_lo, v8, v10
	v_lshl_or_b32 v10, v9, 12, v6
	v_cndmask_b32_e64 v8, 0, 1, vcc_lo
	v_cmp_gt_i32_e32 vcc_lo, 1, v9
	v_or_b32_e32 v8, v11, v8
	v_cndmask_b32_e32 v8, v10, v8, vcc_lo
	v_and_b32_e32 v10, 7, v8
	v_lshrrev_b32_e32 v8, 2, v8
	v_cmp_lt_i32_e32 vcc_lo, 5, v10
	v_cndmask_b32_e64 v11, 0, 1, vcc_lo
	v_cmp_eq_u32_e32 vcc_lo, 3, v10
	v_cndmask_b32_e64 v10, 0, 1, vcc_lo
	v_cmp_ne_u32_e32 vcc_lo, 0, v6
	v_or_b32_e32 v10, v10, v11
	v_mov_b32_e32 v11, 0x7e00
	v_add_nc_u32_e32 v8, v8, v10
	v_cndmask_b32_e32 v6, 0x7c00, v11, vcc_lo
	v_cmp_gt_i32_e32 vcc_lo, 31, v9
	v_cndmask_b32_e32 v8, 0x7c00, v8, vcc_lo
	v_cmp_eq_u32_e32 vcc_lo, 0x40f, v9
	v_cndmask_b32_e32 v6, v8, v6, vcc_lo
	v_and_or_b32 v6, 0x8000, v7, v6
	s_branch .LBB22_1520
.LBB22_1518:
	s_mov_b32 s3, -1
                                        ; implicit-def: $vgpr6
	s_branch .LBB22_1523
.LBB22_1519:
	s_mov_b32 s3, -1
                                        ; implicit-def: $vgpr6
.LBB22_1520:
	s_andn2_b32 vcc_lo, exec_lo, s3
	s_cbranch_vccnz .LBB22_1522
; %bb.1521:
	global_load_dword v6, v[0:1], off
	s_waitcnt vmcnt(0)
	v_cvt_f16_f32_e32 v6, v6
.LBB22_1522:
	s_mov_b32 s3, 0
.LBB22_1523:
	s_andn2_b32 vcc_lo, exec_lo, s3
	s_cbranch_vccnz .LBB22_1525
; %bb.1524:
	global_load_ushort v6, v[0:1], off
.LBB22_1525:
	s_mov_b32 s3, 0
.LBB22_1526:
	s_andn2_b32 vcc_lo, exec_lo, s3
	s_cbranch_vccnz .LBB22_1546
; %bb.1527:
	s_cmp_lt_i32 s0, 2
	s_cbranch_scc1 .LBB22_1531
; %bb.1528:
	s_cmp_lt_i32 s0, 3
	s_cbranch_scc1 .LBB22_1532
; %bb.1529:
	s_cmp_gt_i32 s0, 3
	s_cbranch_scc0 .LBB22_1533
; %bb.1530:
	global_load_dwordx2 v[6:7], v[0:1], off
	s_mov_b32 s3, 0
	s_waitcnt vmcnt(0)
	v_xor_b32_e32 v8, v6, v7
	v_ffbh_i32_e32 v9, v7
	v_ashrrev_i32_e32 v8, 31, v8
	v_add_nc_u32_e32 v9, -1, v9
	v_add_nc_u32_e32 v8, 32, v8
	v_min_u32_e32 v8, v9, v8
	v_lshlrev_b64 v[6:7], v8, v[6:7]
	v_min_u32_e32 v6, 1, v6
	v_or_b32_e32 v6, v7, v6
	v_sub_nc_u32_e32 v7, 32, v8
	v_cvt_f32_i32_e32 v6, v6
	v_ldexp_f32 v6, v6, v7
	v_cvt_f16_f32_e32 v6, v6
	s_branch .LBB22_1534
.LBB22_1531:
	s_mov_b32 s3, -1
                                        ; implicit-def: $vgpr6
	s_branch .LBB22_1540
.LBB22_1532:
	s_mov_b32 s3, -1
                                        ; implicit-def: $vgpr6
	s_branch .LBB22_1537
.LBB22_1533:
	s_mov_b32 s3, -1
                                        ; implicit-def: $vgpr6
.LBB22_1534:
	s_andn2_b32 vcc_lo, exec_lo, s3
	s_cbranch_vccnz .LBB22_1536
; %bb.1535:
	global_load_dword v6, v[0:1], off
	s_waitcnt vmcnt(0)
	v_cvt_f32_i32_e32 v6, v6
	v_cvt_f16_f32_e32 v6, v6
.LBB22_1536:
	s_mov_b32 s3, 0
.LBB22_1537:
	s_andn2_b32 vcc_lo, exec_lo, s3
	s_cbranch_vccnz .LBB22_1539
; %bb.1538:
	global_load_ushort v6, v[0:1], off
	s_waitcnt vmcnt(0)
	v_cvt_f16_i16_e32 v6, v6
.LBB22_1539:
	s_mov_b32 s3, 0
.LBB22_1540:
	s_andn2_b32 vcc_lo, exec_lo, s3
	s_cbranch_vccnz .LBB22_1546
; %bb.1541:
	s_cmp_gt_i32 s0, 0
	s_mov_b32 s0, 0
	s_cbranch_scc0 .LBB22_1543
; %bb.1542:
	global_load_sbyte v6, v[0:1], off
	s_waitcnt vmcnt(0)
	v_cvt_f16_i16_e32 v6, v6
	s_branch .LBB22_1544
.LBB22_1543:
	s_mov_b32 s0, -1
                                        ; implicit-def: $vgpr6
.LBB22_1544:
	s_andn2_b32 vcc_lo, exec_lo, s0
	s_cbranch_vccnz .LBB22_1546
; %bb.1545:
	global_load_ubyte v0, v[0:1], off
	s_waitcnt vmcnt(0)
	v_cvt_f16_u16_e32 v6, v0
.LBB22_1546:
	s_mov_b32 s10, -1
.LBB22_1547:
	s_andn2_b32 vcc_lo, exec_lo, s10
	s_cbranch_vccnz .LBB22_1981
; %bb.1548:
	s_waitcnt vmcnt(0)
	v_cvt_f32_f16_e32 v0, v3
	s_mov_b32 s0, 0x3b2d2a58
	v_mul_lo_u32 v2, s2, v2
	s_and_b32 s12, s1, 0xff
	s_cmp_lt_i32 s12, 11
	v_rcp_f32_e64 v1, |v0|
	v_cmp_gt_f32_e64 vcc_lo, |v0|, 1.0
	v_cndmask_b32_e64 v0, |v0|, v1, vcc_lo
	v_mul_f32_e32 v1, v0, v0
	v_fmaak_f32 v7, s0, v1, 0xbc7a590c
	v_fmaak_f32 v7, v1, v7, 0x3d29fb3f
	;; [unrolled: 1-line block ×7, first 2 shown]
	v_mul_f32_e32 v1, v1, v7
	v_fmac_f32_e32 v0, v0, v1
	v_sub_f32_e32 v1, 0x3fc90fdb, v0
	v_cndmask_b32_e32 v0, v0, v1, vcc_lo
	v_ashrrev_i32_e32 v1, 31, v2
	v_cvt_f16_f32_e32 v7, v0
	v_add_co_u32 v0, vcc_lo, s8, v2
	v_add_co_ci_u32_e64 v1, null, s9, v1, vcc_lo
	v_bfi_b32 v3, 0x7fff, v7, v3
	s_cbranch_scc1 .LBB22_1626
; %bb.1549:
	s_and_b32 s1, 0xffff, s12
	s_mov_b32 s10, -1
	s_mov_b32 s3, 0
	s_cmp_gt_i32 s1, 25
	s_mov_b32 s5, 0
	s_mov_b32 s0, 0
	s_cbranch_scc0 .LBB22_1582
; %bb.1550:
	s_cmp_gt_i32 s1, 28
	s_cbranch_scc0 .LBB22_1565
; %bb.1551:
	s_cmp_gt_i32 s1, 43
	;; [unrolled: 3-line block ×3, first 2 shown]
	s_cbranch_scc0 .LBB22_1555
; %bb.1553:
	s_mov_b32 s0, -1
	s_mov_b32 s10, 0
	s_cmp_eq_u32 s1, 46
	s_cbranch_scc0 .LBB22_1555
; %bb.1554:
	v_cvt_f32_f16_e32 v7, v3
	v_cmp_o_f16_e32 vcc_lo, v3, v3
	s_mov_b32 s0, 0
	s_mov_b32 s5, -1
	v_bfe_u32 v8, v7, 16, 1
	v_add3_u32 v7, v7, v8, 0x7fff
	v_mov_b32_e32 v8, 0x7fc0
	v_cndmask_b32_sdwa v7, v8, v7, vcc_lo dst_sel:DWORD dst_unused:UNUSED_PAD src0_sel:DWORD src1_sel:WORD_1
	global_store_dword v[0:1], v7, off
.LBB22_1555:
	s_and_b32 vcc_lo, exec_lo, s10
	s_cbranch_vccz .LBB22_1560
; %bb.1556:
	s_cmp_eq_u32 s1, 44
	s_mov_b32 s0, -1
	s_cbranch_scc0 .LBB22_1560
; %bb.1557:
	v_cvt_f32_f16_e32 v7, v3
	v_mov_b32_e32 v8, 0xff
	s_mov_b32 s5, exec_lo
	v_bfe_u32 v9, v7, 23, 8
	v_cmpx_ne_u32_e32 0xff, v9
	s_cbranch_execz .LBB22_1559
; %bb.1558:
	v_and_b32_e32 v8, 0x400000, v7
	v_and_or_b32 v9, 0x3fffff, v7, v9
	v_lshrrev_b32_e32 v7, 23, v7
	v_cmp_ne_u32_e32 vcc_lo, 0, v8
	v_cmp_ne_u32_e64 s0, 0, v9
	s_and_b32 s0, vcc_lo, s0
	v_cndmask_b32_e64 v8, 0, 1, s0
	v_add_nc_u32_e32 v8, v7, v8
.LBB22_1559:
	s_or_b32 exec_lo, exec_lo, s5
	s_mov_b32 s0, 0
	s_mov_b32 s5, -1
	global_store_byte v[0:1], v8, off
.LBB22_1560:
	s_mov_b32 s10, 0
.LBB22_1561:
	s_and_b32 vcc_lo, exec_lo, s10
	s_cbranch_vccz .LBB22_1564
; %bb.1562:
	s_cmp_eq_u32 s1, 29
	s_mov_b32 s0, -1
	s_cbranch_scc0 .LBB22_1564
; %bb.1563:
	v_cvt_f32_f16_e32 v7, v3
	v_mov_b32_e32 v8, 0
	s_mov_b32 s0, 0
	s_mov_b32 s5, -1
	v_cvt_u32_f32_e32 v7, v7
	global_store_dwordx2 v[0:1], v[7:8], off
.LBB22_1564:
	s_mov_b32 s10, 0
.LBB22_1565:
	s_and_b32 vcc_lo, exec_lo, s10
	s_cbranch_vccz .LBB22_1581
; %bb.1566:
	s_cmp_lt_i32 s1, 27
	s_mov_b32 s5, -1
	s_cbranch_scc1 .LBB22_1572
; %bb.1567:
	s_cmp_gt_i32 s1, 27
	s_cbranch_scc0 .LBB22_1569
; %bb.1568:
	v_cvt_f32_f16_e32 v7, v3
	s_mov_b32 s5, 0
	v_cvt_u32_f32_e32 v7, v7
	global_store_dword v[0:1], v7, off
.LBB22_1569:
	s_andn2_b32 vcc_lo, exec_lo, s5
	s_cbranch_vccnz .LBB22_1571
; %bb.1570:
	v_cvt_u16_f16_e32 v7, v3
	global_store_short v[0:1], v7, off
.LBB22_1571:
	s_mov_b32 s5, 0
.LBB22_1572:
	s_andn2_b32 vcc_lo, exec_lo, s5
	s_cbranch_vccnz .LBB22_1580
; %bb.1573:
	v_cvt_f32_f16_e32 v7, v3
	v_mov_b32_e32 v9, 0x80
	s_mov_b32 s5, exec_lo
	v_and_b32_e32 v8, 0x7fffffff, v7
	v_cmpx_gt_u32_e32 0x43800000, v8
	s_cbranch_execz .LBB22_1579
; %bb.1574:
	v_cmp_lt_u32_e32 vcc_lo, 0x3bffffff, v8
	s_mov_b32 s10, 0
                                        ; implicit-def: $vgpr8
	s_and_saveexec_b32 s11, vcc_lo
	s_xor_b32 s11, exec_lo, s11
	s_cbranch_execz .LBB22_2028
; %bb.1575:
	v_bfe_u32 v8, v7, 20, 1
	s_mov_b32 s10, exec_lo
	v_add3_u32 v8, v7, v8, 0x487ffff
	v_lshrrev_b32_e32 v8, 20, v8
	s_andn2_saveexec_b32 s11, s11
	s_cbranch_execnz .LBB22_2029
.LBB22_1576:
	s_or_b32 exec_lo, exec_lo, s11
	v_mov_b32_e32 v9, 0
	s_and_saveexec_b32 s11, s10
.LBB22_1577:
	v_lshrrev_b32_e32 v7, 24, v7
	v_and_or_b32 v9, 0x80, v7, v8
.LBB22_1578:
	s_or_b32 exec_lo, exec_lo, s11
.LBB22_1579:
	s_or_b32 exec_lo, exec_lo, s5
	global_store_byte v[0:1], v9, off
.LBB22_1580:
	s_mov_b32 s5, -1
.LBB22_1581:
	s_mov_b32 s10, 0
.LBB22_1582:
	s_and_b32 vcc_lo, exec_lo, s10
	s_cbranch_vccz .LBB22_1622
; %bb.1583:
	s_cmp_gt_i32 s1, 22
	s_mov_b32 s3, -1
	s_cbranch_scc0 .LBB22_1615
; %bb.1584:
	s_cmp_lt_i32 s1, 24
	s_cbranch_scc1 .LBB22_1604
; %bb.1585:
	s_cmp_gt_i32 s1, 24
	s_cbranch_scc0 .LBB22_1593
; %bb.1586:
	v_cvt_f32_f16_e32 v7, v3
	v_mov_b32_e32 v9, 0x80
	s_mov_b32 s3, exec_lo
	v_and_b32_e32 v8, 0x7fffffff, v7
	v_cmpx_gt_u32_e32 0x47800000, v8
	s_cbranch_execz .LBB22_1592
; %bb.1587:
	v_cmp_lt_u32_e32 vcc_lo, 0x37ffffff, v8
	s_mov_b32 s5, 0
                                        ; implicit-def: $vgpr8
	s_and_saveexec_b32 s10, vcc_lo
	s_xor_b32 s10, exec_lo, s10
	s_cbranch_execz .LBB22_2031
; %bb.1588:
	v_bfe_u32 v8, v7, 21, 1
	s_mov_b32 s5, exec_lo
	v_add3_u32 v8, v7, v8, 0x88fffff
	v_lshrrev_b32_e32 v8, 21, v8
	s_andn2_saveexec_b32 s10, s10
	s_cbranch_execnz .LBB22_2032
.LBB22_1589:
	s_or_b32 exec_lo, exec_lo, s10
	v_mov_b32_e32 v9, 0
	s_and_saveexec_b32 s10, s5
.LBB22_1590:
	v_lshrrev_b32_e32 v7, 24, v7
	v_and_or_b32 v9, 0x80, v7, v8
.LBB22_1591:
	s_or_b32 exec_lo, exec_lo, s10
.LBB22_1592:
	s_or_b32 exec_lo, exec_lo, s3
	s_mov_b32 s3, 0
	global_store_byte v[0:1], v9, off
.LBB22_1593:
	s_and_b32 vcc_lo, exec_lo, s3
	s_cbranch_vccz .LBB22_1603
; %bb.1594:
	v_cvt_f32_f16_e32 v7, v3
	s_mov_b32 s3, exec_lo
                                        ; implicit-def: $vgpr8
	v_and_b32_e32 v9, 0x7fffffff, v7
	v_cmpx_gt_u32_e32 0x43f00000, v9
	s_xor_b32 s3, exec_lo, s3
	s_cbranch_execz .LBB22_1600
; %bb.1595:
	s_mov_b32 s5, exec_lo
                                        ; implicit-def: $vgpr8
	v_cmpx_lt_u32_e32 0x3c7fffff, v9
	s_xor_b32 s5, exec_lo, s5
; %bb.1596:
	v_bfe_u32 v8, v7, 20, 1
	v_add3_u32 v8, v7, v8, 0x407ffff
	v_and_b32_e32 v9, 0xff00000, v8
	v_lshrrev_b32_e32 v8, 20, v8
	v_cmp_ne_u32_e32 vcc_lo, 0x7f00000, v9
	v_cndmask_b32_e32 v8, 0x7e, v8, vcc_lo
; %bb.1597:
	s_andn2_saveexec_b32 s5, s5
; %bb.1598:
	v_add_f32_e64 v8, 0x46800000, |v7|
; %bb.1599:
	s_or_b32 exec_lo, exec_lo, s5
                                        ; implicit-def: $vgpr9
.LBB22_1600:
	s_andn2_saveexec_b32 s3, s3
; %bb.1601:
	v_mov_b32_e32 v8, 0x7f
	v_cmp_lt_u32_e32 vcc_lo, 0x7f800000, v9
	v_cndmask_b32_e32 v8, 0x7e, v8, vcc_lo
; %bb.1602:
	s_or_b32 exec_lo, exec_lo, s3
	v_lshrrev_b32_e32 v7, 24, v7
	v_and_or_b32 v7, 0x80, v7, v8
	global_store_byte v[0:1], v7, off
.LBB22_1603:
	s_mov_b32 s3, 0
.LBB22_1604:
	s_andn2_b32 vcc_lo, exec_lo, s3
	s_cbranch_vccnz .LBB22_1614
; %bb.1605:
	v_cvt_f32_f16_e32 v7, v3
	s_mov_b32 s3, exec_lo
                                        ; implicit-def: $vgpr8
	v_and_b32_e32 v9, 0x7fffffff, v7
	v_cmpx_gt_u32_e32 0x47800000, v9
	s_xor_b32 s3, exec_lo, s3
	s_cbranch_execz .LBB22_1611
; %bb.1606:
	s_mov_b32 s5, exec_lo
                                        ; implicit-def: $vgpr8
	v_cmpx_lt_u32_e32 0x387fffff, v9
	s_xor_b32 s5, exec_lo, s5
; %bb.1607:
	v_bfe_u32 v8, v7, 21, 1
	v_add3_u32 v8, v7, v8, 0x80fffff
	v_lshrrev_b32_e32 v8, 21, v8
; %bb.1608:
	s_andn2_saveexec_b32 s5, s5
; %bb.1609:
	v_add_f32_e64 v8, 0x43000000, |v7|
; %bb.1610:
	s_or_b32 exec_lo, exec_lo, s5
                                        ; implicit-def: $vgpr9
.LBB22_1611:
	s_andn2_saveexec_b32 s3, s3
; %bb.1612:
	v_mov_b32_e32 v8, 0x7f
	v_cmp_lt_u32_e32 vcc_lo, 0x7f800000, v9
	v_cndmask_b32_e32 v8, 0x7c, v8, vcc_lo
; %bb.1613:
	s_or_b32 exec_lo, exec_lo, s3
	v_lshrrev_b32_e32 v7, 24, v7
	v_and_or_b32 v7, 0x80, v7, v8
	global_store_byte v[0:1], v7, off
.LBB22_1614:
	s_mov_b32 s3, 0
	s_mov_b32 s5, -1
.LBB22_1615:
	s_andn2_b32 vcc_lo, exec_lo, s3
	s_mov_b32 s3, 0
	s_cbranch_vccnz .LBB22_1622
; %bb.1616:
	s_cmp_gt_i32 s1, 14
	s_mov_b32 s3, -1
	s_cbranch_scc0 .LBB22_1620
; %bb.1617:
	s_cmp_eq_u32 s1, 15
	s_mov_b32 s0, -1
	s_cbranch_scc0 .LBB22_1619
; %bb.1618:
	v_cvt_f32_f16_e32 v7, v3
	v_cmp_o_f16_e32 vcc_lo, v3, v3
	s_mov_b32 s0, 0
	s_mov_b32 s5, -1
	v_bfe_u32 v8, v7, 16, 1
	v_add3_u32 v7, v7, v8, 0x7fff
	v_mov_b32_e32 v8, 0x7fc0
	v_cndmask_b32_sdwa v7, v8, v7, vcc_lo dst_sel:DWORD dst_unused:UNUSED_PAD src0_sel:DWORD src1_sel:WORD_1
	global_store_short v[0:1], v7, off
.LBB22_1619:
	s_mov_b32 s3, 0
.LBB22_1620:
	s_and_b32 vcc_lo, exec_lo, s3
	s_mov_b32 s3, 0
	s_cbranch_vccz .LBB22_1622
; %bb.1621:
	s_cmp_lg_u32 s1, 11
	s_mov_b32 s3, -1
	s_cselect_b32 s0, -1, 0
.LBB22_1622:
	s_and_b32 vcc_lo, exec_lo, s0
	s_cbranch_vccnz .LBB22_2030
; %bb.1623:
	s_andn2_b32 vcc_lo, exec_lo, s3
	s_cbranch_vccnz .LBB22_1625
.LBB22_1624:
	v_cmp_neq_f16_e32 vcc_lo, 0, v3
	s_mov_b32 s5, -1
	v_cndmask_b32_e64 v7, 0, 1, vcc_lo
	global_store_byte v[0:1], v7, off
.LBB22_1625:
	s_mov_b32 s0, 0
	s_branch .LBB22_1627
.LBB22_1626:
	s_mov_b32 s0, -1
	s_mov_b32 s5, 0
.LBB22_1627:
	s_and_b32 vcc_lo, exec_lo, s0
	s_cbranch_vccz .LBB22_1666
; %bb.1628:
	s_and_b32 s0, 0xffff, s12
	s_mov_b32 s1, -1
	s_cmp_lt_i32 s0, 5
	s_cbranch_scc1 .LBB22_1649
; %bb.1629:
	s_cmp_lt_i32 s0, 8
	s_cbranch_scc1 .LBB22_1639
; %bb.1630:
	;; [unrolled: 3-line block ×3, first 2 shown]
	s_cmp_gt_i32 s0, 9
	s_cbranch_scc0 .LBB22_1633
; %bb.1632:
	v_cvt_f32_f16_e32 v7, v3
	v_mov_b32_e32 v9, 0
	s_mov_b32 s1, 0
	v_cvt_f64_f32_e32 v[7:8], v7
	v_mov_b32_e32 v10, v9
	global_store_dwordx4 v[0:1], v[7:10], off
.LBB22_1633:
	s_andn2_b32 vcc_lo, exec_lo, s1
	s_cbranch_vccnz .LBB22_1635
; %bb.1634:
	v_cvt_f32_f16_e32 v7, v3
	v_mov_b32_e32 v8, 0
	global_store_dwordx2 v[0:1], v[7:8], off
.LBB22_1635:
	s_mov_b32 s1, 0
.LBB22_1636:
	s_andn2_b32 vcc_lo, exec_lo, s1
	s_cbranch_vccnz .LBB22_1638
; %bb.1637:
	v_and_b32_e32 v7, 0xffff, v3
	global_store_dword v[0:1], v7, off
.LBB22_1638:
	s_mov_b32 s1, 0
.LBB22_1639:
	s_andn2_b32 vcc_lo, exec_lo, s1
	s_cbranch_vccnz .LBB22_1648
; %bb.1640:
	s_cmp_lt_i32 s0, 6
	s_mov_b32 s1, -1
	s_cbranch_scc1 .LBB22_1646
; %bb.1641:
	s_cmp_gt_i32 s0, 6
	s_cbranch_scc0 .LBB22_1643
; %bb.1642:
	v_cvt_f32_f16_e32 v7, v3
	s_mov_b32 s1, 0
	v_cvt_f64_f32_e32 v[7:8], v7
	global_store_dwordx2 v[0:1], v[7:8], off
.LBB22_1643:
	s_andn2_b32 vcc_lo, exec_lo, s1
	s_cbranch_vccnz .LBB22_1645
; %bb.1644:
	v_cvt_f32_f16_e32 v7, v3
	global_store_dword v[0:1], v7, off
.LBB22_1645:
	s_mov_b32 s1, 0
.LBB22_1646:
	s_andn2_b32 vcc_lo, exec_lo, s1
	s_cbranch_vccnz .LBB22_1648
; %bb.1647:
	global_store_short v[0:1], v3, off
.LBB22_1648:
	s_mov_b32 s1, 0
.LBB22_1649:
	s_andn2_b32 vcc_lo, exec_lo, s1
	s_cbranch_vccnz .LBB22_1665
; %bb.1650:
	s_cmp_lt_i32 s0, 2
	s_mov_b32 s1, -1
	s_cbranch_scc1 .LBB22_1660
; %bb.1651:
	s_cmp_lt_i32 s0, 3
	s_cbranch_scc1 .LBB22_1657
; %bb.1652:
	s_cmp_gt_i32 s0, 3
	s_cbranch_scc0 .LBB22_1654
; %bb.1653:
	v_cvt_f32_f16_e32 v7, v3
	s_mov_b32 s1, 0
	v_cvt_i32_f32_e32 v7, v7
	v_ashrrev_i32_e32 v8, 31, v7
	global_store_dwordx2 v[0:1], v[7:8], off
.LBB22_1654:
	s_andn2_b32 vcc_lo, exec_lo, s1
	s_cbranch_vccnz .LBB22_1656
; %bb.1655:
	v_cvt_f32_f16_e32 v7, v3
	v_cvt_i32_f32_e32 v7, v7
	global_store_dword v[0:1], v7, off
.LBB22_1656:
	s_mov_b32 s1, 0
.LBB22_1657:
	s_andn2_b32 vcc_lo, exec_lo, s1
	s_cbranch_vccnz .LBB22_1659
; %bb.1658:
	v_cvt_i16_f16_e32 v7, v3
	global_store_short v[0:1], v7, off
.LBB22_1659:
	s_mov_b32 s1, 0
.LBB22_1660:
	s_andn2_b32 vcc_lo, exec_lo, s1
	s_cbranch_vccnz .LBB22_1665
; %bb.1661:
	s_cmp_gt_i32 s0, 0
	s_mov_b32 s0, -1
	s_cbranch_scc0 .LBB22_1663
; %bb.1662:
	v_cvt_i16_f16_e32 v7, v3
	s_mov_b32 s0, 0
	global_store_byte v[0:1], v7, off
.LBB22_1663:
	s_andn2_b32 vcc_lo, exec_lo, s0
	s_cbranch_vccnz .LBB22_1665
; %bb.1664:
	v_cvt_f32_f16_e32 v3, v3
	v_cvt_i32_f32_e32 v3, v3
	global_store_byte v[0:1], v3, off
.LBB22_1665:
	s_mov_b32 s5, -1
.LBB22_1666:
	s_andn2_b32 vcc_lo, exec_lo, s5
	s_cbranch_vccnz .LBB22_1981
; %bb.1667:
	v_cvt_f32_f16_e32 v0, v4
	s_mov_b32 s0, 0x3b2d2a58
	s_lshl_b32 s1, s2, 7
	s_cmp_lt_i32 s12, 11
	v_add_nc_u32_e32 v2, s1, v2
	v_rcp_f32_e64 v1, |v0|
	v_cmp_gt_f32_e64 vcc_lo, |v0|, 1.0
	v_cndmask_b32_e64 v0, |v0|, v1, vcc_lo
	v_mul_f32_e32 v1, v0, v0
	v_fmaak_f32 v3, s0, v1, 0xbc7a590c
	v_fmaak_f32 v3, v1, v3, 0x3d29fb3f
	;; [unrolled: 1-line block ×7, first 2 shown]
	v_mul_f32_e32 v1, v1, v3
	v_fmac_f32_e32 v0, v0, v1
	v_sub_f32_e32 v1, 0x3fc90fdb, v0
	v_cndmask_b32_e32 v0, v0, v1, vcc_lo
	v_ashrrev_i32_e32 v1, 31, v2
	v_cvt_f16_f32_e32 v0, v0
	v_bfi_b32 v3, 0x7fff, v0, v4
	v_add_co_u32 v0, vcc_lo, s8, v2
	v_add_co_ci_u32_e64 v1, null, s9, v1, vcc_lo
	s_cbranch_scc1 .LBB22_1745
; %bb.1668:
	s_and_b32 s2, 0xffff, s12
	s_mov_b32 s10, -1
	s_mov_b32 s3, 0
	s_cmp_gt_i32 s2, 25
	s_mov_b32 s5, 0
	s_mov_b32 s0, 0
	s_cbranch_scc0 .LBB22_1701
; %bb.1669:
	s_cmp_gt_i32 s2, 28
	s_cbranch_scc0 .LBB22_1684
; %bb.1670:
	s_cmp_gt_i32 s2, 43
	;; [unrolled: 3-line block ×3, first 2 shown]
	s_cbranch_scc0 .LBB22_1674
; %bb.1672:
	s_mov_b32 s0, -1
	s_mov_b32 s10, 0
	s_cmp_eq_u32 s2, 46
	s_cbranch_scc0 .LBB22_1674
; %bb.1673:
	v_cvt_f32_f16_e32 v4, v3
	v_cmp_o_f16_e32 vcc_lo, v3, v3
	s_mov_b32 s0, 0
	s_mov_b32 s5, -1
	v_bfe_u32 v7, v4, 16, 1
	v_add3_u32 v4, v4, v7, 0x7fff
	v_mov_b32_e32 v7, 0x7fc0
	v_cndmask_b32_sdwa v4, v7, v4, vcc_lo dst_sel:DWORD dst_unused:UNUSED_PAD src0_sel:DWORD src1_sel:WORD_1
	global_store_dword v[0:1], v4, off
.LBB22_1674:
	s_and_b32 vcc_lo, exec_lo, s10
	s_cbranch_vccz .LBB22_1679
; %bb.1675:
	s_cmp_eq_u32 s2, 44
	s_mov_b32 s0, -1
	s_cbranch_scc0 .LBB22_1679
; %bb.1676:
	v_cvt_f32_f16_e32 v4, v3
	v_mov_b32_e32 v7, 0xff
	s_mov_b32 s5, exec_lo
	v_bfe_u32 v8, v4, 23, 8
	v_cmpx_ne_u32_e32 0xff, v8
	s_cbranch_execz .LBB22_1678
; %bb.1677:
	v_and_b32_e32 v7, 0x400000, v4
	v_and_or_b32 v8, 0x3fffff, v4, v8
	v_lshrrev_b32_e32 v4, 23, v4
	v_cmp_ne_u32_e32 vcc_lo, 0, v7
	v_cmp_ne_u32_e64 s0, 0, v8
	s_and_b32 s0, vcc_lo, s0
	v_cndmask_b32_e64 v7, 0, 1, s0
	v_add_nc_u32_e32 v7, v4, v7
.LBB22_1678:
	s_or_b32 exec_lo, exec_lo, s5
	s_mov_b32 s0, 0
	s_mov_b32 s5, -1
	global_store_byte v[0:1], v7, off
.LBB22_1679:
	s_mov_b32 s10, 0
.LBB22_1680:
	s_and_b32 vcc_lo, exec_lo, s10
	s_cbranch_vccz .LBB22_1683
; %bb.1681:
	s_cmp_eq_u32 s2, 29
	s_mov_b32 s0, -1
	s_cbranch_scc0 .LBB22_1683
; %bb.1682:
	v_cvt_f32_f16_e32 v4, v3
	v_mov_b32_e32 v8, 0
	s_mov_b32 s0, 0
	s_mov_b32 s5, -1
	v_cvt_u32_f32_e32 v7, v4
	global_store_dwordx2 v[0:1], v[7:8], off
.LBB22_1683:
	s_mov_b32 s10, 0
.LBB22_1684:
	s_and_b32 vcc_lo, exec_lo, s10
	s_cbranch_vccz .LBB22_1700
; %bb.1685:
	s_cmp_lt_i32 s2, 27
	s_mov_b32 s5, -1
	s_cbranch_scc1 .LBB22_1691
; %bb.1686:
	s_cmp_gt_i32 s2, 27
	s_cbranch_scc0 .LBB22_1688
; %bb.1687:
	v_cvt_f32_f16_e32 v4, v3
	s_mov_b32 s5, 0
	v_cvt_u32_f32_e32 v4, v4
	global_store_dword v[0:1], v4, off
.LBB22_1688:
	s_andn2_b32 vcc_lo, exec_lo, s5
	s_cbranch_vccnz .LBB22_1690
; %bb.1689:
	v_cvt_u16_f16_e32 v4, v3
	global_store_short v[0:1], v4, off
.LBB22_1690:
	s_mov_b32 s5, 0
.LBB22_1691:
	s_andn2_b32 vcc_lo, exec_lo, s5
	s_cbranch_vccnz .LBB22_1699
; %bb.1692:
	v_cvt_f32_f16_e32 v4, v3
	v_mov_b32_e32 v8, 0x80
	s_mov_b32 s5, exec_lo
	v_and_b32_e32 v7, 0x7fffffff, v4
	v_cmpx_gt_u32_e32 0x43800000, v7
	s_cbranch_execz .LBB22_1698
; %bb.1693:
	v_cmp_lt_u32_e32 vcc_lo, 0x3bffffff, v7
	s_mov_b32 s10, 0
                                        ; implicit-def: $vgpr7
	s_and_saveexec_b32 s11, vcc_lo
	s_xor_b32 s11, exec_lo, s11
	s_cbranch_execz .LBB22_2033
; %bb.1694:
	v_bfe_u32 v7, v4, 20, 1
	s_mov_b32 s10, exec_lo
	v_add3_u32 v7, v4, v7, 0x487ffff
	v_lshrrev_b32_e32 v7, 20, v7
	s_andn2_saveexec_b32 s11, s11
	s_cbranch_execnz .LBB22_2034
.LBB22_1695:
	s_or_b32 exec_lo, exec_lo, s11
	v_mov_b32_e32 v8, 0
	s_and_saveexec_b32 s11, s10
.LBB22_1696:
	v_lshrrev_b32_e32 v4, 24, v4
	v_and_or_b32 v8, 0x80, v4, v7
.LBB22_1697:
	s_or_b32 exec_lo, exec_lo, s11
.LBB22_1698:
	s_or_b32 exec_lo, exec_lo, s5
	global_store_byte v[0:1], v8, off
.LBB22_1699:
	s_mov_b32 s5, -1
.LBB22_1700:
	s_mov_b32 s10, 0
.LBB22_1701:
	s_and_b32 vcc_lo, exec_lo, s10
	s_cbranch_vccz .LBB22_1741
; %bb.1702:
	s_cmp_gt_i32 s2, 22
	s_mov_b32 s3, -1
	s_cbranch_scc0 .LBB22_1734
; %bb.1703:
	s_cmp_lt_i32 s2, 24
	s_cbranch_scc1 .LBB22_1723
; %bb.1704:
	s_cmp_gt_i32 s2, 24
	s_cbranch_scc0 .LBB22_1712
; %bb.1705:
	v_cvt_f32_f16_e32 v4, v3
	v_mov_b32_e32 v8, 0x80
	s_mov_b32 s3, exec_lo
	v_and_b32_e32 v7, 0x7fffffff, v4
	v_cmpx_gt_u32_e32 0x47800000, v7
	s_cbranch_execz .LBB22_1711
; %bb.1706:
	v_cmp_lt_u32_e32 vcc_lo, 0x37ffffff, v7
	s_mov_b32 s5, 0
                                        ; implicit-def: $vgpr7
	s_and_saveexec_b32 s10, vcc_lo
	s_xor_b32 s10, exec_lo, s10
	s_cbranch_execz .LBB22_2036
; %bb.1707:
	v_bfe_u32 v7, v4, 21, 1
	s_mov_b32 s5, exec_lo
	v_add3_u32 v7, v4, v7, 0x88fffff
	v_lshrrev_b32_e32 v7, 21, v7
	s_andn2_saveexec_b32 s10, s10
	s_cbranch_execnz .LBB22_2037
.LBB22_1708:
	s_or_b32 exec_lo, exec_lo, s10
	v_mov_b32_e32 v8, 0
	s_and_saveexec_b32 s10, s5
.LBB22_1709:
	v_lshrrev_b32_e32 v4, 24, v4
	v_and_or_b32 v8, 0x80, v4, v7
.LBB22_1710:
	s_or_b32 exec_lo, exec_lo, s10
.LBB22_1711:
	s_or_b32 exec_lo, exec_lo, s3
	s_mov_b32 s3, 0
	global_store_byte v[0:1], v8, off
.LBB22_1712:
	s_and_b32 vcc_lo, exec_lo, s3
	s_cbranch_vccz .LBB22_1722
; %bb.1713:
	v_cvt_f32_f16_e32 v4, v3
	s_mov_b32 s3, exec_lo
                                        ; implicit-def: $vgpr7
	v_and_b32_e32 v8, 0x7fffffff, v4
	v_cmpx_gt_u32_e32 0x43f00000, v8
	s_xor_b32 s3, exec_lo, s3
	s_cbranch_execz .LBB22_1719
; %bb.1714:
	s_mov_b32 s5, exec_lo
                                        ; implicit-def: $vgpr7
	v_cmpx_lt_u32_e32 0x3c7fffff, v8
	s_xor_b32 s5, exec_lo, s5
; %bb.1715:
	v_bfe_u32 v7, v4, 20, 1
	v_add3_u32 v7, v4, v7, 0x407ffff
	v_and_b32_e32 v8, 0xff00000, v7
	v_lshrrev_b32_e32 v7, 20, v7
	v_cmp_ne_u32_e32 vcc_lo, 0x7f00000, v8
	v_cndmask_b32_e32 v7, 0x7e, v7, vcc_lo
; %bb.1716:
	s_andn2_saveexec_b32 s5, s5
; %bb.1717:
	v_add_f32_e64 v7, 0x46800000, |v4|
; %bb.1718:
	s_or_b32 exec_lo, exec_lo, s5
                                        ; implicit-def: $vgpr8
.LBB22_1719:
	s_andn2_saveexec_b32 s3, s3
; %bb.1720:
	v_mov_b32_e32 v7, 0x7f
	v_cmp_lt_u32_e32 vcc_lo, 0x7f800000, v8
	v_cndmask_b32_e32 v7, 0x7e, v7, vcc_lo
; %bb.1721:
	s_or_b32 exec_lo, exec_lo, s3
	v_lshrrev_b32_e32 v4, 24, v4
	v_and_or_b32 v4, 0x80, v4, v7
	global_store_byte v[0:1], v4, off
.LBB22_1722:
	s_mov_b32 s3, 0
.LBB22_1723:
	s_andn2_b32 vcc_lo, exec_lo, s3
	s_cbranch_vccnz .LBB22_1733
; %bb.1724:
	v_cvt_f32_f16_e32 v4, v3
	s_mov_b32 s3, exec_lo
                                        ; implicit-def: $vgpr7
	v_and_b32_e32 v8, 0x7fffffff, v4
	v_cmpx_gt_u32_e32 0x47800000, v8
	s_xor_b32 s3, exec_lo, s3
	s_cbranch_execz .LBB22_1730
; %bb.1725:
	s_mov_b32 s5, exec_lo
                                        ; implicit-def: $vgpr7
	v_cmpx_lt_u32_e32 0x387fffff, v8
	s_xor_b32 s5, exec_lo, s5
; %bb.1726:
	v_bfe_u32 v7, v4, 21, 1
	v_add3_u32 v7, v4, v7, 0x80fffff
	v_lshrrev_b32_e32 v7, 21, v7
; %bb.1727:
	s_andn2_saveexec_b32 s5, s5
; %bb.1728:
	v_add_f32_e64 v7, 0x43000000, |v4|
; %bb.1729:
	s_or_b32 exec_lo, exec_lo, s5
                                        ; implicit-def: $vgpr8
.LBB22_1730:
	s_andn2_saveexec_b32 s3, s3
; %bb.1731:
	v_mov_b32_e32 v7, 0x7f
	v_cmp_lt_u32_e32 vcc_lo, 0x7f800000, v8
	v_cndmask_b32_e32 v7, 0x7c, v7, vcc_lo
; %bb.1732:
	s_or_b32 exec_lo, exec_lo, s3
	v_lshrrev_b32_e32 v4, 24, v4
	v_and_or_b32 v4, 0x80, v4, v7
	global_store_byte v[0:1], v4, off
.LBB22_1733:
	s_mov_b32 s3, 0
	s_mov_b32 s5, -1
.LBB22_1734:
	s_andn2_b32 vcc_lo, exec_lo, s3
	s_mov_b32 s3, 0
	s_cbranch_vccnz .LBB22_1741
; %bb.1735:
	s_cmp_gt_i32 s2, 14
	s_mov_b32 s3, -1
	s_cbranch_scc0 .LBB22_1739
; %bb.1736:
	s_cmp_eq_u32 s2, 15
	s_mov_b32 s0, -1
	s_cbranch_scc0 .LBB22_1738
; %bb.1737:
	v_cvt_f32_f16_e32 v4, v3
	v_cmp_o_f16_e32 vcc_lo, v3, v3
	s_mov_b32 s0, 0
	s_mov_b32 s5, -1
	v_bfe_u32 v7, v4, 16, 1
	v_add3_u32 v4, v4, v7, 0x7fff
	v_mov_b32_e32 v7, 0x7fc0
	v_cndmask_b32_sdwa v4, v7, v4, vcc_lo dst_sel:DWORD dst_unused:UNUSED_PAD src0_sel:DWORD src1_sel:WORD_1
	global_store_short v[0:1], v4, off
.LBB22_1738:
	s_mov_b32 s3, 0
.LBB22_1739:
	s_and_b32 vcc_lo, exec_lo, s3
	s_mov_b32 s3, 0
	s_cbranch_vccz .LBB22_1741
; %bb.1740:
	s_cmp_lg_u32 s2, 11
	s_mov_b32 s3, -1
	s_cselect_b32 s0, -1, 0
.LBB22_1741:
	s_and_b32 vcc_lo, exec_lo, s0
	s_cbranch_vccnz .LBB22_2035
; %bb.1742:
	s_andn2_b32 vcc_lo, exec_lo, s3
	s_cbranch_vccnz .LBB22_1744
.LBB22_1743:
	v_cmp_neq_f16_e32 vcc_lo, 0, v3
	s_mov_b32 s5, -1
	v_cndmask_b32_e64 v4, 0, 1, vcc_lo
	global_store_byte v[0:1], v4, off
.LBB22_1744:
	s_mov_b32 s0, 0
	s_branch .LBB22_1746
.LBB22_1745:
	s_mov_b32 s0, -1
	s_mov_b32 s5, 0
.LBB22_1746:
	s_and_b32 vcc_lo, exec_lo, s0
	s_cbranch_vccz .LBB22_1785
; %bb.1747:
	s_and_b32 s0, 0xffff, s12
	s_mov_b32 s2, -1
	s_cmp_lt_i32 s0, 5
	s_cbranch_scc1 .LBB22_1768
; %bb.1748:
	s_cmp_lt_i32 s0, 8
	s_cbranch_scc1 .LBB22_1758
; %bb.1749:
	;; [unrolled: 3-line block ×3, first 2 shown]
	s_cmp_gt_i32 s0, 9
	s_cbranch_scc0 .LBB22_1752
; %bb.1751:
	v_cvt_f32_f16_e32 v4, v3
	v_mov_b32_e32 v9, 0
	s_mov_b32 s2, 0
	v_cvt_f64_f32_e32 v[7:8], v4
	v_mov_b32_e32 v10, v9
	global_store_dwordx4 v[0:1], v[7:10], off
.LBB22_1752:
	s_andn2_b32 vcc_lo, exec_lo, s2
	s_cbranch_vccnz .LBB22_1754
; %bb.1753:
	v_cvt_f32_f16_e32 v7, v3
	v_mov_b32_e32 v8, 0
	global_store_dwordx2 v[0:1], v[7:8], off
.LBB22_1754:
	s_mov_b32 s2, 0
.LBB22_1755:
	s_andn2_b32 vcc_lo, exec_lo, s2
	s_cbranch_vccnz .LBB22_1757
; %bb.1756:
	v_and_b32_e32 v4, 0xffff, v3
	global_store_dword v[0:1], v4, off
.LBB22_1757:
	s_mov_b32 s2, 0
.LBB22_1758:
	s_andn2_b32 vcc_lo, exec_lo, s2
	s_cbranch_vccnz .LBB22_1767
; %bb.1759:
	s_cmp_lt_i32 s0, 6
	s_mov_b32 s2, -1
	s_cbranch_scc1 .LBB22_1765
; %bb.1760:
	s_cmp_gt_i32 s0, 6
	s_cbranch_scc0 .LBB22_1762
; %bb.1761:
	v_cvt_f32_f16_e32 v4, v3
	s_mov_b32 s2, 0
	v_cvt_f64_f32_e32 v[7:8], v4
	global_store_dwordx2 v[0:1], v[7:8], off
.LBB22_1762:
	s_andn2_b32 vcc_lo, exec_lo, s2
	s_cbranch_vccnz .LBB22_1764
; %bb.1763:
	v_cvt_f32_f16_e32 v4, v3
	global_store_dword v[0:1], v4, off
.LBB22_1764:
	s_mov_b32 s2, 0
.LBB22_1765:
	s_andn2_b32 vcc_lo, exec_lo, s2
	s_cbranch_vccnz .LBB22_1767
; %bb.1766:
	global_store_short v[0:1], v3, off
.LBB22_1767:
	s_mov_b32 s2, 0
.LBB22_1768:
	s_andn2_b32 vcc_lo, exec_lo, s2
	s_cbranch_vccnz .LBB22_1784
; %bb.1769:
	s_cmp_lt_i32 s0, 2
	s_mov_b32 s2, -1
	s_cbranch_scc1 .LBB22_1779
; %bb.1770:
	s_cmp_lt_i32 s0, 3
	s_cbranch_scc1 .LBB22_1776
; %bb.1771:
	s_cmp_gt_i32 s0, 3
	s_cbranch_scc0 .LBB22_1773
; %bb.1772:
	v_cvt_f32_f16_e32 v4, v3
	s_mov_b32 s2, 0
	v_cvt_i32_f32_e32 v7, v4
	v_ashrrev_i32_e32 v8, 31, v7
	global_store_dwordx2 v[0:1], v[7:8], off
.LBB22_1773:
	s_andn2_b32 vcc_lo, exec_lo, s2
	s_cbranch_vccnz .LBB22_1775
; %bb.1774:
	v_cvt_f32_f16_e32 v4, v3
	v_cvt_i32_f32_e32 v4, v4
	global_store_dword v[0:1], v4, off
.LBB22_1775:
	s_mov_b32 s2, 0
.LBB22_1776:
	s_andn2_b32 vcc_lo, exec_lo, s2
	s_cbranch_vccnz .LBB22_1778
; %bb.1777:
	v_cvt_i16_f16_e32 v4, v3
	global_store_short v[0:1], v4, off
.LBB22_1778:
	s_mov_b32 s2, 0
.LBB22_1779:
	s_andn2_b32 vcc_lo, exec_lo, s2
	s_cbranch_vccnz .LBB22_1784
; %bb.1780:
	s_cmp_gt_i32 s0, 0
	s_mov_b32 s0, -1
	s_cbranch_scc0 .LBB22_1782
; %bb.1781:
	v_cvt_i16_f16_e32 v4, v3
	s_mov_b32 s0, 0
	global_store_byte v[0:1], v4, off
.LBB22_1782:
	s_andn2_b32 vcc_lo, exec_lo, s0
	s_cbranch_vccnz .LBB22_1784
; %bb.1783:
	v_cvt_f32_f16_e32 v3, v3
	v_cvt_i32_f32_e32 v3, v3
	global_store_byte v[0:1], v3, off
.LBB22_1784:
	s_mov_b32 s5, -1
.LBB22_1785:
	s_andn2_b32 vcc_lo, exec_lo, s5
	s_cbranch_vccnz .LBB22_1981
; %bb.1786:
	v_cvt_f32_f16_e32 v0, v5
	s_mov_b32 s0, 0x3b2d2a58
	v_add_nc_u32_e32 v2, s1, v2
	s_cmp_lt_i32 s12, 11
	v_rcp_f32_e64 v1, |v0|
	v_cmp_gt_f32_e64 vcc_lo, |v0|, 1.0
	v_cndmask_b32_e64 v0, |v0|, v1, vcc_lo
	v_mul_f32_e32 v1, v0, v0
	v_fmaak_f32 v3, s0, v1, 0xbc7a590c
	v_fmaak_f32 v3, v1, v3, 0x3d29fb3f
	;; [unrolled: 1-line block ×7, first 2 shown]
	v_mul_f32_e32 v1, v1, v3
	v_fmac_f32_e32 v0, v0, v1
	v_sub_f32_e32 v1, 0x3fc90fdb, v0
	v_cndmask_b32_e32 v0, v0, v1, vcc_lo
	v_ashrrev_i32_e32 v1, 31, v2
	v_cvt_f16_f32_e32 v0, v0
	v_bfi_b32 v3, 0x7fff, v0, v5
	v_add_co_u32 v0, vcc_lo, s8, v2
	v_add_co_ci_u32_e64 v1, null, s9, v1, vcc_lo
	s_cbranch_scc1 .LBB22_1864
; %bb.1787:
	s_and_b32 s2, 0xffff, s12
	s_mov_b32 s10, -1
	s_mov_b32 s3, 0
	s_cmp_gt_i32 s2, 25
	s_mov_b32 s5, 0
	s_mov_b32 s0, 0
	s_cbranch_scc0 .LBB22_1820
; %bb.1788:
	s_cmp_gt_i32 s2, 28
	s_cbranch_scc0 .LBB22_1803
; %bb.1789:
	s_cmp_gt_i32 s2, 43
	;; [unrolled: 3-line block ×3, first 2 shown]
	s_cbranch_scc0 .LBB22_1793
; %bb.1791:
	s_mov_b32 s0, -1
	s_mov_b32 s10, 0
	s_cmp_eq_u32 s2, 46
	s_cbranch_scc0 .LBB22_1793
; %bb.1792:
	v_cvt_f32_f16_e32 v4, v3
	v_cmp_o_f16_e32 vcc_lo, v3, v3
	s_mov_b32 s0, 0
	s_mov_b32 s5, -1
	v_bfe_u32 v5, v4, 16, 1
	v_add3_u32 v4, v4, v5, 0x7fff
	v_mov_b32_e32 v5, 0x7fc0
	v_cndmask_b32_sdwa v4, v5, v4, vcc_lo dst_sel:DWORD dst_unused:UNUSED_PAD src0_sel:DWORD src1_sel:WORD_1
	global_store_dword v[0:1], v4, off
.LBB22_1793:
	s_and_b32 vcc_lo, exec_lo, s10
	s_cbranch_vccz .LBB22_1798
; %bb.1794:
	s_cmp_eq_u32 s2, 44
	s_mov_b32 s0, -1
	s_cbranch_scc0 .LBB22_1798
; %bb.1795:
	v_cvt_f32_f16_e32 v4, v3
	v_mov_b32_e32 v5, 0xff
	s_mov_b32 s5, exec_lo
	v_bfe_u32 v7, v4, 23, 8
	v_cmpx_ne_u32_e32 0xff, v7
	s_cbranch_execz .LBB22_1797
; %bb.1796:
	v_and_b32_e32 v5, 0x400000, v4
	v_and_or_b32 v7, 0x3fffff, v4, v7
	v_lshrrev_b32_e32 v4, 23, v4
	v_cmp_ne_u32_e32 vcc_lo, 0, v5
	v_cmp_ne_u32_e64 s0, 0, v7
	s_and_b32 s0, vcc_lo, s0
	v_cndmask_b32_e64 v5, 0, 1, s0
	v_add_nc_u32_e32 v5, v4, v5
.LBB22_1797:
	s_or_b32 exec_lo, exec_lo, s5
	s_mov_b32 s0, 0
	s_mov_b32 s5, -1
	global_store_byte v[0:1], v5, off
.LBB22_1798:
	s_mov_b32 s10, 0
.LBB22_1799:
	s_and_b32 vcc_lo, exec_lo, s10
	s_cbranch_vccz .LBB22_1802
; %bb.1800:
	s_cmp_eq_u32 s2, 29
	s_mov_b32 s0, -1
	s_cbranch_scc0 .LBB22_1802
; %bb.1801:
	v_cvt_f32_f16_e32 v4, v3
	v_mov_b32_e32 v5, 0
	s_mov_b32 s0, 0
	s_mov_b32 s5, -1
	v_cvt_u32_f32_e32 v4, v4
	global_store_dwordx2 v[0:1], v[4:5], off
.LBB22_1802:
	s_mov_b32 s10, 0
.LBB22_1803:
	s_and_b32 vcc_lo, exec_lo, s10
	s_cbranch_vccz .LBB22_1819
; %bb.1804:
	s_cmp_lt_i32 s2, 27
	s_mov_b32 s5, -1
	s_cbranch_scc1 .LBB22_1810
; %bb.1805:
	s_cmp_gt_i32 s2, 27
	s_cbranch_scc0 .LBB22_1807
; %bb.1806:
	v_cvt_f32_f16_e32 v4, v3
	s_mov_b32 s5, 0
	v_cvt_u32_f32_e32 v4, v4
	global_store_dword v[0:1], v4, off
.LBB22_1807:
	s_andn2_b32 vcc_lo, exec_lo, s5
	s_cbranch_vccnz .LBB22_1809
; %bb.1808:
	v_cvt_u16_f16_e32 v4, v3
	global_store_short v[0:1], v4, off
.LBB22_1809:
	s_mov_b32 s5, 0
.LBB22_1810:
	s_andn2_b32 vcc_lo, exec_lo, s5
	s_cbranch_vccnz .LBB22_1818
; %bb.1811:
	v_cvt_f32_f16_e32 v4, v3
	v_mov_b32_e32 v7, 0x80
	s_mov_b32 s5, exec_lo
	v_and_b32_e32 v5, 0x7fffffff, v4
	v_cmpx_gt_u32_e32 0x43800000, v5
	s_cbranch_execz .LBB22_1817
; %bb.1812:
	v_cmp_lt_u32_e32 vcc_lo, 0x3bffffff, v5
	s_mov_b32 s10, 0
                                        ; implicit-def: $vgpr5
	s_and_saveexec_b32 s11, vcc_lo
	s_xor_b32 s11, exec_lo, s11
	s_cbranch_execz .LBB22_2038
; %bb.1813:
	v_bfe_u32 v5, v4, 20, 1
	s_mov_b32 s10, exec_lo
	v_add3_u32 v5, v4, v5, 0x487ffff
	v_lshrrev_b32_e32 v5, 20, v5
	s_andn2_saveexec_b32 s11, s11
	s_cbranch_execnz .LBB22_2039
.LBB22_1814:
	s_or_b32 exec_lo, exec_lo, s11
	v_mov_b32_e32 v7, 0
	s_and_saveexec_b32 s11, s10
.LBB22_1815:
	v_lshrrev_b32_e32 v4, 24, v4
	v_and_or_b32 v7, 0x80, v4, v5
.LBB22_1816:
	s_or_b32 exec_lo, exec_lo, s11
.LBB22_1817:
	s_or_b32 exec_lo, exec_lo, s5
	global_store_byte v[0:1], v7, off
.LBB22_1818:
	s_mov_b32 s5, -1
.LBB22_1819:
	s_mov_b32 s10, 0
.LBB22_1820:
	s_and_b32 vcc_lo, exec_lo, s10
	s_cbranch_vccz .LBB22_1860
; %bb.1821:
	s_cmp_gt_i32 s2, 22
	s_mov_b32 s3, -1
	s_cbranch_scc0 .LBB22_1853
; %bb.1822:
	s_cmp_lt_i32 s2, 24
	s_cbranch_scc1 .LBB22_1842
; %bb.1823:
	s_cmp_gt_i32 s2, 24
	s_cbranch_scc0 .LBB22_1831
; %bb.1824:
	v_cvt_f32_f16_e32 v4, v3
	v_mov_b32_e32 v7, 0x80
	s_mov_b32 s3, exec_lo
	v_and_b32_e32 v5, 0x7fffffff, v4
	v_cmpx_gt_u32_e32 0x47800000, v5
	s_cbranch_execz .LBB22_1830
; %bb.1825:
	v_cmp_lt_u32_e32 vcc_lo, 0x37ffffff, v5
	s_mov_b32 s5, 0
                                        ; implicit-def: $vgpr5
	s_and_saveexec_b32 s10, vcc_lo
	s_xor_b32 s10, exec_lo, s10
	s_cbranch_execz .LBB22_2041
; %bb.1826:
	v_bfe_u32 v5, v4, 21, 1
	s_mov_b32 s5, exec_lo
	v_add3_u32 v5, v4, v5, 0x88fffff
	v_lshrrev_b32_e32 v5, 21, v5
	s_andn2_saveexec_b32 s10, s10
	s_cbranch_execnz .LBB22_2042
.LBB22_1827:
	s_or_b32 exec_lo, exec_lo, s10
	v_mov_b32_e32 v7, 0
	s_and_saveexec_b32 s10, s5
.LBB22_1828:
	v_lshrrev_b32_e32 v4, 24, v4
	v_and_or_b32 v7, 0x80, v4, v5
.LBB22_1829:
	s_or_b32 exec_lo, exec_lo, s10
.LBB22_1830:
	s_or_b32 exec_lo, exec_lo, s3
	s_mov_b32 s3, 0
	global_store_byte v[0:1], v7, off
.LBB22_1831:
	s_and_b32 vcc_lo, exec_lo, s3
	s_cbranch_vccz .LBB22_1841
; %bb.1832:
	v_cvt_f32_f16_e32 v4, v3
	s_mov_b32 s3, exec_lo
                                        ; implicit-def: $vgpr5
	v_and_b32_e32 v7, 0x7fffffff, v4
	v_cmpx_gt_u32_e32 0x43f00000, v7
	s_xor_b32 s3, exec_lo, s3
	s_cbranch_execz .LBB22_1838
; %bb.1833:
	s_mov_b32 s5, exec_lo
                                        ; implicit-def: $vgpr5
	v_cmpx_lt_u32_e32 0x3c7fffff, v7
	s_xor_b32 s5, exec_lo, s5
; %bb.1834:
	v_bfe_u32 v5, v4, 20, 1
	v_add3_u32 v5, v4, v5, 0x407ffff
	v_and_b32_e32 v7, 0xff00000, v5
	v_lshrrev_b32_e32 v5, 20, v5
	v_cmp_ne_u32_e32 vcc_lo, 0x7f00000, v7
	v_cndmask_b32_e32 v5, 0x7e, v5, vcc_lo
; %bb.1835:
	s_andn2_saveexec_b32 s5, s5
; %bb.1836:
	v_add_f32_e64 v5, 0x46800000, |v4|
; %bb.1837:
	s_or_b32 exec_lo, exec_lo, s5
                                        ; implicit-def: $vgpr7
.LBB22_1838:
	s_andn2_saveexec_b32 s3, s3
; %bb.1839:
	v_mov_b32_e32 v5, 0x7f
	v_cmp_lt_u32_e32 vcc_lo, 0x7f800000, v7
	v_cndmask_b32_e32 v5, 0x7e, v5, vcc_lo
; %bb.1840:
	s_or_b32 exec_lo, exec_lo, s3
	v_lshrrev_b32_e32 v4, 24, v4
	v_and_or_b32 v4, 0x80, v4, v5
	global_store_byte v[0:1], v4, off
.LBB22_1841:
	s_mov_b32 s3, 0
.LBB22_1842:
	s_andn2_b32 vcc_lo, exec_lo, s3
	s_cbranch_vccnz .LBB22_1852
; %bb.1843:
	v_cvt_f32_f16_e32 v4, v3
	s_mov_b32 s3, exec_lo
                                        ; implicit-def: $vgpr5
	v_and_b32_e32 v7, 0x7fffffff, v4
	v_cmpx_gt_u32_e32 0x47800000, v7
	s_xor_b32 s3, exec_lo, s3
	s_cbranch_execz .LBB22_1849
; %bb.1844:
	s_mov_b32 s5, exec_lo
                                        ; implicit-def: $vgpr5
	v_cmpx_lt_u32_e32 0x387fffff, v7
	s_xor_b32 s5, exec_lo, s5
; %bb.1845:
	v_bfe_u32 v5, v4, 21, 1
	v_add3_u32 v5, v4, v5, 0x80fffff
	v_lshrrev_b32_e32 v5, 21, v5
; %bb.1846:
	s_andn2_saveexec_b32 s5, s5
; %bb.1847:
	v_add_f32_e64 v5, 0x43000000, |v4|
; %bb.1848:
	s_or_b32 exec_lo, exec_lo, s5
                                        ; implicit-def: $vgpr7
.LBB22_1849:
	s_andn2_saveexec_b32 s3, s3
; %bb.1850:
	v_mov_b32_e32 v5, 0x7f
	v_cmp_lt_u32_e32 vcc_lo, 0x7f800000, v7
	v_cndmask_b32_e32 v5, 0x7c, v5, vcc_lo
; %bb.1851:
	s_or_b32 exec_lo, exec_lo, s3
	v_lshrrev_b32_e32 v4, 24, v4
	v_and_or_b32 v4, 0x80, v4, v5
	global_store_byte v[0:1], v4, off
.LBB22_1852:
	s_mov_b32 s3, 0
	s_mov_b32 s5, -1
.LBB22_1853:
	s_andn2_b32 vcc_lo, exec_lo, s3
	s_mov_b32 s3, 0
	s_cbranch_vccnz .LBB22_1860
; %bb.1854:
	s_cmp_gt_i32 s2, 14
	s_mov_b32 s3, -1
	s_cbranch_scc0 .LBB22_1858
; %bb.1855:
	s_cmp_eq_u32 s2, 15
	s_mov_b32 s0, -1
	s_cbranch_scc0 .LBB22_1857
; %bb.1856:
	v_cvt_f32_f16_e32 v4, v3
	v_cmp_o_f16_e32 vcc_lo, v3, v3
	s_mov_b32 s0, 0
	s_mov_b32 s5, -1
	v_bfe_u32 v5, v4, 16, 1
	v_add3_u32 v4, v4, v5, 0x7fff
	v_mov_b32_e32 v5, 0x7fc0
	v_cndmask_b32_sdwa v4, v5, v4, vcc_lo dst_sel:DWORD dst_unused:UNUSED_PAD src0_sel:DWORD src1_sel:WORD_1
	global_store_short v[0:1], v4, off
.LBB22_1857:
	s_mov_b32 s3, 0
.LBB22_1858:
	s_and_b32 vcc_lo, exec_lo, s3
	s_mov_b32 s3, 0
	s_cbranch_vccz .LBB22_1860
; %bb.1859:
	s_cmp_lg_u32 s2, 11
	s_mov_b32 s3, -1
	s_cselect_b32 s0, -1, 0
.LBB22_1860:
	s_and_b32 vcc_lo, exec_lo, s0
	s_cbranch_vccnz .LBB22_2040
; %bb.1861:
	s_andn2_b32 vcc_lo, exec_lo, s3
	s_cbranch_vccnz .LBB22_1863
.LBB22_1862:
	v_cmp_neq_f16_e32 vcc_lo, 0, v3
	s_mov_b32 s5, -1
	v_cndmask_b32_e64 v4, 0, 1, vcc_lo
	global_store_byte v[0:1], v4, off
.LBB22_1863:
	s_mov_b32 s0, 0
	s_branch .LBB22_1865
.LBB22_1864:
	s_mov_b32 s0, -1
	s_mov_b32 s5, 0
.LBB22_1865:
	s_and_b32 vcc_lo, exec_lo, s0
	s_cbranch_vccz .LBB22_1904
; %bb.1866:
	s_and_b32 s0, 0xffff, s12
	s_mov_b32 s2, -1
	s_cmp_lt_i32 s0, 5
	s_cbranch_scc1 .LBB22_1887
; %bb.1867:
	s_cmp_lt_i32 s0, 8
	s_cbranch_scc1 .LBB22_1877
; %bb.1868:
	;; [unrolled: 3-line block ×3, first 2 shown]
	s_cmp_gt_i32 s0, 9
	s_cbranch_scc0 .LBB22_1871
; %bb.1870:
	v_cvt_f32_f16_e32 v4, v3
	v_mov_b32_e32 v9, 0
	s_mov_b32 s2, 0
	v_cvt_f64_f32_e32 v[7:8], v4
	v_mov_b32_e32 v10, v9
	global_store_dwordx4 v[0:1], v[7:10], off
.LBB22_1871:
	s_andn2_b32 vcc_lo, exec_lo, s2
	s_cbranch_vccnz .LBB22_1873
; %bb.1872:
	v_cvt_f32_f16_e32 v4, v3
	v_mov_b32_e32 v5, 0
	global_store_dwordx2 v[0:1], v[4:5], off
.LBB22_1873:
	s_mov_b32 s2, 0
.LBB22_1874:
	s_andn2_b32 vcc_lo, exec_lo, s2
	s_cbranch_vccnz .LBB22_1876
; %bb.1875:
	v_and_b32_e32 v4, 0xffff, v3
	global_store_dword v[0:1], v4, off
.LBB22_1876:
	s_mov_b32 s2, 0
.LBB22_1877:
	s_andn2_b32 vcc_lo, exec_lo, s2
	s_cbranch_vccnz .LBB22_1886
; %bb.1878:
	s_cmp_lt_i32 s0, 6
	s_mov_b32 s2, -1
	s_cbranch_scc1 .LBB22_1884
; %bb.1879:
	s_cmp_gt_i32 s0, 6
	s_cbranch_scc0 .LBB22_1881
; %bb.1880:
	v_cvt_f32_f16_e32 v4, v3
	s_mov_b32 s2, 0
	v_cvt_f64_f32_e32 v[4:5], v4
	global_store_dwordx2 v[0:1], v[4:5], off
.LBB22_1881:
	s_andn2_b32 vcc_lo, exec_lo, s2
	s_cbranch_vccnz .LBB22_1883
; %bb.1882:
	v_cvt_f32_f16_e32 v4, v3
	global_store_dword v[0:1], v4, off
.LBB22_1883:
	s_mov_b32 s2, 0
.LBB22_1884:
	s_andn2_b32 vcc_lo, exec_lo, s2
	s_cbranch_vccnz .LBB22_1886
; %bb.1885:
	global_store_short v[0:1], v3, off
.LBB22_1886:
	s_mov_b32 s2, 0
.LBB22_1887:
	s_andn2_b32 vcc_lo, exec_lo, s2
	s_cbranch_vccnz .LBB22_1903
; %bb.1888:
	s_cmp_lt_i32 s0, 2
	s_mov_b32 s2, -1
	s_cbranch_scc1 .LBB22_1898
; %bb.1889:
	s_cmp_lt_i32 s0, 3
	s_cbranch_scc1 .LBB22_1895
; %bb.1890:
	s_cmp_gt_i32 s0, 3
	s_cbranch_scc0 .LBB22_1892
; %bb.1891:
	v_cvt_f32_f16_e32 v4, v3
	s_mov_b32 s2, 0
	v_cvt_i32_f32_e32 v4, v4
	v_ashrrev_i32_e32 v5, 31, v4
	global_store_dwordx2 v[0:1], v[4:5], off
.LBB22_1892:
	s_andn2_b32 vcc_lo, exec_lo, s2
	s_cbranch_vccnz .LBB22_1894
; %bb.1893:
	v_cvt_f32_f16_e32 v4, v3
	v_cvt_i32_f32_e32 v4, v4
	global_store_dword v[0:1], v4, off
.LBB22_1894:
	s_mov_b32 s2, 0
.LBB22_1895:
	s_andn2_b32 vcc_lo, exec_lo, s2
	s_cbranch_vccnz .LBB22_1897
; %bb.1896:
	v_cvt_i16_f16_e32 v4, v3
	global_store_short v[0:1], v4, off
.LBB22_1897:
	s_mov_b32 s2, 0
.LBB22_1898:
	s_andn2_b32 vcc_lo, exec_lo, s2
	s_cbranch_vccnz .LBB22_1903
; %bb.1899:
	s_cmp_gt_i32 s0, 0
	s_mov_b32 s0, -1
	s_cbranch_scc0 .LBB22_1901
; %bb.1900:
	v_cvt_i16_f16_e32 v4, v3
	s_mov_b32 s0, 0
	global_store_byte v[0:1], v4, off
.LBB22_1901:
	s_andn2_b32 vcc_lo, exec_lo, s0
	s_cbranch_vccnz .LBB22_1903
; %bb.1902:
	v_cvt_f32_f16_e32 v3, v3
	v_cvt_i32_f32_e32 v3, v3
	global_store_byte v[0:1], v3, off
.LBB22_1903:
	s_mov_b32 s5, -1
.LBB22_1904:
	s_andn2_b32 vcc_lo, exec_lo, s5
	s_cbranch_vccnz .LBB22_1981
; %bb.1905:
	v_cvt_f32_f16_e32 v0, v6
	s_mov_b32 s0, 0x3b2d2a58
	s_cmp_lt_i32 s12, 11
	v_rcp_f32_e64 v1, |v0|
	v_cmp_gt_f32_e64 vcc_lo, |v0|, 1.0
	v_cndmask_b32_e64 v0, |v0|, v1, vcc_lo
	v_mul_f32_e32 v1, v0, v0
	v_fmaak_f32 v3, s0, v1, 0xbc7a590c
	v_fmaak_f32 v3, v1, v3, 0x3d29fb3f
	;; [unrolled: 1-line block ×7, first 2 shown]
	v_mul_f32_e32 v1, v1, v3
	v_fmac_f32_e32 v0, v0, v1
	v_sub_f32_e32 v1, 0x3fc90fdb, v0
	v_cndmask_b32_e32 v0, v0, v1, vcc_lo
	v_add_nc_u32_e32 v1, s1, v2
	v_cvt_f16_f32_e32 v0, v0
	v_ashrrev_i32_e32 v2, 31, v1
	v_bfi_b32 v3, 0x7fff, v0, v6
	v_add_co_u32 v0, vcc_lo, s8, v1
	v_add_co_ci_u32_e64 v1, null, s9, v2, vcc_lo
	s_cbranch_scc1 .LBB22_2026
; %bb.1906:
	s_and_b32 s1, 0xffff, s12
	s_mov_b32 s3, -1
	s_mov_b32 s2, 0
	s_cmp_gt_i32 s1, 25
	s_mov_b32 s0, 0
	s_cbranch_scc0 .LBB22_1939
; %bb.1907:
	s_cmp_gt_i32 s1, 28
	s_cbranch_scc0 .LBB22_1923
; %bb.1908:
	s_cmp_gt_i32 s1, 43
	;; [unrolled: 3-line block ×3, first 2 shown]
	s_cbranch_scc0 .LBB22_1913
; %bb.1910:
	s_cmp_eq_u32 s1, 46
	s_mov_b32 s0, -1
	s_cbranch_scc0 .LBB22_1912
; %bb.1911:
	v_cvt_f32_f16_e32 v2, v3
	v_cmp_o_f16_e32 vcc_lo, v3, v3
	s_mov_b32 s0, 0
	v_bfe_u32 v4, v2, 16, 1
	v_add3_u32 v2, v2, v4, 0x7fff
	v_mov_b32_e32 v4, 0x7fc0
	v_cndmask_b32_sdwa v2, v4, v2, vcc_lo dst_sel:DWORD dst_unused:UNUSED_PAD src0_sel:DWORD src1_sel:WORD_1
	global_store_dword v[0:1], v2, off
.LBB22_1912:
	s_mov_b32 s3, 0
.LBB22_1913:
	s_and_b32 vcc_lo, exec_lo, s3
	s_cbranch_vccz .LBB22_1918
; %bb.1914:
	s_cmp_eq_u32 s1, 44
	s_mov_b32 s0, -1
	s_cbranch_scc0 .LBB22_1918
; %bb.1915:
	v_cvt_f32_f16_e32 v2, v3
	v_mov_b32_e32 v4, 0xff
	s_mov_b32 s3, exec_lo
	v_bfe_u32 v5, v2, 23, 8
	v_cmpx_ne_u32_e32 0xff, v5
	s_cbranch_execz .LBB22_1917
; %bb.1916:
	v_and_b32_e32 v4, 0x400000, v2
	v_and_or_b32 v5, 0x3fffff, v2, v5
	v_lshrrev_b32_e32 v2, 23, v2
	v_cmp_ne_u32_e32 vcc_lo, 0, v4
	v_cmp_ne_u32_e64 s0, 0, v5
	s_and_b32 s0, vcc_lo, s0
	v_cndmask_b32_e64 v4, 0, 1, s0
	v_add_nc_u32_e32 v4, v2, v4
.LBB22_1917:
	s_or_b32 exec_lo, exec_lo, s3
	s_mov_b32 s0, 0
	global_store_byte v[0:1], v4, off
.LBB22_1918:
	s_mov_b32 s3, 0
.LBB22_1919:
	s_and_b32 vcc_lo, exec_lo, s3
	s_cbranch_vccz .LBB22_1922
; %bb.1920:
	s_cmp_eq_u32 s1, 29
	s_mov_b32 s0, -1
	s_cbranch_scc0 .LBB22_1922
; %bb.1921:
	v_cvt_f32_f16_e32 v2, v3
	v_mov_b32_e32 v5, 0
	s_mov_b32 s0, 0
	v_cvt_u32_f32_e32 v4, v2
	global_store_dwordx2 v[0:1], v[4:5], off
.LBB22_1922:
	s_mov_b32 s3, 0
.LBB22_1923:
	s_and_b32 vcc_lo, exec_lo, s3
	s_cbranch_vccz .LBB22_1938
; %bb.1924:
	s_cmp_lt_i32 s1, 27
	s_mov_b32 s3, -1
	s_cbranch_scc1 .LBB22_1930
; %bb.1925:
	s_cmp_gt_i32 s1, 27
	s_cbranch_scc0 .LBB22_1927
; %bb.1926:
	v_cvt_f32_f16_e32 v2, v3
	s_mov_b32 s3, 0
	v_cvt_u32_f32_e32 v2, v2
	global_store_dword v[0:1], v2, off
.LBB22_1927:
	s_andn2_b32 vcc_lo, exec_lo, s3
	s_cbranch_vccnz .LBB22_1929
; %bb.1928:
	v_cvt_u16_f16_e32 v2, v3
	global_store_short v[0:1], v2, off
.LBB22_1929:
	s_mov_b32 s3, 0
.LBB22_1930:
	s_andn2_b32 vcc_lo, exec_lo, s3
	s_cbranch_vccnz .LBB22_1938
; %bb.1931:
	v_cvt_f32_f16_e32 v2, v3
	v_mov_b32_e32 v5, 0x80
	s_mov_b32 s3, exec_lo
	v_and_b32_e32 v4, 0x7fffffff, v2
	v_cmpx_gt_u32_e32 0x43800000, v4
	s_cbranch_execz .LBB22_1937
; %bb.1932:
	v_cmp_lt_u32_e32 vcc_lo, 0x3bffffff, v4
	s_mov_b32 s5, 0
                                        ; implicit-def: $vgpr4
	s_and_saveexec_b32 s8, vcc_lo
	s_xor_b32 s8, exec_lo, s8
	s_cbranch_execz .LBB22_2043
; %bb.1933:
	v_bfe_u32 v4, v2, 20, 1
	s_mov_b32 s5, exec_lo
	v_add3_u32 v4, v2, v4, 0x487ffff
	v_lshrrev_b32_e32 v4, 20, v4
	s_andn2_saveexec_b32 s8, s8
	s_cbranch_execnz .LBB22_2044
.LBB22_1934:
	s_or_b32 exec_lo, exec_lo, s8
	v_mov_b32_e32 v5, 0
	s_and_saveexec_b32 s8, s5
.LBB22_1935:
	v_lshrrev_b32_e32 v2, 24, v2
	v_and_or_b32 v5, 0x80, v2, v4
.LBB22_1936:
	s_or_b32 exec_lo, exec_lo, s8
.LBB22_1937:
	s_or_b32 exec_lo, exec_lo, s3
	global_store_byte v[0:1], v5, off
.LBB22_1938:
	s_mov_b32 s3, 0
.LBB22_1939:
	s_and_b32 vcc_lo, exec_lo, s3
	s_cbranch_vccz .LBB22_1979
; %bb.1940:
	s_cmp_gt_i32 s1, 22
	s_mov_b32 s2, -1
	s_cbranch_scc0 .LBB22_1972
; %bb.1941:
	s_cmp_lt_i32 s1, 24
	s_cbranch_scc1 .LBB22_1961
; %bb.1942:
	s_cmp_gt_i32 s1, 24
	s_cbranch_scc0 .LBB22_1950
; %bb.1943:
	v_cvt_f32_f16_e32 v2, v3
	v_mov_b32_e32 v5, 0x80
	s_mov_b32 s2, exec_lo
	v_and_b32_e32 v4, 0x7fffffff, v2
	v_cmpx_gt_u32_e32 0x47800000, v4
	s_cbranch_execz .LBB22_1949
; %bb.1944:
	v_cmp_lt_u32_e32 vcc_lo, 0x37ffffff, v4
	s_mov_b32 s3, 0
                                        ; implicit-def: $vgpr4
	s_and_saveexec_b32 s5, vcc_lo
	s_xor_b32 s5, exec_lo, s5
	s_cbranch_execz .LBB22_2046
; %bb.1945:
	v_bfe_u32 v4, v2, 21, 1
	s_mov_b32 s3, exec_lo
	v_add3_u32 v4, v2, v4, 0x88fffff
	v_lshrrev_b32_e32 v4, 21, v4
	s_andn2_saveexec_b32 s5, s5
	s_cbranch_execnz .LBB22_2047
.LBB22_1946:
	s_or_b32 exec_lo, exec_lo, s5
	v_mov_b32_e32 v5, 0
	s_and_saveexec_b32 s5, s3
.LBB22_1947:
	v_lshrrev_b32_e32 v2, 24, v2
	v_and_or_b32 v5, 0x80, v2, v4
.LBB22_1948:
	s_or_b32 exec_lo, exec_lo, s5
.LBB22_1949:
	s_or_b32 exec_lo, exec_lo, s2
	s_mov_b32 s2, 0
	global_store_byte v[0:1], v5, off
.LBB22_1950:
	s_and_b32 vcc_lo, exec_lo, s2
	s_cbranch_vccz .LBB22_1960
; %bb.1951:
	v_cvt_f32_f16_e32 v2, v3
	s_mov_b32 s2, exec_lo
                                        ; implicit-def: $vgpr4
	v_and_b32_e32 v5, 0x7fffffff, v2
	v_cmpx_gt_u32_e32 0x43f00000, v5
	s_xor_b32 s2, exec_lo, s2
	s_cbranch_execz .LBB22_1957
; %bb.1952:
	s_mov_b32 s3, exec_lo
                                        ; implicit-def: $vgpr4
	v_cmpx_lt_u32_e32 0x3c7fffff, v5
	s_xor_b32 s3, exec_lo, s3
; %bb.1953:
	v_bfe_u32 v4, v2, 20, 1
	v_add3_u32 v4, v2, v4, 0x407ffff
	v_and_b32_e32 v5, 0xff00000, v4
	v_lshrrev_b32_e32 v4, 20, v4
	v_cmp_ne_u32_e32 vcc_lo, 0x7f00000, v5
	v_cndmask_b32_e32 v4, 0x7e, v4, vcc_lo
; %bb.1954:
	s_andn2_saveexec_b32 s3, s3
; %bb.1955:
	v_add_f32_e64 v4, 0x46800000, |v2|
; %bb.1956:
	s_or_b32 exec_lo, exec_lo, s3
                                        ; implicit-def: $vgpr5
.LBB22_1957:
	s_andn2_saveexec_b32 s2, s2
; %bb.1958:
	v_mov_b32_e32 v4, 0x7f
	v_cmp_lt_u32_e32 vcc_lo, 0x7f800000, v5
	v_cndmask_b32_e32 v4, 0x7e, v4, vcc_lo
; %bb.1959:
	s_or_b32 exec_lo, exec_lo, s2
	v_lshrrev_b32_e32 v2, 24, v2
	v_and_or_b32 v2, 0x80, v2, v4
	global_store_byte v[0:1], v2, off
.LBB22_1960:
	s_mov_b32 s2, 0
.LBB22_1961:
	s_andn2_b32 vcc_lo, exec_lo, s2
	s_cbranch_vccnz .LBB22_1971
; %bb.1962:
	v_cvt_f32_f16_e32 v2, v3
	s_mov_b32 s2, exec_lo
                                        ; implicit-def: $vgpr4
	v_and_b32_e32 v5, 0x7fffffff, v2
	v_cmpx_gt_u32_e32 0x47800000, v5
	s_xor_b32 s2, exec_lo, s2
	s_cbranch_execz .LBB22_1968
; %bb.1963:
	s_mov_b32 s3, exec_lo
                                        ; implicit-def: $vgpr4
	v_cmpx_lt_u32_e32 0x387fffff, v5
	s_xor_b32 s3, exec_lo, s3
; %bb.1964:
	v_bfe_u32 v4, v2, 21, 1
	v_add3_u32 v4, v2, v4, 0x80fffff
	v_lshrrev_b32_e32 v4, 21, v4
; %bb.1965:
	s_andn2_saveexec_b32 s3, s3
; %bb.1966:
	v_add_f32_e64 v4, 0x43000000, |v2|
; %bb.1967:
	s_or_b32 exec_lo, exec_lo, s3
                                        ; implicit-def: $vgpr5
.LBB22_1968:
	s_andn2_saveexec_b32 s2, s2
; %bb.1969:
	v_mov_b32_e32 v4, 0x7f
	v_cmp_lt_u32_e32 vcc_lo, 0x7f800000, v5
	v_cndmask_b32_e32 v4, 0x7c, v4, vcc_lo
; %bb.1970:
	s_or_b32 exec_lo, exec_lo, s2
	v_lshrrev_b32_e32 v2, 24, v2
	v_and_or_b32 v2, 0x80, v2, v4
	global_store_byte v[0:1], v2, off
.LBB22_1971:
	s_mov_b32 s2, 0
.LBB22_1972:
	s_andn2_b32 vcc_lo, exec_lo, s2
	s_mov_b32 s2, 0
	s_cbranch_vccnz .LBB22_1979
; %bb.1973:
	s_cmp_gt_i32 s1, 14
	s_mov_b32 s2, -1
	s_cbranch_scc0 .LBB22_1977
; %bb.1974:
	s_cmp_eq_u32 s1, 15
	s_mov_b32 s0, -1
	s_cbranch_scc0 .LBB22_1976
; %bb.1975:
	v_cvt_f32_f16_e32 v2, v3
	v_cmp_o_f16_e32 vcc_lo, v3, v3
	s_mov_b32 s0, 0
	v_bfe_u32 v4, v2, 16, 1
	v_add3_u32 v2, v2, v4, 0x7fff
	v_mov_b32_e32 v4, 0x7fc0
	v_cndmask_b32_sdwa v2, v4, v2, vcc_lo dst_sel:DWORD dst_unused:UNUSED_PAD src0_sel:DWORD src1_sel:WORD_1
	global_store_short v[0:1], v2, off
.LBB22_1976:
	s_mov_b32 s2, 0
.LBB22_1977:
	s_and_b32 vcc_lo, exec_lo, s2
	s_mov_b32 s2, 0
	s_cbranch_vccz .LBB22_1979
; %bb.1978:
	s_cmp_lg_u32 s1, 11
	s_mov_b32 s2, -1
	s_cselect_b32 s0, -1, 0
.LBB22_1979:
	s_and_b32 vcc_lo, exec_lo, s0
	s_cbranch_vccnz .LBB22_2045
.LBB22_1980:
	s_mov_b32 s0, 0
	s_branch .LBB22_1982
.LBB22_1981:
	s_mov_b32 s0, 0
	s_mov_b32 s2, 0
                                        ; implicit-def: $sgpr12
                                        ; implicit-def: $vgpr0_vgpr1
                                        ; implicit-def: $vgpr3
.LBB22_1982:
	s_andn2_b32 s1, s7, exec_lo
	s_and_b32 s3, s4, exec_lo
	s_and_b32 s0, s0, exec_lo
	;; [unrolled: 1-line block ×3, first 2 shown]
	s_or_b32 s7, s1, s3
.LBB22_1983:
	s_or_b32 exec_lo, exec_lo, s6
	s_and_saveexec_b32 s1, s7
	s_cbranch_execz .LBB22_1986
; %bb.1984:
	; divergent unreachable
	s_or_b32 exec_lo, exec_lo, s1
	s_and_saveexec_b32 s1, s4
	s_xor_b32 s1, exec_lo, s1
	s_cbranch_execnz .LBB22_1987
.LBB22_1985:
	s_or_b32 exec_lo, exec_lo, s1
	s_and_saveexec_b32 s1, s0
	s_cbranch_execnz .LBB22_1988
	s_branch .LBB22_2025
.LBB22_1986:
	s_or_b32 exec_lo, exec_lo, s1
	s_and_saveexec_b32 s1, s4
	s_xor_b32 s1, exec_lo, s1
	s_cbranch_execz .LBB22_1985
.LBB22_1987:
	s_waitcnt vmcnt(0)
	v_cmp_neq_f16_e32 vcc_lo, 0, v3
	v_cndmask_b32_e64 v2, 0, 1, vcc_lo
	global_store_byte v[0:1], v2, off
	s_or_b32 exec_lo, exec_lo, s1
	s_and_saveexec_b32 s1, s0
	s_cbranch_execz .LBB22_2025
.LBB22_1988:
	s_sext_i32_i16 s1, s12
	s_mov_b32 s0, -1
	s_cmp_lt_i32 s1, 5
	s_cbranch_scc1 .LBB22_2009
; %bb.1989:
	s_cmp_lt_i32 s1, 8
	s_cbranch_scc1 .LBB22_1999
; %bb.1990:
	;; [unrolled: 3-line block ×3, first 2 shown]
	s_cmp_gt_i32 s1, 9
	s_cbranch_scc0 .LBB22_1993
; %bb.1992:
	s_waitcnt vmcnt(0)
	v_cvt_f32_f16_e32 v2, v3
	v_mov_b32_e32 v6, 0
	s_mov_b32 s0, 0
	v_cvt_f64_f32_e32 v[4:5], v2
	v_mov_b32_e32 v7, v6
	global_store_dwordx4 v[0:1], v[4:7], off
.LBB22_1993:
	s_andn2_b32 vcc_lo, exec_lo, s0
	s_cbranch_vccnz .LBB22_1995
; %bb.1994:
	s_waitcnt vmcnt(0)
	v_cvt_f32_f16_e32 v4, v3
	v_mov_b32_e32 v5, 0
	global_store_dwordx2 v[0:1], v[4:5], off
.LBB22_1995:
	s_mov_b32 s0, 0
.LBB22_1996:
	s_andn2_b32 vcc_lo, exec_lo, s0
	s_cbranch_vccnz .LBB22_1998
; %bb.1997:
	s_waitcnt vmcnt(0)
	v_and_b32_e32 v2, 0xffff, v3
	global_store_dword v[0:1], v2, off
.LBB22_1998:
	s_mov_b32 s0, 0
.LBB22_1999:
	s_andn2_b32 vcc_lo, exec_lo, s0
	s_cbranch_vccnz .LBB22_2008
; %bb.2000:
	s_sext_i32_i16 s1, s12
	s_mov_b32 s0, -1
	s_cmp_lt_i32 s1, 6
	s_cbranch_scc1 .LBB22_2006
; %bb.2001:
	s_cmp_gt_i32 s1, 6
	s_cbranch_scc0 .LBB22_2003
; %bb.2002:
	s_waitcnt vmcnt(0)
	v_cvt_f32_f16_e32 v2, v3
	s_mov_b32 s0, 0
	v_cvt_f64_f32_e32 v[4:5], v2
	global_store_dwordx2 v[0:1], v[4:5], off
.LBB22_2003:
	s_andn2_b32 vcc_lo, exec_lo, s0
	s_cbranch_vccnz .LBB22_2005
; %bb.2004:
	s_waitcnt vmcnt(0)
	v_cvt_f32_f16_e32 v2, v3
	global_store_dword v[0:1], v2, off
.LBB22_2005:
	s_mov_b32 s0, 0
.LBB22_2006:
	s_andn2_b32 vcc_lo, exec_lo, s0
	s_cbranch_vccnz .LBB22_2008
; %bb.2007:
	s_waitcnt vmcnt(0)
	global_store_short v[0:1], v3, off
.LBB22_2008:
	s_mov_b32 s0, 0
.LBB22_2009:
	s_andn2_b32 vcc_lo, exec_lo, s0
	s_cbranch_vccnz .LBB22_2025
; %bb.2010:
	s_sext_i32_i16 s1, s12
	s_mov_b32 s0, -1
	s_cmp_lt_i32 s1, 2
	s_cbranch_scc1 .LBB22_2020
; %bb.2011:
	s_cmp_lt_i32 s1, 3
	s_cbranch_scc1 .LBB22_2017
; %bb.2012:
	s_cmp_gt_i32 s1, 3
	s_cbranch_scc0 .LBB22_2014
; %bb.2013:
	s_waitcnt vmcnt(0)
	v_cvt_f32_f16_e32 v2, v3
	s_mov_b32 s0, 0
	v_cvt_i32_f32_e32 v4, v2
	v_ashrrev_i32_e32 v5, 31, v4
	global_store_dwordx2 v[0:1], v[4:5], off
.LBB22_2014:
	s_andn2_b32 vcc_lo, exec_lo, s0
	s_cbranch_vccnz .LBB22_2016
; %bb.2015:
	s_waitcnt vmcnt(0)
	v_cvt_f32_f16_e32 v2, v3
	v_cvt_i32_f32_e32 v2, v2
	global_store_dword v[0:1], v2, off
.LBB22_2016:
	s_mov_b32 s0, 0
.LBB22_2017:
	s_andn2_b32 vcc_lo, exec_lo, s0
	s_cbranch_vccnz .LBB22_2019
; %bb.2018:
	s_waitcnt vmcnt(0)
	v_cvt_i16_f16_e32 v2, v3
	global_store_short v[0:1], v2, off
.LBB22_2019:
	s_mov_b32 s0, 0
.LBB22_2020:
	s_andn2_b32 vcc_lo, exec_lo, s0
	s_cbranch_vccnz .LBB22_2025
; %bb.2021:
	s_sext_i32_i16 s0, s12
	s_cmp_gt_i32 s0, 0
	s_mov_b32 s0, -1
	s_cbranch_scc0 .LBB22_2023
; %bb.2022:
	s_waitcnt vmcnt(0)
	v_cvt_i16_f16_e32 v2, v3
	s_mov_b32 s0, 0
	global_store_byte v[0:1], v2, off
.LBB22_2023:
	s_andn2_b32 vcc_lo, exec_lo, s0
	s_cbranch_vccnz .LBB22_2025
; %bb.2024:
	s_waitcnt vmcnt(0)
	v_cvt_f32_f16_e32 v2, v3
	v_cvt_i32_f32_e32 v2, v2
	global_store_byte v[0:1], v2, off
	s_endpgm
.LBB22_2025:
	s_endpgm
.LBB22_2026:
	s_mov_b32 s2, 0
	s_mov_b32 s0, -1
	s_branch .LBB22_1982
.LBB22_2027:
	s_or_b32 s4, s4, exec_lo
	s_trap 2
	s_cbranch_execz .LBB22_1496
	s_branch .LBB22_1497
.LBB22_2028:
	s_andn2_saveexec_b32 s11, s11
	s_cbranch_execz .LBB22_1576
.LBB22_2029:
	v_add_f32_e64 v8, 0x46000000, |v7|
	s_andn2_b32 s10, s10, exec_lo
	v_and_b32_e32 v8, 0xff, v8
	v_cmp_ne_u32_e32 vcc_lo, 0, v8
	s_and_b32 s13, vcc_lo, exec_lo
	s_or_b32 s10, s10, s13
	s_or_b32 exec_lo, exec_lo, s11
	v_mov_b32_e32 v9, 0
	s_and_saveexec_b32 s11, s10
	s_cbranch_execnz .LBB22_1577
	s_branch .LBB22_1578
.LBB22_2030:
	s_or_b32 s4, s4, exec_lo
	s_trap 2
	s_cbranch_execz .LBB22_1624
	s_branch .LBB22_1625
.LBB22_2031:
	s_andn2_saveexec_b32 s10, s10
	s_cbranch_execz .LBB22_1589
.LBB22_2032:
	v_add_f32_e64 v8, 0x42800000, |v7|
	s_andn2_b32 s5, s5, exec_lo
	v_and_b32_e32 v8, 0xff, v8
	v_cmp_ne_u32_e32 vcc_lo, 0, v8
	s_and_b32 s11, vcc_lo, exec_lo
	s_or_b32 s5, s5, s11
	s_or_b32 exec_lo, exec_lo, s10
	v_mov_b32_e32 v9, 0
	s_and_saveexec_b32 s10, s5
	s_cbranch_execnz .LBB22_1590
	s_branch .LBB22_1591
.LBB22_2033:
	s_andn2_saveexec_b32 s11, s11
	s_cbranch_execz .LBB22_1695
.LBB22_2034:
	v_add_f32_e64 v7, 0x46000000, |v4|
	s_andn2_b32 s10, s10, exec_lo
	v_and_b32_e32 v7, 0xff, v7
	v_cmp_ne_u32_e32 vcc_lo, 0, v7
	s_and_b32 s13, vcc_lo, exec_lo
	s_or_b32 s10, s10, s13
	s_or_b32 exec_lo, exec_lo, s11
	v_mov_b32_e32 v8, 0
	s_and_saveexec_b32 s11, s10
	s_cbranch_execnz .LBB22_1696
	s_branch .LBB22_1697
.LBB22_2035:
	s_or_b32 s4, s4, exec_lo
	s_trap 2
	s_cbranch_execz .LBB22_1743
	s_branch .LBB22_1744
.LBB22_2036:
	s_andn2_saveexec_b32 s10, s10
	s_cbranch_execz .LBB22_1708
.LBB22_2037:
	v_add_f32_e64 v7, 0x42800000, |v4|
	s_andn2_b32 s5, s5, exec_lo
	v_and_b32_e32 v7, 0xff, v7
	v_cmp_ne_u32_e32 vcc_lo, 0, v7
	s_and_b32 s11, vcc_lo, exec_lo
	s_or_b32 s5, s5, s11
	s_or_b32 exec_lo, exec_lo, s10
	v_mov_b32_e32 v8, 0
	s_and_saveexec_b32 s10, s5
	s_cbranch_execnz .LBB22_1709
	s_branch .LBB22_1710
.LBB22_2038:
	s_andn2_saveexec_b32 s11, s11
	s_cbranch_execz .LBB22_1814
.LBB22_2039:
	v_add_f32_e64 v5, 0x46000000, |v4|
	s_andn2_b32 s10, s10, exec_lo
	v_and_b32_e32 v5, 0xff, v5
	v_cmp_ne_u32_e32 vcc_lo, 0, v5
	s_and_b32 s13, vcc_lo, exec_lo
	s_or_b32 s10, s10, s13
	s_or_b32 exec_lo, exec_lo, s11
	v_mov_b32_e32 v7, 0
	s_and_saveexec_b32 s11, s10
	s_cbranch_execnz .LBB22_1815
	s_branch .LBB22_1816
.LBB22_2040:
	s_or_b32 s4, s4, exec_lo
	s_trap 2
	s_cbranch_execz .LBB22_1862
	s_branch .LBB22_1863
.LBB22_2041:
	s_andn2_saveexec_b32 s10, s10
	s_cbranch_execz .LBB22_1827
.LBB22_2042:
	v_add_f32_e64 v5, 0x42800000, |v4|
	s_andn2_b32 s5, s5, exec_lo
	v_and_b32_e32 v5, 0xff, v5
	v_cmp_ne_u32_e32 vcc_lo, 0, v5
	s_and_b32 s11, vcc_lo, exec_lo
	s_or_b32 s5, s5, s11
	s_or_b32 exec_lo, exec_lo, s10
	v_mov_b32_e32 v7, 0
	s_and_saveexec_b32 s10, s5
	s_cbranch_execnz .LBB22_1828
	s_branch .LBB22_1829
.LBB22_2043:
	s_andn2_saveexec_b32 s8, s8
	s_cbranch_execz .LBB22_1934
.LBB22_2044:
	v_add_f32_e64 v4, 0x46000000, |v2|
	s_andn2_b32 s5, s5, exec_lo
	v_and_b32_e32 v4, 0xff, v4
	v_cmp_ne_u32_e32 vcc_lo, 0, v4
	s_and_b32 s9, vcc_lo, exec_lo
	s_or_b32 s5, s5, s9
	s_or_b32 exec_lo, exec_lo, s8
	v_mov_b32_e32 v5, 0
	s_and_saveexec_b32 s8, s5
	s_cbranch_execnz .LBB22_1935
	s_branch .LBB22_1936
.LBB22_2045:
	s_mov_b32 s2, 0
	s_or_b32 s4, s4, exec_lo
	s_trap 2
	s_branch .LBB22_1980
.LBB22_2046:
	s_andn2_saveexec_b32 s5, s5
	s_cbranch_execz .LBB22_1946
.LBB22_2047:
	v_add_f32_e64 v4, 0x42800000, |v2|
	s_andn2_b32 s3, s3, exec_lo
	v_and_b32_e32 v4, 0xff, v4
	v_cmp_ne_u32_e32 vcc_lo, 0, v4
	s_and_b32 s8, vcc_lo, exec_lo
	s_or_b32 s3, s3, s8
	s_or_b32 exec_lo, exec_lo, s5
	v_mov_b32_e32 v5, 0
	s_and_saveexec_b32 s5, s3
	s_cbranch_execnz .LBB22_1947
	s_branch .LBB22_1948
	.section	.rodata,"a",@progbits
	.p2align	6, 0x0
	.amdhsa_kernel _ZN2at6native32elementwise_kernel_manual_unrollILi128ELi4EZNS0_15gpu_kernel_implIZZZNS0_16atan_kernel_cudaERNS_18TensorIteratorBaseEENKUlvE0_clEvENKUlvE1_clEvEUlN3c104HalfEE_EEvS4_RKT_EUlibE_EEviT1_
		.amdhsa_group_segment_fixed_size 0
		.amdhsa_private_segment_fixed_size 0
		.amdhsa_kernarg_size 40
		.amdhsa_user_sgpr_count 6
		.amdhsa_user_sgpr_private_segment_buffer 1
		.amdhsa_user_sgpr_dispatch_ptr 0
		.amdhsa_user_sgpr_queue_ptr 0
		.amdhsa_user_sgpr_kernarg_segment_ptr 1
		.amdhsa_user_sgpr_dispatch_id 0
		.amdhsa_user_sgpr_flat_scratch_init 0
		.amdhsa_user_sgpr_private_segment_size 0
		.amdhsa_wavefront_size32 1
		.amdhsa_uses_dynamic_stack 0
		.amdhsa_system_sgpr_private_segment_wavefront_offset 0
		.amdhsa_system_sgpr_workgroup_id_x 1
		.amdhsa_system_sgpr_workgroup_id_y 0
		.amdhsa_system_sgpr_workgroup_id_z 0
		.amdhsa_system_sgpr_workgroup_info 0
		.amdhsa_system_vgpr_workitem_id 0
		.amdhsa_next_free_vgpr 12
		.amdhsa_next_free_sgpr 26
		.amdhsa_reserve_vcc 1
		.amdhsa_reserve_flat_scratch 0
		.amdhsa_float_round_mode_32 0
		.amdhsa_float_round_mode_16_64 0
		.amdhsa_float_denorm_mode_32 3
		.amdhsa_float_denorm_mode_16_64 3
		.amdhsa_dx10_clamp 1
		.amdhsa_ieee_mode 1
		.amdhsa_fp16_overflow 0
		.amdhsa_workgroup_processor_mode 1
		.amdhsa_memory_ordered 1
		.amdhsa_forward_progress 1
		.amdhsa_shared_vgpr_count 0
		.amdhsa_exception_fp_ieee_invalid_op 0
		.amdhsa_exception_fp_denorm_src 0
		.amdhsa_exception_fp_ieee_div_zero 0
		.amdhsa_exception_fp_ieee_overflow 0
		.amdhsa_exception_fp_ieee_underflow 0
		.amdhsa_exception_fp_ieee_inexact 0
		.amdhsa_exception_int_div_zero 0
	.end_amdhsa_kernel
	.section	.text._ZN2at6native32elementwise_kernel_manual_unrollILi128ELi4EZNS0_15gpu_kernel_implIZZZNS0_16atan_kernel_cudaERNS_18TensorIteratorBaseEENKUlvE0_clEvENKUlvE1_clEvEUlN3c104HalfEE_EEvS4_RKT_EUlibE_EEviT1_,"axG",@progbits,_ZN2at6native32elementwise_kernel_manual_unrollILi128ELi4EZNS0_15gpu_kernel_implIZZZNS0_16atan_kernel_cudaERNS_18TensorIteratorBaseEENKUlvE0_clEvENKUlvE1_clEvEUlN3c104HalfEE_EEvS4_RKT_EUlibE_EEviT1_,comdat
.Lfunc_end22:
	.size	_ZN2at6native32elementwise_kernel_manual_unrollILi128ELi4EZNS0_15gpu_kernel_implIZZZNS0_16atan_kernel_cudaERNS_18TensorIteratorBaseEENKUlvE0_clEvENKUlvE1_clEvEUlN3c104HalfEE_EEvS4_RKT_EUlibE_EEviT1_, .Lfunc_end22-_ZN2at6native32elementwise_kernel_manual_unrollILi128ELi4EZNS0_15gpu_kernel_implIZZZNS0_16atan_kernel_cudaERNS_18TensorIteratorBaseEENKUlvE0_clEvENKUlvE1_clEvEUlN3c104HalfEE_EEvS4_RKT_EUlibE_EEviT1_
                                        ; -- End function
	.set _ZN2at6native32elementwise_kernel_manual_unrollILi128ELi4EZNS0_15gpu_kernel_implIZZZNS0_16atan_kernel_cudaERNS_18TensorIteratorBaseEENKUlvE0_clEvENKUlvE1_clEvEUlN3c104HalfEE_EEvS4_RKT_EUlibE_EEviT1_.num_vgpr, 12
	.set _ZN2at6native32elementwise_kernel_manual_unrollILi128ELi4EZNS0_15gpu_kernel_implIZZZNS0_16atan_kernel_cudaERNS_18TensorIteratorBaseEENKUlvE0_clEvENKUlvE1_clEvEUlN3c104HalfEE_EEvS4_RKT_EUlibE_EEviT1_.num_agpr, 0
	.set _ZN2at6native32elementwise_kernel_manual_unrollILi128ELi4EZNS0_15gpu_kernel_implIZZZNS0_16atan_kernel_cudaERNS_18TensorIteratorBaseEENKUlvE0_clEvENKUlvE1_clEvEUlN3c104HalfEE_EEvS4_RKT_EUlibE_EEviT1_.numbered_sgpr, 26
	.set _ZN2at6native32elementwise_kernel_manual_unrollILi128ELi4EZNS0_15gpu_kernel_implIZZZNS0_16atan_kernel_cudaERNS_18TensorIteratorBaseEENKUlvE0_clEvENKUlvE1_clEvEUlN3c104HalfEE_EEvS4_RKT_EUlibE_EEviT1_.num_named_barrier, 0
	.set _ZN2at6native32elementwise_kernel_manual_unrollILi128ELi4EZNS0_15gpu_kernel_implIZZZNS0_16atan_kernel_cudaERNS_18TensorIteratorBaseEENKUlvE0_clEvENKUlvE1_clEvEUlN3c104HalfEE_EEvS4_RKT_EUlibE_EEviT1_.private_seg_size, 0
	.set _ZN2at6native32elementwise_kernel_manual_unrollILi128ELi4EZNS0_15gpu_kernel_implIZZZNS0_16atan_kernel_cudaERNS_18TensorIteratorBaseEENKUlvE0_clEvENKUlvE1_clEvEUlN3c104HalfEE_EEvS4_RKT_EUlibE_EEviT1_.uses_vcc, 1
	.set _ZN2at6native32elementwise_kernel_manual_unrollILi128ELi4EZNS0_15gpu_kernel_implIZZZNS0_16atan_kernel_cudaERNS_18TensorIteratorBaseEENKUlvE0_clEvENKUlvE1_clEvEUlN3c104HalfEE_EEvS4_RKT_EUlibE_EEviT1_.uses_flat_scratch, 0
	.set _ZN2at6native32elementwise_kernel_manual_unrollILi128ELi4EZNS0_15gpu_kernel_implIZZZNS0_16atan_kernel_cudaERNS_18TensorIteratorBaseEENKUlvE0_clEvENKUlvE1_clEvEUlN3c104HalfEE_EEvS4_RKT_EUlibE_EEviT1_.has_dyn_sized_stack, 0
	.set _ZN2at6native32elementwise_kernel_manual_unrollILi128ELi4EZNS0_15gpu_kernel_implIZZZNS0_16atan_kernel_cudaERNS_18TensorIteratorBaseEENKUlvE0_clEvENKUlvE1_clEvEUlN3c104HalfEE_EEvS4_RKT_EUlibE_EEviT1_.has_recursion, 0
	.set _ZN2at6native32elementwise_kernel_manual_unrollILi128ELi4EZNS0_15gpu_kernel_implIZZZNS0_16atan_kernel_cudaERNS_18TensorIteratorBaseEENKUlvE0_clEvENKUlvE1_clEvEUlN3c104HalfEE_EEvS4_RKT_EUlibE_EEviT1_.has_indirect_call, 0
	.section	.AMDGPU.csdata,"",@progbits
; Kernel info:
; codeLenInByte = 35736
; TotalNumSgprs: 28
; NumVgprs: 12
; ScratchSize: 0
; MemoryBound: 0
; FloatMode: 240
; IeeeMode: 1
; LDSByteSize: 0 bytes/workgroup (compile time only)
; SGPRBlocks: 0
; VGPRBlocks: 1
; NumSGPRsForWavesPerEU: 28
; NumVGPRsForWavesPerEU: 12
; Occupancy: 16
; WaveLimiterHint : 0
; COMPUTE_PGM_RSRC2:SCRATCH_EN: 0
; COMPUTE_PGM_RSRC2:USER_SGPR: 6
; COMPUTE_PGM_RSRC2:TRAP_HANDLER: 0
; COMPUTE_PGM_RSRC2:TGID_X_EN: 1
; COMPUTE_PGM_RSRC2:TGID_Y_EN: 0
; COMPUTE_PGM_RSRC2:TGID_Z_EN: 0
; COMPUTE_PGM_RSRC2:TIDIG_COMP_CNT: 0
	.section	.text._ZN2at6native32elementwise_kernel_manual_unrollILi128ELi4EZNS0_15gpu_kernel_implIZZZNS0_16atan_kernel_cudaERNS_18TensorIteratorBaseEENKUlvE0_clEvENKUlvE1_clEvEUlN3c104HalfEE_EEvS4_RKT_EUlibE0_EEviT1_,"axG",@progbits,_ZN2at6native32elementwise_kernel_manual_unrollILi128ELi4EZNS0_15gpu_kernel_implIZZZNS0_16atan_kernel_cudaERNS_18TensorIteratorBaseEENKUlvE0_clEvENKUlvE1_clEvEUlN3c104HalfEE_EEvS4_RKT_EUlibE0_EEviT1_,comdat
	.globl	_ZN2at6native32elementwise_kernel_manual_unrollILi128ELi4EZNS0_15gpu_kernel_implIZZZNS0_16atan_kernel_cudaERNS_18TensorIteratorBaseEENKUlvE0_clEvENKUlvE1_clEvEUlN3c104HalfEE_EEvS4_RKT_EUlibE0_EEviT1_ ; -- Begin function _ZN2at6native32elementwise_kernel_manual_unrollILi128ELi4EZNS0_15gpu_kernel_implIZZZNS0_16atan_kernel_cudaERNS_18TensorIteratorBaseEENKUlvE0_clEvENKUlvE1_clEvEUlN3c104HalfEE_EEvS4_RKT_EUlibE0_EEviT1_
	.p2align	8
	.type	_ZN2at6native32elementwise_kernel_manual_unrollILi128ELi4EZNS0_15gpu_kernel_implIZZZNS0_16atan_kernel_cudaERNS_18TensorIteratorBaseEENKUlvE0_clEvENKUlvE1_clEvEUlN3c104HalfEE_EEvS4_RKT_EUlibE0_EEviT1_,@function
_ZN2at6native32elementwise_kernel_manual_unrollILi128ELi4EZNS0_15gpu_kernel_implIZZZNS0_16atan_kernel_cudaERNS_18TensorIteratorBaseEENKUlvE0_clEvENKUlvE1_clEvEUlN3c104HalfEE_EEvS4_RKT_EUlibE0_EEviT1_: ; @_ZN2at6native32elementwise_kernel_manual_unrollILi128ELi4EZNS0_15gpu_kernel_implIZZZNS0_16atan_kernel_cudaERNS_18TensorIteratorBaseEENKUlvE0_clEvENKUlvE1_clEvEUlN3c104HalfEE_EEvS4_RKT_EUlibE0_EEviT1_
; %bb.0:
	s_clause 0x1
	s_load_dword s24, s[4:5], 0x8
	s_load_dword s33, s[4:5], 0x0
	v_lshl_or_b32 v8, s6, 9, v0
	s_add_u32 s2, s4, 8
	s_addc_u32 s3, s5, 0
	s_mov_b32 s1, -1
	s_mov_b32 s26, 0
	v_or_b32_e32 v15, 0x180, v8
	s_mov_b32 s12, 0
	s_mov_b32 s0, exec_lo
	s_waitcnt lgkmcnt(0)
	s_add_i32 s25, s24, -1
	s_cmp_gt_u32 s25, 1
	s_cselect_b32 s27, -1, 0
	v_cmpx_le_i32_e64 s33, v15
	s_xor_b32 s28, exec_lo, s0
	s_cbranch_execz .LBB23_1089
; %bb.1:
	v_mov_b32_e32 v0, 0
	s_clause 0x3
	s_load_dwordx4 s[16:19], s[2:3], 0x4
	s_load_dwordx2 s[6:7], s[2:3], 0x14
	s_load_dwordx4 s[12:15], s[2:3], 0xc4
	s_load_dwordx4 s[8:11], s[2:3], 0x148
	s_cmp_lg_u32 s24, 0
	s_mov_b32 s39, 0
	s_cselect_b32 s34, -1, 0
	global_load_ushort v0, v0, s[2:3] offset:345
	s_add_u32 s20, s2, 0xc4
	s_addc_u32 s21, s3, 0
	s_min_u32 s35, s25, 15
	s_cmp_gt_u32 s24, 1
	s_mov_b32 s37, 0
	s_cselect_b32 s31, -1, 0
	s_mov_b32 s36, 0
	s_mov_b32 s38, exec_lo
	s_waitcnt vmcnt(0)
	v_readfirstlane_b32 s29, v0
	s_and_b32 s0, 0xffff, s29
	s_lshr_b32 s30, s0, 8
	v_cmpx_gt_i32_e64 s33, v8
	s_cbranch_execz .LBB23_266
; %bb.2:
	s_andn2_b32 vcc_lo, exec_lo, s27
	s_cbranch_vccnz .LBB23_7
; %bb.3:
	s_andn2_b32 vcc_lo, exec_lo, s34
	s_cbranch_vccnz .LBB23_8
; %bb.4:
	s_add_i32 s37, s35, 1
	s_cmp_eq_u32 s25, 2
	s_cbranch_scc1 .LBB23_9
; %bb.5:
	v_mov_b32_e32 v2, 0
	v_mov_b32_e32 v0, 0
	v_mov_b32_e32 v1, v8
	s_and_b32 s36, s37, 28
	s_mov_b32 s40, 0
	s_mov_b64 s[0:1], s[2:3]
	s_mov_b64 s[22:23], s[20:21]
.LBB23_6:                               ; =>This Inner Loop Header: Depth=1
	s_clause 0x1
	s_load_dwordx8 s[44:51], s[0:1], 0x4
	s_load_dwordx4 s[60:63], s[0:1], 0x24
	s_load_dwordx8 s[52:59], s[22:23], 0x0
	s_add_u32 s0, s0, 48
	s_addc_u32 s1, s1, 0
	s_add_i32 s40, s40, 4
	s_add_u32 s22, s22, 32
	s_addc_u32 s23, s23, 0
	s_cmp_lg_u32 s36, s40
	s_waitcnt lgkmcnt(0)
	v_mul_hi_u32 v3, s45, v1
	v_add_nc_u32_e32 v3, v1, v3
	v_lshrrev_b32_e32 v3, s46, v3
	v_mul_hi_u32 v4, s48, v3
	v_mul_lo_u32 v6, v3, s44
	v_add_nc_u32_e32 v4, v3, v4
	v_sub_nc_u32_e32 v1, v1, v6
	v_lshrrev_b32_e32 v4, s49, v4
	v_mul_lo_u32 v6, v1, s52
	v_mul_lo_u32 v9, v1, s53
	v_mul_hi_u32 v5, s51, v4
	v_add_nc_u32_e32 v5, v4, v5
	v_lshrrev_b32_e32 v5, s60, v5
	v_mul_hi_u32 v7, s62, v5
	v_mul_lo_u32 v10, v5, s50
	v_add_nc_u32_e32 v1, v5, v7
	v_mul_lo_u32 v7, v4, s47
	v_sub_nc_u32_e32 v4, v4, v10
	v_lshrrev_b32_e32 v1, s63, v1
	v_mul_lo_u32 v10, v4, s56
	v_mul_lo_u32 v4, v4, s57
	v_sub_nc_u32_e32 v3, v3, v7
	v_mul_lo_u32 v11, v1, s61
	v_mul_lo_u32 v7, v3, s54
	;; [unrolled: 1-line block ×3, first 2 shown]
	v_sub_nc_u32_e32 v5, v5, v11
	v_add3_u32 v0, v6, v0, v7
	v_mul_lo_u32 v11, v5, s58
	v_mul_lo_u32 v5, v5, s59
	v_add3_u32 v2, v9, v2, v3
	v_add3_u32 v0, v10, v0, v11
	;; [unrolled: 1-line block ×3, first 2 shown]
	s_cbranch_scc1 .LBB23_6
	s_branch .LBB23_10
.LBB23_7:
                                        ; implicit-def: $vgpr0
                                        ; implicit-def: $vgpr2
	s_branch .LBB23_14
.LBB23_8:
	v_mov_b32_e32 v0, 0
	v_mov_b32_e32 v2, 0
	s_branch .LBB23_13
.LBB23_9:
	v_mov_b32_e32 v0, 0
	v_mov_b32_e32 v2, 0
	;; [unrolled: 1-line block ×3, first 2 shown]
.LBB23_10:
	s_and_b32 s37, s37, 3
	s_cmp_eq_u32 s37, 0
	s_cbranch_scc1 .LBB23_13
; %bb.11:
	s_lshl_b32 s0, s36, 3
	s_mul_i32 s22, s36, 12
	s_add_u32 s0, s2, s0
	s_addc_u32 s1, s3, 0
	s_add_u32 s0, s0, 0xc4
	s_addc_u32 s1, s1, 0
	;; [unrolled: 2-line block ×3, first 2 shown]
	.p2align	6
.LBB23_12:                              ; =>This Inner Loop Header: Depth=1
	s_clause 0x1
	s_load_dwordx2 s[40:41], s[22:23], 0x4
	s_load_dword s36, s[22:23], 0xc
	s_load_dwordx2 s[42:43], s[0:1], 0x0
	s_add_u32 s22, s22, 12
	s_addc_u32 s23, s23, 0
	s_add_u32 s0, s0, 8
	s_addc_u32 s1, s1, 0
	s_add_i32 s37, s37, -1
	s_cmp_lg_u32 s37, 0
	s_waitcnt lgkmcnt(0)
	v_mul_hi_u32 v3, s41, v1
	v_add_nc_u32_e32 v3, v1, v3
	v_lshrrev_b32_e32 v4, s36, v3
	v_mul_lo_u32 v3, v4, s40
	v_sub_nc_u32_e32 v3, v1, v3
	v_mad_u64_u32 v[0:1], null, v3, s42, v[0:1]
	v_mad_u64_u32 v[2:3], null, v3, s43, v[2:3]
	v_mov_b32_e32 v1, v4
	s_cbranch_scc1 .LBB23_12
.LBB23_13:
	s_cbranch_execnz .LBB23_16
.LBB23_14:
	s_waitcnt lgkmcnt(0)
	v_mul_hi_u32 v0, s17, v8
	s_andn2_b32 vcc_lo, exec_lo, s31
	v_add_nc_u32_e32 v0, v8, v0
	v_lshrrev_b32_e32 v1, s18, v0
	v_mul_lo_u32 v0, v1, s16
	v_sub_nc_u32_e32 v2, v8, v0
	v_mul_lo_u32 v0, v2, s12
	v_mul_lo_u32 v2, v2, s13
	s_cbranch_vccnz .LBB23_16
; %bb.15:
	v_mul_hi_u32 v3, s6, v1
	v_add_nc_u32_e32 v3, v1, v3
	v_lshrrev_b32_e32 v3, s7, v3
	v_mul_lo_u32 v3, v3, s19
	v_sub_nc_u32_e32 v3, v1, v3
	v_mad_u64_u32 v[0:1], null, v3, s14, v[0:1]
	v_mad_u64_u32 v[2:3], null, v3, s15, v[2:3]
.LBB23_16:
	s_waitcnt lgkmcnt(0)
	v_add_co_u32 v1, s0, s10, v2
	v_add_co_ci_u32_e64 v2, null, s11, 0, s0
	s_and_b32 s0, 0xffff, s30
	s_cmp_lt_i32 s0, 11
	s_cbranch_scc1 .LBB23_23
; %bb.17:
	s_cmp_gt_i32 s0, 25
	s_cbranch_scc0 .LBB23_32
; %bb.18:
	s_cmp_gt_i32 s0, 28
	s_cbranch_scc0 .LBB23_35
; %bb.19:
	s_cmp_gt_i32 s0, 43
	s_cbranch_scc0 .LBB23_37
; %bb.20:
	s_cmp_gt_i32 s0, 45
	s_cbranch_scc0 .LBB23_39
; %bb.21:
	s_cmp_eq_u32 s0, 46
	s_mov_b32 s23, 0
	s_cbranch_scc0 .LBB23_41
; %bb.22:
	global_load_dword v3, v[1:2], off
	s_mov_b32 s22, -1
	s_mov_b32 s1, 0
	s_waitcnt vmcnt(0)
	v_lshlrev_b32_e32 v3, 16, v3
	v_cvt_f16_f32_e32 v3, v3
	s_branch .LBB23_43
.LBB23_23:
	s_mov_b32 s1, 0
	s_mov_b32 s22, 0
                                        ; implicit-def: $vgpr3
	s_cbranch_execnz .LBB23_216
.LBB23_24:
	s_andn2_b32 vcc_lo, exec_lo, s22
	s_cbranch_vccnz .LBB23_263
.LBB23_25:
	s_waitcnt vmcnt(0)
	v_cvt_f32_f16_e32 v1, v3
	s_mov_b32 s0, 0x3b2d2a58
	s_and_b32 s22, s29, 0xff
	s_cmp_lt_i32 s22, 11
	v_rcp_f32_e64 v2, |v1|
	v_cmp_gt_f32_e64 vcc_lo, |v1|, 1.0
	v_cndmask_b32_e64 v1, |v1|, v2, vcc_lo
	v_mul_f32_e32 v2, v1, v1
	v_fmaak_f32 v4, s0, v2, 0xbc7a590c
	v_add_co_u32 v0, s0, s8, v0
	v_fmaak_f32 v4, v2, v4, 0x3d29fb3f
	v_fmaak_f32 v4, v2, v4, 0xbd97d4d7
	;; [unrolled: 1-line block ×6, first 2 shown]
	v_mul_f32_e32 v2, v2, v4
	v_fmac_f32_e32 v1, v1, v2
	v_sub_f32_e32 v2, 0x3fc90fdb, v1
	v_cndmask_b32_e32 v1, v1, v2, vcc_lo
	v_cvt_f16_f32_e32 v2, v1
	v_add_co_ci_u32_e64 v1, null, s9, 0, s0
	v_bfi_b32 v2, 0x7fff, v2, v3
	s_cbranch_scc1 .LBB23_33
; %bb.26:
	s_and_b32 s23, 0xffff, s22
	s_cmp_gt_i32 s23, 25
	s_cbranch_scc0 .LBB23_36
; %bb.27:
	s_cmp_gt_i32 s23, 28
	s_cbranch_scc0 .LBB23_38
; %bb.28:
	;; [unrolled: 3-line block ×4, first 2 shown]
	s_mov_b32 s37, 0
	s_mov_b32 s0, -1
	s_cmp_eq_u32 s23, 46
	s_mov_b32 s36, 0
	s_cbranch_scc0 .LBB23_47
; %bb.31:
	v_cvt_f32_f16_e32 v3, v2
	v_cmp_o_f16_e32 vcc_lo, v2, v2
	s_mov_b32 s36, -1
	s_mov_b32 s0, 0
	v_bfe_u32 v4, v3, 16, 1
	v_add3_u32 v3, v3, v4, 0x7fff
	v_mov_b32_e32 v4, 0x7fc0
	v_cndmask_b32_sdwa v3, v4, v3, vcc_lo dst_sel:DWORD dst_unused:UNUSED_PAD src0_sel:DWORD src1_sel:WORD_1
	global_store_dword v[0:1], v3, off
	s_branch .LBB23_47
.LBB23_32:
	s_mov_b32 s1, 0
	s_mov_b32 s22, 0
                                        ; implicit-def: $vgpr3
	s_cbranch_execnz .LBB23_181
	s_branch .LBB23_215
.LBB23_33:
	s_mov_b32 s0, 0
	s_mov_b32 s36, 0
	s_cbranch_execnz .LBB23_116
.LBB23_34:
	s_andn2_b32 vcc_lo, exec_lo, s36
	s_cbranch_vccz .LBB23_154
	s_branch .LBB23_264
.LBB23_35:
	s_mov_b32 s23, -1
	s_mov_b32 s1, 0
	s_mov_b32 s22, 0
                                        ; implicit-def: $vgpr3
	s_branch .LBB23_162
.LBB23_36:
	s_mov_b32 s37, -1
	s_mov_b32 s0, 0
	s_mov_b32 s36, 0
	s_branch .LBB23_74
.LBB23_37:
	s_mov_b32 s23, -1
	s_mov_b32 s1, 0
	s_mov_b32 s22, 0
                                        ; implicit-def: $vgpr3
	s_branch .LBB23_157
.LBB23_38:
	s_mov_b32 s37, -1
	s_mov_b32 s0, 0
	s_mov_b32 s36, 0
	s_branch .LBB23_57
.LBB23_39:
	s_mov_b32 s23, -1
	s_mov_b32 s1, 0
	s_branch .LBB23_42
.LBB23_40:
	s_mov_b32 s37, -1
	s_mov_b32 s0, 0
	s_mov_b32 s36, 0
	s_branch .LBB23_53
.LBB23_41:
	s_mov_b32 s1, -1
.LBB23_42:
	s_mov_b32 s22, 0
                                        ; implicit-def: $vgpr3
.LBB23_43:
	s_and_b32 vcc_lo, exec_lo, s23
	s_cbranch_vccz .LBB23_156
; %bb.44:
	s_cmp_eq_u32 s0, 44
	s_cbranch_scc0 .LBB23_155
; %bb.45:
	global_load_ubyte v3, v[1:2], off
	s_mov_b32 s1, 0
	s_mov_b32 s22, -1
	s_waitcnt vmcnt(0)
	v_lshlrev_b32_e32 v4, 23, v3
	v_cmp_ne_u32_e32 vcc_lo, 0xff, v3
	v_cvt_f16_f32_e32 v4, v4
	v_cndmask_b32_e32 v4, 0x7e00, v4, vcc_lo
	v_cmp_ne_u32_e32 vcc_lo, 0, v3
	v_cndmask_b32_e32 v3, 0, v4, vcc_lo
	s_branch .LBB23_156
.LBB23_46:
	s_mov_b32 s37, -1
	s_mov_b32 s0, 0
	s_mov_b32 s36, 0
.LBB23_47:
	s_and_b32 vcc_lo, exec_lo, s37
	s_cbranch_vccz .LBB23_52
; %bb.48:
	s_cmp_eq_u32 s23, 44
	s_mov_b32 s0, -1
	s_cbranch_scc0 .LBB23_52
; %bb.49:
	v_cvt_f32_f16_e32 v3, v2
	v_mov_b32_e32 v4, 0xff
	s_mov_b32 s36, exec_lo
	v_bfe_u32 v5, v3, 23, 8
	v_cmpx_ne_u32_e32 0xff, v5
	s_cbranch_execz .LBB23_51
; %bb.50:
	v_and_b32_e32 v4, 0x400000, v3
	v_and_or_b32 v5, 0x3fffff, v3, v5
	v_lshrrev_b32_e32 v3, 23, v3
	v_cmp_ne_u32_e32 vcc_lo, 0, v4
	v_cmp_ne_u32_e64 s0, 0, v5
	s_and_b32 s0, vcc_lo, s0
	v_cndmask_b32_e64 v4, 0, 1, s0
	v_add_nc_u32_e32 v4, v3, v4
.LBB23_51:
	s_or_b32 exec_lo, exec_lo, s36
	s_mov_b32 s36, -1
	s_mov_b32 s0, 0
	global_store_byte v[0:1], v4, off
.LBB23_52:
	s_mov_b32 s37, 0
.LBB23_53:
	s_and_b32 vcc_lo, exec_lo, s37
	s_cbranch_vccz .LBB23_56
; %bb.54:
	s_cmp_eq_u32 s23, 29
	s_mov_b32 s0, -1
	s_cbranch_scc0 .LBB23_56
; %bb.55:
	v_cvt_f32_f16_e32 v3, v2
	v_mov_b32_e32 v4, 0
	s_mov_b32 s36, -1
	s_mov_b32 s0, 0
	s_mov_b32 s37, 0
	v_cvt_u32_f32_e32 v3, v3
	global_store_dwordx2 v[0:1], v[3:4], off
	s_branch .LBB23_57
.LBB23_56:
	s_mov_b32 s37, 0
.LBB23_57:
	s_and_b32 vcc_lo, exec_lo, s37
	s_cbranch_vccz .LBB23_73
; %bb.58:
	s_cmp_lt_i32 s23, 27
	s_mov_b32 s36, -1
	s_cbranch_scc1 .LBB23_64
; %bb.59:
	s_cmp_gt_i32 s23, 27
	s_cbranch_scc0 .LBB23_61
; %bb.60:
	v_cvt_f32_f16_e32 v3, v2
	s_mov_b32 s36, 0
	v_cvt_u32_f32_e32 v3, v3
	global_store_dword v[0:1], v3, off
.LBB23_61:
	s_andn2_b32 vcc_lo, exec_lo, s36
	s_cbranch_vccnz .LBB23_63
; %bb.62:
	v_cvt_u16_f16_e32 v3, v2
	global_store_short v[0:1], v3, off
.LBB23_63:
	s_mov_b32 s36, 0
.LBB23_64:
	s_andn2_b32 vcc_lo, exec_lo, s36
	s_cbranch_vccnz .LBB23_72
; %bb.65:
	v_cvt_f32_f16_e32 v3, v2
	v_mov_b32_e32 v5, 0x80
	s_mov_b32 s36, exec_lo
	v_and_b32_e32 v4, 0x7fffffff, v3
	v_cmpx_gt_u32_e32 0x43800000, v4
	s_cbranch_execz .LBB23_71
; %bb.66:
	v_cmp_lt_u32_e32 vcc_lo, 0x3bffffff, v4
	s_mov_b32 s37, 0
                                        ; implicit-def: $vgpr4
	s_and_saveexec_b32 s40, vcc_lo
	s_xor_b32 s40, exec_lo, s40
	s_cbranch_execz .LBB23_307
; %bb.67:
	v_bfe_u32 v4, v3, 20, 1
	s_mov_b32 s37, exec_lo
	v_add3_u32 v4, v3, v4, 0x487ffff
	v_lshrrev_b32_e32 v4, 20, v4
	s_andn2_saveexec_b32 s40, s40
	s_cbranch_execnz .LBB23_308
.LBB23_68:
	s_or_b32 exec_lo, exec_lo, s40
	v_mov_b32_e32 v5, 0
	s_and_saveexec_b32 s40, s37
.LBB23_69:
	v_lshrrev_b32_e32 v3, 24, v3
	v_and_or_b32 v5, 0x80, v3, v4
.LBB23_70:
	s_or_b32 exec_lo, exec_lo, s40
.LBB23_71:
	s_or_b32 exec_lo, exec_lo, s36
	global_store_byte v[0:1], v5, off
.LBB23_72:
	s_mov_b32 s36, -1
.LBB23_73:
	s_mov_b32 s37, 0
.LBB23_74:
	s_and_b32 vcc_lo, exec_lo, s37
	s_cbranch_vccz .LBB23_115
; %bb.75:
	s_cmp_gt_i32 s23, 22
	s_mov_b32 s37, -1
	s_cbranch_scc0 .LBB23_107
; %bb.76:
	s_cmp_lt_i32 s23, 24
	s_mov_b32 s36, -1
	s_cbranch_scc1 .LBB23_96
; %bb.77:
	s_cmp_gt_i32 s23, 24
	s_cbranch_scc0 .LBB23_85
; %bb.78:
	v_cvt_f32_f16_e32 v3, v2
	v_mov_b32_e32 v5, 0x80
	s_mov_b32 s36, exec_lo
	v_and_b32_e32 v4, 0x7fffffff, v3
	v_cmpx_gt_u32_e32 0x47800000, v4
	s_cbranch_execz .LBB23_84
; %bb.79:
	v_cmp_lt_u32_e32 vcc_lo, 0x37ffffff, v4
	s_mov_b32 s37, 0
                                        ; implicit-def: $vgpr4
	s_and_saveexec_b32 s40, vcc_lo
	s_xor_b32 s40, exec_lo, s40
	s_cbranch_execz .LBB23_311
; %bb.80:
	v_bfe_u32 v4, v3, 21, 1
	s_mov_b32 s37, exec_lo
	v_add3_u32 v4, v3, v4, 0x88fffff
	v_lshrrev_b32_e32 v4, 21, v4
	s_andn2_saveexec_b32 s40, s40
	s_cbranch_execnz .LBB23_312
.LBB23_81:
	s_or_b32 exec_lo, exec_lo, s40
	v_mov_b32_e32 v5, 0
	s_and_saveexec_b32 s40, s37
.LBB23_82:
	v_lshrrev_b32_e32 v3, 24, v3
	v_and_or_b32 v5, 0x80, v3, v4
.LBB23_83:
	s_or_b32 exec_lo, exec_lo, s40
.LBB23_84:
	s_or_b32 exec_lo, exec_lo, s36
	s_mov_b32 s36, 0
	global_store_byte v[0:1], v5, off
.LBB23_85:
	s_and_b32 vcc_lo, exec_lo, s36
	s_cbranch_vccz .LBB23_95
; %bb.86:
	v_cvt_f32_f16_e32 v3, v2
	s_mov_b32 s36, exec_lo
                                        ; implicit-def: $vgpr4
	v_and_b32_e32 v5, 0x7fffffff, v3
	v_cmpx_gt_u32_e32 0x43f00000, v5
	s_xor_b32 s36, exec_lo, s36
	s_cbranch_execz .LBB23_92
; %bb.87:
	s_mov_b32 s37, exec_lo
                                        ; implicit-def: $vgpr4
	v_cmpx_lt_u32_e32 0x3c7fffff, v5
	s_xor_b32 s37, exec_lo, s37
; %bb.88:
	v_bfe_u32 v4, v3, 20, 1
	v_add3_u32 v4, v3, v4, 0x407ffff
	v_and_b32_e32 v5, 0xff00000, v4
	v_lshrrev_b32_e32 v4, 20, v4
	v_cmp_ne_u32_e32 vcc_lo, 0x7f00000, v5
	v_cndmask_b32_e32 v4, 0x7e, v4, vcc_lo
; %bb.89:
	s_andn2_saveexec_b32 s37, s37
; %bb.90:
	v_add_f32_e64 v4, 0x46800000, |v3|
; %bb.91:
	s_or_b32 exec_lo, exec_lo, s37
                                        ; implicit-def: $vgpr5
.LBB23_92:
	s_andn2_saveexec_b32 s36, s36
; %bb.93:
	v_mov_b32_e32 v4, 0x7f
	v_cmp_lt_u32_e32 vcc_lo, 0x7f800000, v5
	v_cndmask_b32_e32 v4, 0x7e, v4, vcc_lo
; %bb.94:
	s_or_b32 exec_lo, exec_lo, s36
	v_lshrrev_b32_e32 v3, 24, v3
	v_and_or_b32 v3, 0x80, v3, v4
	global_store_byte v[0:1], v3, off
.LBB23_95:
	s_mov_b32 s36, 0
.LBB23_96:
	s_andn2_b32 vcc_lo, exec_lo, s36
	s_cbranch_vccnz .LBB23_106
; %bb.97:
	v_cvt_f32_f16_e32 v3, v2
	s_mov_b32 s36, exec_lo
                                        ; implicit-def: $vgpr4
	v_and_b32_e32 v5, 0x7fffffff, v3
	v_cmpx_gt_u32_e32 0x47800000, v5
	s_xor_b32 s36, exec_lo, s36
	s_cbranch_execz .LBB23_103
; %bb.98:
	s_mov_b32 s37, exec_lo
                                        ; implicit-def: $vgpr4
	v_cmpx_lt_u32_e32 0x387fffff, v5
	s_xor_b32 s37, exec_lo, s37
; %bb.99:
	v_bfe_u32 v4, v3, 21, 1
	v_add3_u32 v4, v3, v4, 0x80fffff
	v_lshrrev_b32_e32 v4, 21, v4
; %bb.100:
	s_andn2_saveexec_b32 s37, s37
; %bb.101:
	v_add_f32_e64 v4, 0x43000000, |v3|
; %bb.102:
	s_or_b32 exec_lo, exec_lo, s37
                                        ; implicit-def: $vgpr5
.LBB23_103:
	s_andn2_saveexec_b32 s36, s36
; %bb.104:
	v_mov_b32_e32 v4, 0x7f
	v_cmp_lt_u32_e32 vcc_lo, 0x7f800000, v5
	v_cndmask_b32_e32 v4, 0x7c, v4, vcc_lo
; %bb.105:
	s_or_b32 exec_lo, exec_lo, s36
	v_lshrrev_b32_e32 v3, 24, v3
	v_and_or_b32 v3, 0x80, v3, v4
	global_store_byte v[0:1], v3, off
.LBB23_106:
	s_mov_b32 s37, 0
	s_mov_b32 s36, -1
.LBB23_107:
	s_andn2_b32 vcc_lo, exec_lo, s37
	s_cbranch_vccnz .LBB23_115
; %bb.108:
	s_cmp_gt_i32 s23, 14
	s_mov_b32 s37, -1
	s_cbranch_scc0 .LBB23_112
; %bb.109:
	s_cmp_eq_u32 s23, 15
	s_mov_b32 s0, -1
	s_cbranch_scc0 .LBB23_111
; %bb.110:
	v_cvt_f32_f16_e32 v3, v2
	v_cmp_o_f16_e32 vcc_lo, v2, v2
	s_mov_b32 s36, -1
	s_mov_b32 s0, 0
	v_bfe_u32 v4, v3, 16, 1
	v_add3_u32 v3, v3, v4, 0x7fff
	v_mov_b32_e32 v4, 0x7fc0
	v_cndmask_b32_sdwa v3, v4, v3, vcc_lo dst_sel:DWORD dst_unused:UNUSED_PAD src0_sel:DWORD src1_sel:WORD_1
	global_store_short v[0:1], v3, off
.LBB23_111:
	s_mov_b32 s37, 0
.LBB23_112:
	s_and_b32 vcc_lo, exec_lo, s37
	s_cbranch_vccz .LBB23_115
; %bb.113:
	s_cmp_eq_u32 s23, 11
	s_mov_b32 s0, -1
	s_cbranch_scc0 .LBB23_115
; %bb.114:
	v_cmp_neq_f16_e32 vcc_lo, 0, v2
	s_mov_b32 s0, 0
	s_mov_b32 s36, -1
	v_cndmask_b32_e64 v3, 0, 1, vcc_lo
	global_store_byte v[0:1], v3, off
.LBB23_115:
	s_branch .LBB23_34
.LBB23_116:
	s_and_b32 s22, 0xffff, s22
	s_mov_b32 s23, -1
	s_cmp_lt_i32 s22, 5
	s_cbranch_scc1 .LBB23_137
; %bb.117:
	s_cmp_lt_i32 s22, 8
	s_cbranch_scc1 .LBB23_127
; %bb.118:
	;; [unrolled: 3-line block ×3, first 2 shown]
	s_cmp_gt_i32 s22, 9
	s_cbranch_scc0 .LBB23_121
; %bb.120:
	v_cvt_f32_f16_e32 v3, v2
	v_mov_b32_e32 v5, 0
	s_mov_b32 s23, 0
	v_cvt_f64_f32_e32 v[3:4], v3
	v_mov_b32_e32 v6, v5
	global_store_dwordx4 v[0:1], v[3:6], off
.LBB23_121:
	s_andn2_b32 vcc_lo, exec_lo, s23
	s_cbranch_vccnz .LBB23_123
; %bb.122:
	v_cvt_f32_f16_e32 v3, v2
	v_mov_b32_e32 v4, 0
	global_store_dwordx2 v[0:1], v[3:4], off
.LBB23_123:
	s_mov_b32 s23, 0
.LBB23_124:
	s_andn2_b32 vcc_lo, exec_lo, s23
	s_cbranch_vccnz .LBB23_126
; %bb.125:
	v_and_b32_e32 v3, 0xffff, v2
	global_store_dword v[0:1], v3, off
.LBB23_126:
	s_mov_b32 s23, 0
.LBB23_127:
	s_andn2_b32 vcc_lo, exec_lo, s23
	s_cbranch_vccnz .LBB23_136
; %bb.128:
	s_cmp_lt_i32 s22, 6
	s_mov_b32 s23, -1
	s_cbranch_scc1 .LBB23_134
; %bb.129:
	s_cmp_gt_i32 s22, 6
	s_cbranch_scc0 .LBB23_131
; %bb.130:
	v_cvt_f32_f16_e32 v3, v2
	s_mov_b32 s23, 0
	v_cvt_f64_f32_e32 v[3:4], v3
	global_store_dwordx2 v[0:1], v[3:4], off
.LBB23_131:
	s_andn2_b32 vcc_lo, exec_lo, s23
	s_cbranch_vccnz .LBB23_133
; %bb.132:
	v_cvt_f32_f16_e32 v3, v2
	global_store_dword v[0:1], v3, off
.LBB23_133:
	s_mov_b32 s23, 0
.LBB23_134:
	s_andn2_b32 vcc_lo, exec_lo, s23
	s_cbranch_vccnz .LBB23_136
; %bb.135:
	global_store_short v[0:1], v2, off
.LBB23_136:
	s_mov_b32 s23, 0
.LBB23_137:
	s_andn2_b32 vcc_lo, exec_lo, s23
	s_cbranch_vccnz .LBB23_153
; %bb.138:
	s_cmp_lt_i32 s22, 2
	s_mov_b32 s23, -1
	s_cbranch_scc1 .LBB23_148
; %bb.139:
	s_cmp_lt_i32 s22, 3
	s_cbranch_scc1 .LBB23_145
; %bb.140:
	s_cmp_gt_i32 s22, 3
	s_cbranch_scc0 .LBB23_142
; %bb.141:
	v_cvt_f32_f16_e32 v3, v2
	s_mov_b32 s23, 0
	v_cvt_i32_f32_e32 v3, v3
	v_ashrrev_i32_e32 v4, 31, v3
	global_store_dwordx2 v[0:1], v[3:4], off
.LBB23_142:
	s_andn2_b32 vcc_lo, exec_lo, s23
	s_cbranch_vccnz .LBB23_144
; %bb.143:
	v_cvt_f32_f16_e32 v3, v2
	v_cvt_i32_f32_e32 v3, v3
	global_store_dword v[0:1], v3, off
.LBB23_144:
	s_mov_b32 s23, 0
.LBB23_145:
	s_andn2_b32 vcc_lo, exec_lo, s23
	s_cbranch_vccnz .LBB23_147
; %bb.146:
	v_cvt_i16_f16_e32 v3, v2
	global_store_short v[0:1], v3, off
.LBB23_147:
	s_mov_b32 s23, 0
.LBB23_148:
	s_andn2_b32 vcc_lo, exec_lo, s23
	s_cbranch_vccnz .LBB23_153
; %bb.149:
	s_cmp_gt_i32 s22, 0
	s_mov_b32 s22, -1
	s_cbranch_scc0 .LBB23_151
; %bb.150:
	v_cvt_i16_f16_e32 v3, v2
	s_mov_b32 s22, 0
	global_store_byte v[0:1], v3, off
.LBB23_151:
	s_andn2_b32 vcc_lo, exec_lo, s22
	s_cbranch_vccnz .LBB23_153
; %bb.152:
	v_cvt_f32_f16_e32 v2, v2
	v_cvt_i32_f32_e32 v2, v2
	global_store_byte v[0:1], v2, off
.LBB23_153:
.LBB23_154:
	v_add_nc_u32_e32 v8, 0x80, v8
	s_mov_b32 s22, -1
	s_branch .LBB23_265
.LBB23_155:
	s_mov_b32 s1, -1
                                        ; implicit-def: $vgpr3
.LBB23_156:
	s_mov_b32 s23, 0
.LBB23_157:
	s_and_b32 vcc_lo, exec_lo, s23
	s_cbranch_vccz .LBB23_161
; %bb.158:
	s_cmp_eq_u32 s0, 29
	s_cbranch_scc0 .LBB23_160
; %bb.159:
	global_load_dwordx2 v[3:4], v[1:2], off
	s_mov_b32 s22, -1
	s_mov_b32 s1, 0
	s_mov_b32 s23, 0
	s_waitcnt vmcnt(0)
	v_ffbh_u32_e32 v5, v4
	v_min_u32_e32 v5, 32, v5
	v_lshlrev_b64 v[3:4], v5, v[3:4]
	v_min_u32_e32 v3, 1, v3
	v_or_b32_e32 v3, v4, v3
	v_sub_nc_u32_e32 v4, 32, v5
	v_cvt_f32_u32_e32 v3, v3
	v_ldexp_f32 v3, v3, v4
	v_cvt_f16_f32_e32 v3, v3
	s_branch .LBB23_162
.LBB23_160:
	s_mov_b32 s1, -1
                                        ; implicit-def: $vgpr3
.LBB23_161:
	s_mov_b32 s23, 0
.LBB23_162:
	s_and_b32 vcc_lo, exec_lo, s23
	s_cbranch_vccz .LBB23_180
; %bb.163:
	s_cmp_lt_i32 s0, 27
	s_cbranch_scc1 .LBB23_166
; %bb.164:
	s_cmp_gt_i32 s0, 27
	s_cbranch_scc0 .LBB23_167
; %bb.165:
	global_load_dword v3, v[1:2], off
	s_mov_b32 s22, 0
	s_waitcnt vmcnt(0)
	v_cvt_f32_u32_e32 v3, v3
	v_cvt_f16_f32_e32 v3, v3
	s_branch .LBB23_168
.LBB23_166:
	s_mov_b32 s22, -1
                                        ; implicit-def: $vgpr3
	s_branch .LBB23_171
.LBB23_167:
	s_mov_b32 s22, -1
                                        ; implicit-def: $vgpr3
.LBB23_168:
	s_andn2_b32 vcc_lo, exec_lo, s22
	s_cbranch_vccnz .LBB23_170
; %bb.169:
	global_load_ushort v3, v[1:2], off
	s_waitcnt vmcnt(0)
	v_cvt_f16_u16_e32 v3, v3
.LBB23_170:
	s_mov_b32 s22, 0
.LBB23_171:
	s_andn2_b32 vcc_lo, exec_lo, s22
	s_cbranch_vccnz .LBB23_179
; %bb.172:
	global_load_ubyte v4, v[1:2], off
	s_mov_b32 s22, 0
	s_mov_b32 s23, exec_lo
	s_waitcnt vmcnt(0)
	v_cmpx_lt_i16_e32 0x7f, v4
	s_xor_b32 s23, exec_lo, s23
	s_cbranch_execz .LBB23_192
; %bb.173:
	s_mov_b32 s22, -1
	s_mov_b32 s36, exec_lo
	v_cmpx_eq_u16_e32 0x80, v4
; %bb.174:
	s_xor_b32 s22, exec_lo, -1
; %bb.175:
	s_or_b32 exec_lo, exec_lo, s36
	s_and_b32 s22, s22, exec_lo
	s_or_saveexec_b32 s23, s23
	v_mov_b32_e32 v3, 0x7e00
	s_xor_b32 exec_lo, exec_lo, s23
	s_cbranch_execnz .LBB23_193
.LBB23_176:
	s_or_b32 exec_lo, exec_lo, s23
	s_and_saveexec_b32 s23, s22
	s_cbranch_execz .LBB23_178
.LBB23_177:
	v_and_b32_e32 v3, 0xffff, v4
	v_lshlrev_b32_e32 v4, 24, v4
	v_and_b32_e32 v5, 7, v3
	v_bfe_u32 v9, v3, 3, 4
	v_and_b32_e32 v4, 0x80000000, v4
	v_ffbh_u32_e32 v6, v5
	v_cmp_eq_u32_e32 vcc_lo, 0, v9
	v_min_u32_e32 v6, 32, v6
	v_subrev_nc_u32_e32 v7, 28, v6
	v_sub_nc_u32_e32 v6, 29, v6
	v_lshlrev_b32_e32 v3, v7, v3
	v_cndmask_b32_e32 v6, v9, v6, vcc_lo
	v_and_b32_e32 v3, 7, v3
	v_cndmask_b32_e32 v3, v5, v3, vcc_lo
	v_lshl_add_u32 v5, v6, 23, 0x3b800000
	v_lshlrev_b32_e32 v3, 20, v3
	v_or3_b32 v3, v4, v5, v3
	v_cvt_f16_f32_e32 v3, v3
.LBB23_178:
	s_or_b32 exec_lo, exec_lo, s23
.LBB23_179:
	s_mov_b32 s22, -1
.LBB23_180:
	s_branch .LBB23_215
.LBB23_181:
	s_cmp_gt_i32 s0, 22
	s_cbranch_scc0 .LBB23_191
; %bb.182:
	s_cmp_lt_i32 s0, 24
	s_cbranch_scc1 .LBB23_194
; %bb.183:
	s_cmp_gt_i32 s0, 24
	s_cbranch_scc0 .LBB23_195
; %bb.184:
	global_load_ubyte v4, v[1:2], off
	s_mov_b32 s22, 0
	s_mov_b32 s23, exec_lo
	s_waitcnt vmcnt(0)
	v_cmpx_lt_i16_e32 0x7f, v4
	s_xor_b32 s23, exec_lo, s23
	s_cbranch_execz .LBB23_207
; %bb.185:
	s_mov_b32 s22, -1
	s_mov_b32 s36, exec_lo
	v_cmpx_eq_u16_e32 0x80, v4
; %bb.186:
	s_xor_b32 s22, exec_lo, -1
; %bb.187:
	s_or_b32 exec_lo, exec_lo, s36
	s_and_b32 s22, s22, exec_lo
	s_or_saveexec_b32 s23, s23
	v_mov_b32_e32 v3, 0x7e00
	s_xor_b32 exec_lo, exec_lo, s23
	s_cbranch_execnz .LBB23_208
.LBB23_188:
	s_or_b32 exec_lo, exec_lo, s23
	s_and_saveexec_b32 s23, s22
	s_cbranch_execz .LBB23_190
.LBB23_189:
	v_and_b32_e32 v3, 0xffff, v4
	v_lshlrev_b32_e32 v4, 24, v4
	v_and_b32_e32 v5, 3, v3
	v_bfe_u32 v9, v3, 2, 5
	v_and_b32_e32 v4, 0x80000000, v4
	v_ffbh_u32_e32 v6, v5
	v_cmp_eq_u32_e32 vcc_lo, 0, v9
	v_min_u32_e32 v6, 32, v6
	v_subrev_nc_u32_e32 v7, 29, v6
	v_sub_nc_u32_e32 v6, 30, v6
	v_lshlrev_b32_e32 v3, v7, v3
	v_cndmask_b32_e32 v6, v9, v6, vcc_lo
	v_and_b32_e32 v3, 3, v3
	v_cndmask_b32_e32 v3, v5, v3, vcc_lo
	v_lshl_add_u32 v5, v6, 23, 0x37800000
	v_lshlrev_b32_e32 v3, 21, v3
	v_or3_b32 v3, v4, v5, v3
	v_cvt_f16_f32_e32 v3, v3
.LBB23_190:
	s_or_b32 exec_lo, exec_lo, s23
	s_mov_b32 s22, 0
	s_branch .LBB23_196
.LBB23_191:
	s_mov_b32 s23, -1
                                        ; implicit-def: $vgpr3
	s_branch .LBB23_202
.LBB23_192:
	s_or_saveexec_b32 s23, s23
	v_mov_b32_e32 v3, 0x7e00
	s_xor_b32 exec_lo, exec_lo, s23
	s_cbranch_execz .LBB23_176
.LBB23_193:
	v_cmp_ne_u16_e32 vcc_lo, 0, v4
	v_mov_b32_e32 v3, v4
	s_andn2_b32 s22, s22, exec_lo
	s_and_b32 s36, vcc_lo, exec_lo
	s_or_b32 s22, s22, s36
	s_or_b32 exec_lo, exec_lo, s23
	s_and_saveexec_b32 s23, s22
	s_cbranch_execnz .LBB23_177
	s_branch .LBB23_178
.LBB23_194:
	s_mov_b32 s22, -1
                                        ; implicit-def: $vgpr3
	s_branch .LBB23_199
.LBB23_195:
	s_mov_b32 s22, -1
                                        ; implicit-def: $vgpr3
.LBB23_196:
	s_and_b32 vcc_lo, exec_lo, s22
	s_cbranch_vccz .LBB23_198
; %bb.197:
	global_load_ubyte v3, v[1:2], off
	s_waitcnt vmcnt(0)
	v_lshlrev_b32_e32 v3, 24, v3
	v_and_b32_e32 v4, 0x7f000000, v3
	v_ffbh_u32_e32 v5, v4
	v_add_nc_u32_e32 v7, 0x1000000, v4
	v_cmp_ne_u32_e32 vcc_lo, 0, v4
	v_min_u32_e32 v5, 32, v5
	v_sub_nc_u32_e64 v5, v5, 4 clamp
	v_lshlrev_b32_e32 v6, v5, v4
	v_lshlrev_b32_e32 v5, 23, v5
	v_lshrrev_b32_e32 v6, 4, v6
	v_sub_nc_u32_e32 v5, v6, v5
	v_ashrrev_i32_e32 v6, 8, v7
	v_add_nc_u32_e32 v5, 0x3c000000, v5
	v_and_or_b32 v5, 0x7f800000, v6, v5
	v_cndmask_b32_e32 v4, 0, v5, vcc_lo
	v_and_or_b32 v3, 0x80000000, v3, v4
	v_cvt_f16_f32_e32 v3, v3
.LBB23_198:
	s_mov_b32 s22, 0
.LBB23_199:
	s_andn2_b32 vcc_lo, exec_lo, s22
	s_cbranch_vccnz .LBB23_201
; %bb.200:
	global_load_ubyte v3, v[1:2], off
	s_waitcnt vmcnt(0)
	v_lshlrev_b32_e32 v4, 25, v3
	v_lshlrev_b16 v3, 8, v3
	v_lshrrev_b32_e32 v5, 4, v4
	v_and_or_b32 v6, 0x7f00, v3, 0.5
	v_cmp_gt_u32_e32 vcc_lo, 0x8000000, v4
	v_bfe_i32 v3, v3, 0, 16
	v_or_b32_e32 v5, 0x70000000, v5
	v_add_f32_e32 v6, -0.5, v6
	v_mul_f32_e32 v5, 0x7800000, v5
	v_cndmask_b32_e32 v4, v5, v6, vcc_lo
	v_and_or_b32 v3, 0x80000000, v3, v4
	v_cvt_f16_f32_e32 v3, v3
.LBB23_201:
	s_mov_b32 s23, 0
	s_mov_b32 s22, -1
.LBB23_202:
	s_andn2_b32 vcc_lo, exec_lo, s23
	s_cbranch_vccnz .LBB23_215
; %bb.203:
	s_cmp_gt_i32 s0, 14
	s_cbranch_scc0 .LBB23_206
; %bb.204:
	s_cmp_eq_u32 s0, 15
	s_cbranch_scc0 .LBB23_209
; %bb.205:
	global_load_ushort v3, v[1:2], off
	s_mov_b32 s22, -1
	s_mov_b32 s1, 0
	s_waitcnt vmcnt(0)
	v_lshlrev_b32_e32 v3, 16, v3
	v_cvt_f16_f32_e32 v3, v3
	s_branch .LBB23_210
.LBB23_206:
	s_mov_b32 s23, -1
                                        ; implicit-def: $vgpr3
	s_branch .LBB23_211
.LBB23_207:
	s_or_saveexec_b32 s23, s23
	v_mov_b32_e32 v3, 0x7e00
	s_xor_b32 exec_lo, exec_lo, s23
	s_cbranch_execz .LBB23_188
.LBB23_208:
	v_cmp_ne_u16_e32 vcc_lo, 0, v4
	v_mov_b32_e32 v3, v4
	s_andn2_b32 s22, s22, exec_lo
	s_and_b32 s36, vcc_lo, exec_lo
	s_or_b32 s22, s22, s36
	s_or_b32 exec_lo, exec_lo, s23
	s_and_saveexec_b32 s23, s22
	s_cbranch_execnz .LBB23_189
	s_branch .LBB23_190
.LBB23_209:
	s_mov_b32 s1, -1
                                        ; implicit-def: $vgpr3
.LBB23_210:
	s_mov_b32 s23, 0
.LBB23_211:
	s_and_b32 vcc_lo, exec_lo, s23
	s_cbranch_vccz .LBB23_215
; %bb.212:
	s_cmp_eq_u32 s0, 11
	s_cbranch_scc0 .LBB23_214
; %bb.213:
	global_load_ubyte v3, v[1:2], off
	s_mov_b32 s1, 0
	s_mov_b32 s22, -1
	s_waitcnt vmcnt(0)
	v_cmp_ne_u16_e32 vcc_lo, 0, v3
	v_cndmask_b32_e64 v3, 0, 0x3c00, vcc_lo
	s_branch .LBB23_215
.LBB23_214:
	s_mov_b32 s1, -1
                                        ; implicit-def: $vgpr3
.LBB23_215:
	s_branch .LBB23_24
.LBB23_216:
	s_cmp_lt_i32 s0, 5
	s_cbranch_scc1 .LBB23_221
; %bb.217:
	s_cmp_lt_i32 s0, 8
	s_cbranch_scc1 .LBB23_222
; %bb.218:
	;; [unrolled: 3-line block ×3, first 2 shown]
	s_cmp_gt_i32 s0, 9
	s_cbranch_scc0 .LBB23_224
; %bb.220:
	global_load_dwordx2 v[3:4], v[1:2], off
	s_mov_b32 s22, 0
	s_waitcnt vmcnt(0)
	v_and_or_b32 v3, 0x1ff, v4, v3
	v_lshrrev_b32_e32 v5, 8, v4
	v_bfe_u32 v6, v4, 20, 11
	v_lshrrev_b32_e32 v4, 16, v4
	v_cmp_ne_u32_e32 vcc_lo, 0, v3
	v_sub_nc_u32_e32 v7, 0x3f1, v6
	v_add_nc_u32_e32 v6, 0xfffffc10, v6
	v_cndmask_b32_e64 v3, 0, 1, vcc_lo
	v_and_or_b32 v3, 0xffe, v5, v3
	v_med3_i32 v5, v7, 0, 13
	v_or_b32_e32 v7, 0x1000, v3
	v_lshrrev_b32_e32 v9, v5, v7
	v_lshlrev_b32_e32 v5, v5, v9
	v_cmp_ne_u32_e32 vcc_lo, v5, v7
	v_lshl_or_b32 v7, v6, 12, v3
	v_cndmask_b32_e64 v5, 0, 1, vcc_lo
	v_cmp_gt_i32_e32 vcc_lo, 1, v6
	v_or_b32_e32 v5, v9, v5
	v_cndmask_b32_e32 v5, v7, v5, vcc_lo
	v_and_b32_e32 v7, 7, v5
	v_lshrrev_b32_e32 v5, 2, v5
	v_cmp_lt_i32_e32 vcc_lo, 5, v7
	v_cndmask_b32_e64 v9, 0, 1, vcc_lo
	v_cmp_eq_u32_e32 vcc_lo, 3, v7
	v_cndmask_b32_e64 v7, 0, 1, vcc_lo
	v_cmp_ne_u32_e32 vcc_lo, 0, v3
	v_or_b32_e32 v7, v7, v9
	v_mov_b32_e32 v9, 0x7e00
	v_add_nc_u32_e32 v5, v5, v7
	v_cndmask_b32_e32 v3, 0x7c00, v9, vcc_lo
	v_cmp_gt_i32_e32 vcc_lo, 31, v6
	v_cndmask_b32_e32 v5, 0x7c00, v5, vcc_lo
	v_cmp_eq_u32_e32 vcc_lo, 0x40f, v6
	v_cndmask_b32_e32 v3, v5, v3, vcc_lo
	v_and_or_b32 v3, 0x8000, v4, v3
	s_branch .LBB23_225
.LBB23_221:
                                        ; implicit-def: $vgpr3
	s_branch .LBB23_243
.LBB23_222:
	s_mov_b32 s22, -1
                                        ; implicit-def: $vgpr3
	s_branch .LBB23_231
.LBB23_223:
	s_mov_b32 s22, -1
                                        ; implicit-def: $vgpr3
	s_branch .LBB23_228
.LBB23_224:
	s_mov_b32 s22, -1
                                        ; implicit-def: $vgpr3
.LBB23_225:
	s_andn2_b32 vcc_lo, exec_lo, s22
	s_cbranch_vccnz .LBB23_227
; %bb.226:
	global_load_dword v3, v[1:2], off
	s_waitcnt vmcnt(0)
	v_cvt_f16_f32_e32 v3, v3
.LBB23_227:
	s_mov_b32 s22, 0
.LBB23_228:
	s_andn2_b32 vcc_lo, exec_lo, s22
	s_cbranch_vccnz .LBB23_230
; %bb.229:
	global_load_dword v3, v[1:2], off
.LBB23_230:
	s_mov_b32 s22, 0
.LBB23_231:
	s_andn2_b32 vcc_lo, exec_lo, s22
	s_cbranch_vccnz .LBB23_242
; %bb.232:
	s_cmp_lt_i32 s0, 6
	s_cbranch_scc1 .LBB23_235
; %bb.233:
	s_cmp_gt_i32 s0, 6
	s_cbranch_scc0 .LBB23_236
; %bb.234:
	global_load_dwordx2 v[3:4], v[1:2], off
	s_mov_b32 s22, 0
	s_waitcnt vmcnt(0)
	v_and_or_b32 v3, 0x1ff, v4, v3
	v_lshrrev_b32_e32 v5, 8, v4
	v_bfe_u32 v6, v4, 20, 11
	v_lshrrev_b32_e32 v4, 16, v4
	v_cmp_ne_u32_e32 vcc_lo, 0, v3
	v_sub_nc_u32_e32 v7, 0x3f1, v6
	v_add_nc_u32_e32 v6, 0xfffffc10, v6
	v_cndmask_b32_e64 v3, 0, 1, vcc_lo
	v_and_or_b32 v3, 0xffe, v5, v3
	v_med3_i32 v5, v7, 0, 13
	v_or_b32_e32 v7, 0x1000, v3
	v_lshrrev_b32_e32 v9, v5, v7
	v_lshlrev_b32_e32 v5, v5, v9
	v_cmp_ne_u32_e32 vcc_lo, v5, v7
	v_lshl_or_b32 v7, v6, 12, v3
	v_cndmask_b32_e64 v5, 0, 1, vcc_lo
	v_cmp_gt_i32_e32 vcc_lo, 1, v6
	v_or_b32_e32 v5, v9, v5
	v_cndmask_b32_e32 v5, v7, v5, vcc_lo
	v_and_b32_e32 v7, 7, v5
	v_lshrrev_b32_e32 v5, 2, v5
	v_cmp_lt_i32_e32 vcc_lo, 5, v7
	v_cndmask_b32_e64 v9, 0, 1, vcc_lo
	v_cmp_eq_u32_e32 vcc_lo, 3, v7
	v_cndmask_b32_e64 v7, 0, 1, vcc_lo
	v_cmp_ne_u32_e32 vcc_lo, 0, v3
	v_or_b32_e32 v7, v7, v9
	v_mov_b32_e32 v9, 0x7e00
	v_add_nc_u32_e32 v5, v5, v7
	v_cndmask_b32_e32 v3, 0x7c00, v9, vcc_lo
	v_cmp_gt_i32_e32 vcc_lo, 31, v6
	v_cndmask_b32_e32 v5, 0x7c00, v5, vcc_lo
	v_cmp_eq_u32_e32 vcc_lo, 0x40f, v6
	v_cndmask_b32_e32 v3, v5, v3, vcc_lo
	v_and_or_b32 v3, 0x8000, v4, v3
	s_branch .LBB23_237
.LBB23_235:
	s_mov_b32 s22, -1
                                        ; implicit-def: $vgpr3
	s_branch .LBB23_240
.LBB23_236:
	s_mov_b32 s22, -1
                                        ; implicit-def: $vgpr3
.LBB23_237:
	s_andn2_b32 vcc_lo, exec_lo, s22
	s_cbranch_vccnz .LBB23_239
; %bb.238:
	global_load_dword v3, v[1:2], off
	s_waitcnt vmcnt(0)
	v_cvt_f16_f32_e32 v3, v3
.LBB23_239:
	s_mov_b32 s22, 0
.LBB23_240:
	s_andn2_b32 vcc_lo, exec_lo, s22
	s_cbranch_vccnz .LBB23_242
; %bb.241:
	global_load_ushort v3, v[1:2], off
.LBB23_242:
	s_cbranch_execnz .LBB23_262
.LBB23_243:
	s_cmp_lt_i32 s0, 2
	s_cbranch_scc1 .LBB23_247
; %bb.244:
	s_cmp_lt_i32 s0, 3
	s_cbranch_scc1 .LBB23_248
; %bb.245:
	s_cmp_gt_i32 s0, 3
	s_cbranch_scc0 .LBB23_249
; %bb.246:
	global_load_dwordx2 v[3:4], v[1:2], off
	s_mov_b32 s22, 0
	s_waitcnt vmcnt(0)
	v_xor_b32_e32 v5, v3, v4
	v_ffbh_i32_e32 v6, v4
	v_ashrrev_i32_e32 v5, 31, v5
	v_add_nc_u32_e32 v6, -1, v6
	v_add_nc_u32_e32 v5, 32, v5
	v_min_u32_e32 v5, v6, v5
	v_lshlrev_b64 v[3:4], v5, v[3:4]
	v_min_u32_e32 v3, 1, v3
	v_or_b32_e32 v3, v4, v3
	v_sub_nc_u32_e32 v4, 32, v5
	v_cvt_f32_i32_e32 v3, v3
	v_ldexp_f32 v3, v3, v4
	v_cvt_f16_f32_e32 v3, v3
	s_branch .LBB23_250
.LBB23_247:
	s_mov_b32 s22, -1
                                        ; implicit-def: $vgpr3
	s_branch .LBB23_256
.LBB23_248:
	s_mov_b32 s22, -1
                                        ; implicit-def: $vgpr3
	s_branch .LBB23_253
.LBB23_249:
	s_mov_b32 s22, -1
                                        ; implicit-def: $vgpr3
.LBB23_250:
	s_andn2_b32 vcc_lo, exec_lo, s22
	s_cbranch_vccnz .LBB23_252
; %bb.251:
	global_load_dword v3, v[1:2], off
	s_waitcnt vmcnt(0)
	v_cvt_f32_i32_e32 v3, v3
	v_cvt_f16_f32_e32 v3, v3
.LBB23_252:
	s_mov_b32 s22, 0
.LBB23_253:
	s_andn2_b32 vcc_lo, exec_lo, s22
	s_cbranch_vccnz .LBB23_255
; %bb.254:
	global_load_ushort v3, v[1:2], off
	s_waitcnt vmcnt(0)
	v_cvt_f16_i16_e32 v3, v3
.LBB23_255:
	s_mov_b32 s22, 0
.LBB23_256:
	s_andn2_b32 vcc_lo, exec_lo, s22
	s_cbranch_vccnz .LBB23_262
; %bb.257:
	s_cmp_gt_i32 s0, 0
	s_mov_b32 s0, 0
	s_cbranch_scc0 .LBB23_259
; %bb.258:
	global_load_sbyte v3, v[1:2], off
	s_waitcnt vmcnt(0)
	v_cvt_f16_i16_e32 v3, v3
	s_branch .LBB23_260
.LBB23_259:
	s_mov_b32 s0, -1
                                        ; implicit-def: $vgpr3
.LBB23_260:
	s_andn2_b32 vcc_lo, exec_lo, s0
	s_cbranch_vccnz .LBB23_262
; %bb.261:
	global_load_ubyte v1, v[1:2], off
	s_waitcnt vmcnt(0)
	v_cvt_f16_u16_e32 v3, v1
.LBB23_262:
	s_branch .LBB23_25
.LBB23_263:
	s_mov_b32 s0, 0
.LBB23_264:
	s_mov_b32 s22, 0
                                        ; implicit-def: $vgpr8
.LBB23_265:
	s_and_b32 s36, s0, exec_lo
	s_and_b32 s37, s1, exec_lo
	s_orn2_b32 s1, s22, exec_lo
.LBB23_266:
	s_or_b32 exec_lo, exec_lo, s38
	s_mov_b32 s22, 0
	s_mov_b32 s0, 0
                                        ; implicit-def: $vgpr1_vgpr2
                                        ; implicit-def: $vgpr0
                                        ; implicit-def: $vgpr4
	s_and_saveexec_b32 s38, s1
	s_cbranch_execz .LBB23_273
; %bb.267:
	s_mov_b32 s0, -1
	s_mov_b32 s39, s37
	s_mov_b32 s40, s36
	s_mov_b32 s41, exec_lo
	v_cmpx_gt_i32_e64 s33, v8
	s_cbranch_execz .LBB23_543
; %bb.268:
	s_andn2_b32 vcc_lo, exec_lo, s27
	s_cbranch_vccnz .LBB23_276
; %bb.269:
	s_andn2_b32 vcc_lo, exec_lo, s34
	s_cbranch_vccnz .LBB23_277
; %bb.270:
	s_add_i32 s40, s35, 1
	s_cmp_eq_u32 s25, 2
	s_cbranch_scc1 .LBB23_278
; %bb.271:
	v_mov_b32_e32 v2, 0
	v_mov_b32_e32 v0, 0
	;; [unrolled: 1-line block ×3, first 2 shown]
	s_and_b32 s39, s40, 28
	s_mov_b32 s42, 0
	s_mov_b64 s[0:1], s[2:3]
	s_mov_b64 s[22:23], s[20:21]
.LBB23_272:                             ; =>This Inner Loop Header: Depth=1
	s_clause 0x1
	s_load_dwordx8 s[44:51], s[0:1], 0x4
	s_load_dwordx4 s[60:63], s[0:1], 0x24
	s_load_dwordx8 s[52:59], s[22:23], 0x0
	s_add_u32 s0, s0, 48
	s_addc_u32 s1, s1, 0
	s_add_i32 s42, s42, 4
	s_add_u32 s22, s22, 32
	s_addc_u32 s23, s23, 0
	s_cmp_eq_u32 s39, s42
	s_waitcnt vmcnt(0) lgkmcnt(0)
	v_mul_hi_u32 v3, s45, v1
	v_add_nc_u32_e32 v3, v1, v3
	v_lshrrev_b32_e32 v3, s46, v3
	v_mul_hi_u32 v4, s48, v3
	v_mul_lo_u32 v6, v3, s44
	v_add_nc_u32_e32 v4, v3, v4
	v_sub_nc_u32_e32 v1, v1, v6
	v_lshrrev_b32_e32 v4, s49, v4
	v_mul_lo_u32 v6, v1, s52
	v_mul_lo_u32 v9, v1, s53
	v_mul_hi_u32 v5, s51, v4
	v_add_nc_u32_e32 v5, v4, v5
	v_lshrrev_b32_e32 v5, s60, v5
	v_mul_hi_u32 v7, s62, v5
	v_mul_lo_u32 v10, v5, s50
	v_add_nc_u32_e32 v1, v5, v7
	v_mul_lo_u32 v7, v4, s47
	v_sub_nc_u32_e32 v4, v4, v10
	v_lshrrev_b32_e32 v1, s63, v1
	v_mul_lo_u32 v10, v4, s56
	v_mul_lo_u32 v4, v4, s57
	v_sub_nc_u32_e32 v3, v3, v7
	v_mul_lo_u32 v11, v1, s61
	v_mul_lo_u32 v7, v3, s54
	;; [unrolled: 1-line block ×3, first 2 shown]
	v_sub_nc_u32_e32 v5, v5, v11
	v_add3_u32 v0, v6, v0, v7
	v_mul_lo_u32 v11, v5, s58
	v_mul_lo_u32 v5, v5, s59
	v_add3_u32 v2, v9, v2, v3
	v_add3_u32 v0, v10, v0, v11
	;; [unrolled: 1-line block ×3, first 2 shown]
	s_cbranch_scc0 .LBB23_272
	s_branch .LBB23_279
.LBB23_273:
	s_or_b32 exec_lo, exec_lo, s38
	s_mov_b32 s1, 0
	s_waitcnt lgkmcnt(0)
	s_and_saveexec_b32 s6, s37
	s_cbranch_execnz .LBB23_921
.LBB23_274:
	s_or_b32 exec_lo, exec_lo, s6
	s_and_saveexec_b32 s6, s39
	s_xor_b32 s6, exec_lo, s6
	s_cbranch_execz .LBB23_922
.LBB23_275:
	global_load_ubyte v3, v[1:2], off
	s_or_b32 s0, s0, exec_lo
	s_waitcnt vmcnt(0)
	v_cmp_ne_u16_e32 vcc_lo, 0, v3
	v_cndmask_b32_e64 v4, 0, 0x3c00, vcc_lo
	s_or_b32 exec_lo, exec_lo, s6
	s_and_saveexec_b32 s6, s22
	s_cbranch_execz .LBB23_968
	s_branch .LBB23_923
.LBB23_276:
                                        ; implicit-def: $vgpr0
                                        ; implicit-def: $vgpr2
	s_andn2_b32 vcc_lo, exec_lo, s0
	s_cbranch_vccz .LBB23_283
	s_branch .LBB23_285
.LBB23_277:
	v_mov_b32_e32 v0, 0
	v_mov_b32_e32 v2, 0
	s_branch .LBB23_282
.LBB23_278:
	v_mov_b32_e32 v0, 0
	v_mov_b32_e32 v2, 0
	;; [unrolled: 1-line block ×3, first 2 shown]
	s_mov_b32 s39, 0
.LBB23_279:
	s_and_b32 s40, s40, 3
	s_cmp_eq_u32 s40, 0
	s_cbranch_scc1 .LBB23_282
; %bb.280:
	s_lshl_b32 s0, s39, 3
	s_mul_i32 s22, s39, 12
	s_add_u32 s0, s2, s0
	s_addc_u32 s1, s3, 0
	s_add_u32 s0, s0, 0xc4
	s_addc_u32 s1, s1, 0
	;; [unrolled: 2-line block ×3, first 2 shown]
	.p2align	6
.LBB23_281:                             ; =>This Inner Loop Header: Depth=1
	s_clause 0x1
	s_load_dwordx2 s[42:43], s[22:23], 0x4
	s_load_dword s39, s[22:23], 0xc
	s_load_dwordx2 s[44:45], s[0:1], 0x0
	s_add_u32 s22, s22, 12
	s_addc_u32 s23, s23, 0
	s_add_u32 s0, s0, 8
	s_addc_u32 s1, s1, 0
	s_add_i32 s40, s40, -1
	s_cmp_lg_u32 s40, 0
	s_waitcnt vmcnt(0) lgkmcnt(0)
	v_mul_hi_u32 v3, s43, v1
	v_add_nc_u32_e32 v3, v1, v3
	v_lshrrev_b32_e32 v4, s39, v3
	v_mul_lo_u32 v3, v4, s42
	v_sub_nc_u32_e32 v3, v1, v3
	v_mad_u64_u32 v[0:1], null, v3, s44, v[0:1]
	v_mad_u64_u32 v[2:3], null, v3, s45, v[2:3]
	v_mov_b32_e32 v1, v4
	s_cbranch_scc1 .LBB23_281
.LBB23_282:
	s_cbranch_execnz .LBB23_285
.LBB23_283:
	s_waitcnt lgkmcnt(0)
	v_mul_hi_u32 v0, s17, v8
	s_andn2_b32 vcc_lo, exec_lo, s31
	v_add_nc_u32_e32 v0, v8, v0
	v_lshrrev_b32_e32 v1, s18, v0
	v_mul_lo_u32 v0, v1, s16
	v_sub_nc_u32_e32 v2, v8, v0
	v_mul_lo_u32 v0, v2, s12
	v_mul_lo_u32 v2, v2, s13
	s_cbranch_vccnz .LBB23_285
; %bb.284:
	s_waitcnt vmcnt(0)
	v_mul_hi_u32 v3, s6, v1
	v_add_nc_u32_e32 v3, v1, v3
	v_lshrrev_b32_e32 v3, s7, v3
	v_mul_lo_u32 v3, v3, s19
	v_sub_nc_u32_e32 v3, v1, v3
	v_mad_u64_u32 v[0:1], null, v3, s14, v[0:1]
	v_mad_u64_u32 v[2:3], null, v3, s15, v[2:3]
.LBB23_285:
	s_waitcnt lgkmcnt(0)
	v_add_co_u32 v1, s0, s10, v2
	v_add_co_ci_u32_e64 v2, null, s11, 0, s0
	s_and_b32 s0, 0xffff, s30
	s_cmp_lt_i32 s0, 11
	s_cbranch_scc1 .LBB23_292
; %bb.286:
	s_cmp_gt_i32 s0, 25
	s_cbranch_scc0 .LBB23_301
; %bb.287:
	s_cmp_gt_i32 s0, 28
	s_cbranch_scc0 .LBB23_303
	;; [unrolled: 3-line block ×4, first 2 shown]
; %bb.290:
	s_cmp_eq_u32 s0, 46
	s_mov_b32 s23, 0
	s_cbranch_scc0 .LBB23_313
; %bb.291:
	global_load_dword v3, v[1:2], off
	s_mov_b32 s22, -1
	s_mov_b32 s1, 0
	s_waitcnt vmcnt(0)
	v_lshlrev_b32_e32 v3, 16, v3
	v_cvt_f16_f32_e32 v3, v3
	s_branch .LBB23_315
.LBB23_292:
	s_mov_b32 s22, 0
	s_mov_b32 s1, s37
                                        ; implicit-def: $vgpr3
	s_cbranch_execnz .LBB23_492
.LBB23_293:
	s_andn2_b32 vcc_lo, exec_lo, s22
	s_cbranch_vccnz .LBB23_540
.LBB23_294:
	s_waitcnt vmcnt(0)
	v_cvt_f32_f16_e32 v1, v3
	s_mov_b32 s0, 0x3b2d2a58
	s_and_b32 s22, s29, 0xff
	s_cmp_lt_i32 s22, 11
	v_rcp_f32_e64 v2, |v1|
	v_cmp_gt_f32_e64 vcc_lo, |v1|, 1.0
	v_cndmask_b32_e64 v1, |v1|, v2, vcc_lo
	v_mul_f32_e32 v2, v1, v1
	v_fmaak_f32 v4, s0, v2, 0xbc7a590c
	v_add_co_u32 v0, s0, s8, v0
	v_fmaak_f32 v4, v2, v4, 0x3d29fb3f
	v_fmaak_f32 v4, v2, v4, 0xbd97d4d7
	;; [unrolled: 1-line block ×6, first 2 shown]
	v_mul_f32_e32 v2, v2, v4
	v_fmac_f32_e32 v1, v1, v2
	v_sub_f32_e32 v2, 0x3fc90fdb, v1
	v_cndmask_b32_e32 v1, v1, v2, vcc_lo
	v_cvt_f16_f32_e32 v2, v1
	v_add_co_ci_u32_e64 v1, null, s9, 0, s0
	v_bfi_b32 v2, 0x7fff, v2, v3
	s_cbranch_scc1 .LBB23_302
; %bb.295:
	s_and_b32 s23, 0xffff, s22
	s_cmp_gt_i32 s23, 25
	s_cbranch_scc0 .LBB23_304
; %bb.296:
	s_cmp_gt_i32 s23, 28
	s_cbranch_scc0 .LBB23_306
; %bb.297:
	;; [unrolled: 3-line block ×4, first 2 shown]
	s_mov_b32 s40, 0
	s_mov_b32 s0, -1
	s_cmp_eq_u32 s23, 46
	s_mov_b32 s39, 0
	s_cbranch_scc0 .LBB23_319
; %bb.300:
	v_cvt_f32_f16_e32 v3, v2
	v_cmp_o_f16_e32 vcc_lo, v2, v2
	s_mov_b32 s39, -1
	s_mov_b32 s0, 0
	v_bfe_u32 v4, v3, 16, 1
	v_add3_u32 v3, v3, v4, 0x7fff
	v_mov_b32_e32 v4, 0x7fc0
	v_cndmask_b32_sdwa v3, v4, v3, vcc_lo dst_sel:DWORD dst_unused:UNUSED_PAD src0_sel:DWORD src1_sel:WORD_1
	global_store_dword v[0:1], v3, off
	s_branch .LBB23_319
.LBB23_301:
	s_mov_b32 s23, -1
	s_mov_b32 s22, 0
	s_mov_b32 s1, s37
                                        ; implicit-def: $vgpr3
	s_branch .LBB23_456
.LBB23_302:
	s_mov_b32 s23, -1
	s_mov_b32 s39, 0
	s_mov_b32 s0, s36
	s_branch .LBB23_388
.LBB23_303:
	s_mov_b32 s23, -1
	s_mov_b32 s22, 0
	s_mov_b32 s1, s37
                                        ; implicit-def: $vgpr3
	s_branch .LBB23_437
.LBB23_304:
	s_mov_b32 s40, -1
	s_mov_b32 s39, 0
	s_mov_b32 s0, s36
	s_branch .LBB23_346
.LBB23_305:
	s_mov_b32 s23, -1
	s_mov_b32 s22, 0
	s_mov_b32 s1, s37
                                        ; implicit-def: $vgpr3
	s_branch .LBB23_432
.LBB23_306:
	s_mov_b32 s40, -1
	s_mov_b32 s39, 0
	s_mov_b32 s0, s36
	s_branch .LBB23_329
.LBB23_307:
	s_andn2_saveexec_b32 s40, s40
	s_cbranch_execz .LBB23_68
.LBB23_308:
	v_add_f32_e64 v4, 0x46000000, |v3|
	s_andn2_b32 s37, s37, exec_lo
	v_and_b32_e32 v4, 0xff, v4
	v_cmp_ne_u32_e32 vcc_lo, 0, v4
	s_and_b32 s41, vcc_lo, exec_lo
	s_or_b32 s37, s37, s41
	s_or_b32 exec_lo, exec_lo, s40
	v_mov_b32_e32 v5, 0
	s_and_saveexec_b32 s40, s37
	s_cbranch_execnz .LBB23_69
	s_branch .LBB23_70
.LBB23_309:
	s_mov_b32 s23, -1
	s_mov_b32 s22, 0
	s_mov_b32 s1, s37
	s_branch .LBB23_314
.LBB23_310:
	s_mov_b32 s40, -1
	s_mov_b32 s39, 0
	s_mov_b32 s0, s36
	s_branch .LBB23_325
.LBB23_311:
	s_andn2_saveexec_b32 s40, s40
	s_cbranch_execz .LBB23_81
.LBB23_312:
	v_add_f32_e64 v4, 0x42800000, |v3|
	s_andn2_b32 s37, s37, exec_lo
	v_and_b32_e32 v4, 0xff, v4
	v_cmp_ne_u32_e32 vcc_lo, 0, v4
	s_and_b32 s41, vcc_lo, exec_lo
	s_or_b32 s37, s37, s41
	s_or_b32 exec_lo, exec_lo, s40
	v_mov_b32_e32 v5, 0
	s_and_saveexec_b32 s40, s37
	s_cbranch_execnz .LBB23_82
	s_branch .LBB23_83
.LBB23_313:
	s_mov_b32 s1, -1
	s_mov_b32 s22, 0
.LBB23_314:
                                        ; implicit-def: $vgpr3
.LBB23_315:
	s_and_b32 vcc_lo, exec_lo, s23
	s_cbranch_vccz .LBB23_431
; %bb.316:
	s_cmp_eq_u32 s0, 44
	s_cbranch_scc0 .LBB23_430
; %bb.317:
	global_load_ubyte v3, v[1:2], off
	s_mov_b32 s1, 0
	s_mov_b32 s22, -1
	s_waitcnt vmcnt(0)
	v_lshlrev_b32_e32 v4, 23, v3
	v_cmp_ne_u32_e32 vcc_lo, 0xff, v3
	v_cvt_f16_f32_e32 v4, v4
	v_cndmask_b32_e32 v4, 0x7e00, v4, vcc_lo
	v_cmp_ne_u32_e32 vcc_lo, 0, v3
	v_cndmask_b32_e32 v3, 0, v4, vcc_lo
	s_branch .LBB23_431
.LBB23_318:
	s_mov_b32 s40, -1
	s_mov_b32 s39, 0
	s_mov_b32 s0, s36
.LBB23_319:
	s_and_b32 vcc_lo, exec_lo, s40
	s_cbranch_vccz .LBB23_324
; %bb.320:
	s_cmp_eq_u32 s23, 44
	s_mov_b32 s0, -1
	s_cbranch_scc0 .LBB23_324
; %bb.321:
	v_cvt_f32_f16_e32 v3, v2
	v_mov_b32_e32 v4, 0xff
	s_mov_b32 s39, exec_lo
	v_bfe_u32 v5, v3, 23, 8
	v_cmpx_ne_u32_e32 0xff, v5
	s_cbranch_execz .LBB23_323
; %bb.322:
	v_and_b32_e32 v4, 0x400000, v3
	v_and_or_b32 v5, 0x3fffff, v3, v5
	v_lshrrev_b32_e32 v3, 23, v3
	v_cmp_ne_u32_e32 vcc_lo, 0, v4
	v_cmp_ne_u32_e64 s0, 0, v5
	s_and_b32 s0, vcc_lo, s0
	v_cndmask_b32_e64 v4, 0, 1, s0
	v_add_nc_u32_e32 v4, v3, v4
.LBB23_323:
	s_or_b32 exec_lo, exec_lo, s39
	s_mov_b32 s39, -1
	s_mov_b32 s0, 0
	global_store_byte v[0:1], v4, off
.LBB23_324:
	s_mov_b32 s40, 0
.LBB23_325:
	s_and_b32 vcc_lo, exec_lo, s40
	s_cbranch_vccz .LBB23_328
; %bb.326:
	s_cmp_eq_u32 s23, 29
	s_mov_b32 s0, -1
	s_cbranch_scc0 .LBB23_328
; %bb.327:
	v_cvt_f32_f16_e32 v3, v2
	v_mov_b32_e32 v4, 0
	s_mov_b32 s39, -1
	s_mov_b32 s0, 0
	s_mov_b32 s40, 0
	v_cvt_u32_f32_e32 v3, v3
	global_store_dwordx2 v[0:1], v[3:4], off
	s_branch .LBB23_329
.LBB23_328:
	s_mov_b32 s40, 0
.LBB23_329:
	s_and_b32 vcc_lo, exec_lo, s40
	s_cbranch_vccz .LBB23_345
; %bb.330:
	s_cmp_lt_i32 s23, 27
	s_mov_b32 s39, -1
	s_cbranch_scc1 .LBB23_336
; %bb.331:
	s_cmp_gt_i32 s23, 27
	s_cbranch_scc0 .LBB23_333
; %bb.332:
	v_cvt_f32_f16_e32 v3, v2
	s_mov_b32 s39, 0
	v_cvt_u32_f32_e32 v3, v3
	global_store_dword v[0:1], v3, off
.LBB23_333:
	s_andn2_b32 vcc_lo, exec_lo, s39
	s_cbranch_vccnz .LBB23_335
; %bb.334:
	v_cvt_u16_f16_e32 v3, v2
	global_store_short v[0:1], v3, off
.LBB23_335:
	s_mov_b32 s39, 0
.LBB23_336:
	s_andn2_b32 vcc_lo, exec_lo, s39
	s_cbranch_vccnz .LBB23_344
; %bb.337:
	v_cvt_f32_f16_e32 v3, v2
	v_mov_b32_e32 v5, 0x80
	s_mov_b32 s39, exec_lo
	v_and_b32_e32 v4, 0x7fffffff, v3
	v_cmpx_gt_u32_e32 0x43800000, v4
	s_cbranch_execz .LBB23_343
; %bb.338:
	v_cmp_lt_u32_e32 vcc_lo, 0x3bffffff, v4
	s_mov_b32 s40, 0
                                        ; implicit-def: $vgpr4
	s_and_saveexec_b32 s42, vcc_lo
	s_xor_b32 s42, exec_lo, s42
	s_cbranch_execz .LBB23_571
; %bb.339:
	v_bfe_u32 v4, v3, 20, 1
	s_mov_b32 s40, exec_lo
	v_add3_u32 v4, v3, v4, 0x487ffff
	v_lshrrev_b32_e32 v4, 20, v4
	s_andn2_saveexec_b32 s42, s42
	s_cbranch_execnz .LBB23_572
.LBB23_340:
	s_or_b32 exec_lo, exec_lo, s42
	v_mov_b32_e32 v5, 0
	s_and_saveexec_b32 s42, s40
.LBB23_341:
	v_lshrrev_b32_e32 v3, 24, v3
	v_and_or_b32 v5, 0x80, v3, v4
.LBB23_342:
	s_or_b32 exec_lo, exec_lo, s42
.LBB23_343:
	s_or_b32 exec_lo, exec_lo, s39
	global_store_byte v[0:1], v5, off
.LBB23_344:
	s_mov_b32 s39, -1
.LBB23_345:
	s_mov_b32 s40, 0
.LBB23_346:
	s_and_b32 vcc_lo, exec_lo, s40
	s_cbranch_vccz .LBB23_387
; %bb.347:
	s_cmp_gt_i32 s23, 22
	s_mov_b32 s40, -1
	s_cbranch_scc0 .LBB23_379
; %bb.348:
	s_cmp_lt_i32 s23, 24
	s_mov_b32 s39, -1
	s_cbranch_scc1 .LBB23_368
; %bb.349:
	s_cmp_gt_i32 s23, 24
	s_cbranch_scc0 .LBB23_357
; %bb.350:
	v_cvt_f32_f16_e32 v3, v2
	v_mov_b32_e32 v5, 0x80
	s_mov_b32 s39, exec_lo
	v_and_b32_e32 v4, 0x7fffffff, v3
	v_cmpx_gt_u32_e32 0x47800000, v4
	s_cbranch_execz .LBB23_356
; %bb.351:
	v_cmp_lt_u32_e32 vcc_lo, 0x37ffffff, v4
	s_mov_b32 s40, 0
                                        ; implicit-def: $vgpr4
	s_and_saveexec_b32 s42, vcc_lo
	s_xor_b32 s42, exec_lo, s42
	s_cbranch_execz .LBB23_574
; %bb.352:
	v_bfe_u32 v4, v3, 21, 1
	s_mov_b32 s40, exec_lo
	v_add3_u32 v4, v3, v4, 0x88fffff
	v_lshrrev_b32_e32 v4, 21, v4
	s_andn2_saveexec_b32 s42, s42
	s_cbranch_execnz .LBB23_575
.LBB23_353:
	s_or_b32 exec_lo, exec_lo, s42
	v_mov_b32_e32 v5, 0
	s_and_saveexec_b32 s42, s40
.LBB23_354:
	v_lshrrev_b32_e32 v3, 24, v3
	v_and_or_b32 v5, 0x80, v3, v4
.LBB23_355:
	s_or_b32 exec_lo, exec_lo, s42
.LBB23_356:
	s_or_b32 exec_lo, exec_lo, s39
	s_mov_b32 s39, 0
	global_store_byte v[0:1], v5, off
.LBB23_357:
	s_and_b32 vcc_lo, exec_lo, s39
	s_cbranch_vccz .LBB23_367
; %bb.358:
	v_cvt_f32_f16_e32 v3, v2
	s_mov_b32 s39, exec_lo
                                        ; implicit-def: $vgpr4
	v_and_b32_e32 v5, 0x7fffffff, v3
	v_cmpx_gt_u32_e32 0x43f00000, v5
	s_xor_b32 s39, exec_lo, s39
	s_cbranch_execz .LBB23_364
; %bb.359:
	s_mov_b32 s40, exec_lo
                                        ; implicit-def: $vgpr4
	v_cmpx_lt_u32_e32 0x3c7fffff, v5
	s_xor_b32 s40, exec_lo, s40
; %bb.360:
	v_bfe_u32 v4, v3, 20, 1
	v_add3_u32 v4, v3, v4, 0x407ffff
	v_and_b32_e32 v5, 0xff00000, v4
	v_lshrrev_b32_e32 v4, 20, v4
	v_cmp_ne_u32_e32 vcc_lo, 0x7f00000, v5
	v_cndmask_b32_e32 v4, 0x7e, v4, vcc_lo
; %bb.361:
	s_andn2_saveexec_b32 s40, s40
; %bb.362:
	v_add_f32_e64 v4, 0x46800000, |v3|
; %bb.363:
	s_or_b32 exec_lo, exec_lo, s40
                                        ; implicit-def: $vgpr5
.LBB23_364:
	s_andn2_saveexec_b32 s39, s39
; %bb.365:
	v_mov_b32_e32 v4, 0x7f
	v_cmp_lt_u32_e32 vcc_lo, 0x7f800000, v5
	v_cndmask_b32_e32 v4, 0x7e, v4, vcc_lo
; %bb.366:
	s_or_b32 exec_lo, exec_lo, s39
	v_lshrrev_b32_e32 v3, 24, v3
	v_and_or_b32 v3, 0x80, v3, v4
	global_store_byte v[0:1], v3, off
.LBB23_367:
	s_mov_b32 s39, 0
.LBB23_368:
	s_andn2_b32 vcc_lo, exec_lo, s39
	s_cbranch_vccnz .LBB23_378
; %bb.369:
	v_cvt_f32_f16_e32 v3, v2
	s_mov_b32 s39, exec_lo
                                        ; implicit-def: $vgpr4
	v_and_b32_e32 v5, 0x7fffffff, v3
	v_cmpx_gt_u32_e32 0x47800000, v5
	s_xor_b32 s39, exec_lo, s39
	s_cbranch_execz .LBB23_375
; %bb.370:
	s_mov_b32 s40, exec_lo
                                        ; implicit-def: $vgpr4
	v_cmpx_lt_u32_e32 0x387fffff, v5
	s_xor_b32 s40, exec_lo, s40
; %bb.371:
	v_bfe_u32 v4, v3, 21, 1
	v_add3_u32 v4, v3, v4, 0x80fffff
	v_lshrrev_b32_e32 v4, 21, v4
; %bb.372:
	s_andn2_saveexec_b32 s40, s40
; %bb.373:
	v_add_f32_e64 v4, 0x43000000, |v3|
; %bb.374:
	s_or_b32 exec_lo, exec_lo, s40
                                        ; implicit-def: $vgpr5
.LBB23_375:
	s_andn2_saveexec_b32 s39, s39
; %bb.376:
	v_mov_b32_e32 v4, 0x7f
	v_cmp_lt_u32_e32 vcc_lo, 0x7f800000, v5
	v_cndmask_b32_e32 v4, 0x7c, v4, vcc_lo
; %bb.377:
	s_or_b32 exec_lo, exec_lo, s39
	v_lshrrev_b32_e32 v3, 24, v3
	v_and_or_b32 v3, 0x80, v3, v4
	global_store_byte v[0:1], v3, off
.LBB23_378:
	s_mov_b32 s40, 0
	s_mov_b32 s39, -1
.LBB23_379:
	s_andn2_b32 vcc_lo, exec_lo, s40
	s_cbranch_vccnz .LBB23_387
; %bb.380:
	s_cmp_gt_i32 s23, 14
	s_mov_b32 s40, -1
	s_cbranch_scc0 .LBB23_384
; %bb.381:
	s_cmp_eq_u32 s23, 15
	s_mov_b32 s0, -1
	s_cbranch_scc0 .LBB23_383
; %bb.382:
	v_cvt_f32_f16_e32 v3, v2
	v_cmp_o_f16_e32 vcc_lo, v2, v2
	s_mov_b32 s39, -1
	s_mov_b32 s0, 0
	v_bfe_u32 v4, v3, 16, 1
	v_add3_u32 v3, v3, v4, 0x7fff
	v_mov_b32_e32 v4, 0x7fc0
	v_cndmask_b32_sdwa v3, v4, v3, vcc_lo dst_sel:DWORD dst_unused:UNUSED_PAD src0_sel:DWORD src1_sel:WORD_1
	global_store_short v[0:1], v3, off
.LBB23_383:
	s_mov_b32 s40, 0
.LBB23_384:
	s_and_b32 vcc_lo, exec_lo, s40
	s_cbranch_vccz .LBB23_387
; %bb.385:
	s_cmp_eq_u32 s23, 11
	s_mov_b32 s0, -1
	s_cbranch_scc0 .LBB23_387
; %bb.386:
	v_cmp_neq_f16_e32 vcc_lo, 0, v2
	s_mov_b32 s0, 0
	s_mov_b32 s39, -1
	v_cndmask_b32_e64 v3, 0, 1, vcc_lo
	global_store_byte v[0:1], v3, off
.LBB23_387:
	s_mov_b32 s23, 0
.LBB23_388:
	s_and_b32 vcc_lo, exec_lo, s23
	s_cbranch_vccz .LBB23_427
; %bb.389:
	s_and_b32 s22, 0xffff, s22
	s_mov_b32 s23, -1
	s_cmp_lt_i32 s22, 5
	s_cbranch_scc1 .LBB23_410
; %bb.390:
	s_cmp_lt_i32 s22, 8
	s_cbranch_scc1 .LBB23_400
; %bb.391:
	s_cmp_lt_i32 s22, 9
	s_cbranch_scc1 .LBB23_397
; %bb.392:
	s_cmp_gt_i32 s22, 9
	s_cbranch_scc0 .LBB23_394
; %bb.393:
	v_cvt_f32_f16_e32 v3, v2
	v_mov_b32_e32 v5, 0
	s_mov_b32 s23, 0
	v_cvt_f64_f32_e32 v[3:4], v3
	v_mov_b32_e32 v6, v5
	global_store_dwordx4 v[0:1], v[3:6], off
.LBB23_394:
	s_andn2_b32 vcc_lo, exec_lo, s23
	s_cbranch_vccnz .LBB23_396
; %bb.395:
	v_cvt_f32_f16_e32 v3, v2
	v_mov_b32_e32 v4, 0
	global_store_dwordx2 v[0:1], v[3:4], off
.LBB23_396:
	s_mov_b32 s23, 0
.LBB23_397:
	s_andn2_b32 vcc_lo, exec_lo, s23
	s_cbranch_vccnz .LBB23_399
; %bb.398:
	v_and_b32_e32 v3, 0xffff, v2
	global_store_dword v[0:1], v3, off
.LBB23_399:
	s_mov_b32 s23, 0
.LBB23_400:
	s_andn2_b32 vcc_lo, exec_lo, s23
	s_cbranch_vccnz .LBB23_409
; %bb.401:
	s_cmp_lt_i32 s22, 6
	s_mov_b32 s23, -1
	s_cbranch_scc1 .LBB23_407
; %bb.402:
	s_cmp_gt_i32 s22, 6
	s_cbranch_scc0 .LBB23_404
; %bb.403:
	v_cvt_f32_f16_e32 v3, v2
	s_mov_b32 s23, 0
	v_cvt_f64_f32_e32 v[3:4], v3
	global_store_dwordx2 v[0:1], v[3:4], off
.LBB23_404:
	s_andn2_b32 vcc_lo, exec_lo, s23
	s_cbranch_vccnz .LBB23_406
; %bb.405:
	v_cvt_f32_f16_e32 v3, v2
	global_store_dword v[0:1], v3, off
.LBB23_406:
	s_mov_b32 s23, 0
.LBB23_407:
	s_andn2_b32 vcc_lo, exec_lo, s23
	s_cbranch_vccnz .LBB23_409
; %bb.408:
	global_store_short v[0:1], v2, off
.LBB23_409:
	s_mov_b32 s23, 0
.LBB23_410:
	s_andn2_b32 vcc_lo, exec_lo, s23
	s_cbranch_vccnz .LBB23_426
; %bb.411:
	s_cmp_lt_i32 s22, 2
	s_mov_b32 s23, -1
	s_cbranch_scc1 .LBB23_421
; %bb.412:
	s_cmp_lt_i32 s22, 3
	s_cbranch_scc1 .LBB23_418
; %bb.413:
	s_cmp_gt_i32 s22, 3
	s_cbranch_scc0 .LBB23_415
; %bb.414:
	v_cvt_f32_f16_e32 v3, v2
	s_mov_b32 s23, 0
	v_cvt_i32_f32_e32 v3, v3
	v_ashrrev_i32_e32 v4, 31, v3
	global_store_dwordx2 v[0:1], v[3:4], off
.LBB23_415:
	s_andn2_b32 vcc_lo, exec_lo, s23
	s_cbranch_vccnz .LBB23_417
; %bb.416:
	v_cvt_f32_f16_e32 v3, v2
	v_cvt_i32_f32_e32 v3, v3
	global_store_dword v[0:1], v3, off
.LBB23_417:
	s_mov_b32 s23, 0
.LBB23_418:
	s_andn2_b32 vcc_lo, exec_lo, s23
	s_cbranch_vccnz .LBB23_420
; %bb.419:
	v_cvt_i16_f16_e32 v3, v2
	global_store_short v[0:1], v3, off
.LBB23_420:
	s_mov_b32 s23, 0
.LBB23_421:
	s_andn2_b32 vcc_lo, exec_lo, s23
	s_cbranch_vccnz .LBB23_426
; %bb.422:
	s_cmp_gt_i32 s22, 0
	s_mov_b32 s22, -1
	s_cbranch_scc0 .LBB23_424
; %bb.423:
	v_cvt_i16_f16_e32 v3, v2
	s_mov_b32 s22, 0
	global_store_byte v[0:1], v3, off
.LBB23_424:
	s_andn2_b32 vcc_lo, exec_lo, s22
	s_cbranch_vccnz .LBB23_426
; %bb.425:
	v_cvt_f32_f16_e32 v2, v2
	v_cvt_i32_f32_e32 v2, v2
	global_store_byte v[0:1], v2, off
.LBB23_426:
	s_mov_b32 s39, -1
.LBB23_427:
	s_andn2_b32 vcc_lo, exec_lo, s39
	s_cbranch_vccnz .LBB23_429
; %bb.428:
	v_add_nc_u32_e32 v8, 0x80, v8
	s_mov_b32 s22, -1
	s_branch .LBB23_542
.LBB23_429:
	s_mov_b32 s22, 0
	s_branch .LBB23_541
.LBB23_430:
	s_mov_b32 s1, -1
                                        ; implicit-def: $vgpr3
.LBB23_431:
	s_mov_b32 s23, 0
.LBB23_432:
	s_and_b32 vcc_lo, exec_lo, s23
	s_cbranch_vccz .LBB23_436
; %bb.433:
	s_cmp_eq_u32 s0, 29
	s_cbranch_scc0 .LBB23_435
; %bb.434:
	global_load_dwordx2 v[3:4], v[1:2], off
	s_mov_b32 s22, -1
	s_mov_b32 s1, 0
	s_mov_b32 s23, 0
	s_waitcnt vmcnt(0)
	v_ffbh_u32_e32 v5, v4
	v_min_u32_e32 v5, 32, v5
	v_lshlrev_b64 v[3:4], v5, v[3:4]
	v_min_u32_e32 v3, 1, v3
	v_or_b32_e32 v3, v4, v3
	v_sub_nc_u32_e32 v4, 32, v5
	v_cvt_f32_u32_e32 v3, v3
	v_ldexp_f32 v3, v3, v4
	v_cvt_f16_f32_e32 v3, v3
	s_branch .LBB23_437
.LBB23_435:
	s_mov_b32 s1, -1
                                        ; implicit-def: $vgpr3
.LBB23_436:
	s_mov_b32 s23, 0
.LBB23_437:
	s_and_b32 vcc_lo, exec_lo, s23
	s_cbranch_vccz .LBB23_455
; %bb.438:
	s_cmp_lt_i32 s0, 27
	s_cbranch_scc1 .LBB23_441
; %bb.439:
	s_cmp_gt_i32 s0, 27
	s_cbranch_scc0 .LBB23_442
; %bb.440:
	global_load_dword v3, v[1:2], off
	s_mov_b32 s22, 0
	s_waitcnt vmcnt(0)
	v_cvt_f32_u32_e32 v3, v3
	v_cvt_f16_f32_e32 v3, v3
	s_branch .LBB23_443
.LBB23_441:
	s_mov_b32 s22, -1
                                        ; implicit-def: $vgpr3
	s_branch .LBB23_446
.LBB23_442:
	s_mov_b32 s22, -1
                                        ; implicit-def: $vgpr3
.LBB23_443:
	s_andn2_b32 vcc_lo, exec_lo, s22
	s_cbranch_vccnz .LBB23_445
; %bb.444:
	global_load_ushort v3, v[1:2], off
	s_waitcnt vmcnt(0)
	v_cvt_f16_u16_e32 v3, v3
.LBB23_445:
	s_mov_b32 s22, 0
.LBB23_446:
	s_andn2_b32 vcc_lo, exec_lo, s22
	s_cbranch_vccnz .LBB23_454
; %bb.447:
	global_load_ubyte v4, v[1:2], off
	s_mov_b32 s22, 0
	s_mov_b32 s23, exec_lo
	s_waitcnt vmcnt(0)
	v_cmpx_lt_i16_e32 0x7f, v4
	s_xor_b32 s23, exec_lo, s23
	s_cbranch_execz .LBB23_468
; %bb.448:
	s_mov_b32 s22, -1
	s_mov_b32 s39, exec_lo
	v_cmpx_eq_u16_e32 0x80, v4
; %bb.449:
	s_xor_b32 s22, exec_lo, -1
; %bb.450:
	s_or_b32 exec_lo, exec_lo, s39
	s_and_b32 s22, s22, exec_lo
	s_or_saveexec_b32 s23, s23
	v_mov_b32_e32 v3, 0x7e00
	s_xor_b32 exec_lo, exec_lo, s23
	s_cbranch_execnz .LBB23_469
.LBB23_451:
	s_or_b32 exec_lo, exec_lo, s23
	s_and_saveexec_b32 s23, s22
	s_cbranch_execz .LBB23_453
.LBB23_452:
	v_and_b32_e32 v3, 0xffff, v4
	v_lshlrev_b32_e32 v4, 24, v4
	v_and_b32_e32 v5, 7, v3
	v_bfe_u32 v9, v3, 3, 4
	v_and_b32_e32 v4, 0x80000000, v4
	v_ffbh_u32_e32 v6, v5
	v_cmp_eq_u32_e32 vcc_lo, 0, v9
	v_min_u32_e32 v6, 32, v6
	v_subrev_nc_u32_e32 v7, 28, v6
	v_sub_nc_u32_e32 v6, 29, v6
	v_lshlrev_b32_e32 v3, v7, v3
	v_cndmask_b32_e32 v6, v9, v6, vcc_lo
	v_and_b32_e32 v3, 7, v3
	v_cndmask_b32_e32 v3, v5, v3, vcc_lo
	v_lshl_add_u32 v5, v6, 23, 0x3b800000
	v_lshlrev_b32_e32 v3, 20, v3
	v_or3_b32 v3, v4, v5, v3
	v_cvt_f16_f32_e32 v3, v3
.LBB23_453:
	s_or_b32 exec_lo, exec_lo, s23
.LBB23_454:
	s_mov_b32 s22, -1
.LBB23_455:
	s_mov_b32 s23, 0
.LBB23_456:
	s_and_b32 vcc_lo, exec_lo, s23
	s_cbranch_vccz .LBB23_491
; %bb.457:
	s_cmp_gt_i32 s0, 22
	s_cbranch_scc0 .LBB23_467
; %bb.458:
	s_cmp_lt_i32 s0, 24
	s_cbranch_scc1 .LBB23_470
; %bb.459:
	s_cmp_gt_i32 s0, 24
	s_cbranch_scc0 .LBB23_471
; %bb.460:
	global_load_ubyte v4, v[1:2], off
	s_mov_b32 s22, 0
	s_mov_b32 s23, exec_lo
	s_waitcnt vmcnt(0)
	v_cmpx_lt_i16_e32 0x7f, v4
	s_xor_b32 s23, exec_lo, s23
	s_cbranch_execz .LBB23_483
; %bb.461:
	s_mov_b32 s22, -1
	s_mov_b32 s39, exec_lo
	v_cmpx_eq_u16_e32 0x80, v4
; %bb.462:
	s_xor_b32 s22, exec_lo, -1
; %bb.463:
	s_or_b32 exec_lo, exec_lo, s39
	s_and_b32 s22, s22, exec_lo
	s_or_saveexec_b32 s23, s23
	v_mov_b32_e32 v3, 0x7e00
	s_xor_b32 exec_lo, exec_lo, s23
	s_cbranch_execnz .LBB23_484
.LBB23_464:
	s_or_b32 exec_lo, exec_lo, s23
	s_and_saveexec_b32 s23, s22
	s_cbranch_execz .LBB23_466
.LBB23_465:
	v_and_b32_e32 v3, 0xffff, v4
	v_lshlrev_b32_e32 v4, 24, v4
	v_and_b32_e32 v5, 3, v3
	v_bfe_u32 v9, v3, 2, 5
	v_and_b32_e32 v4, 0x80000000, v4
	v_ffbh_u32_e32 v6, v5
	v_cmp_eq_u32_e32 vcc_lo, 0, v9
	v_min_u32_e32 v6, 32, v6
	v_subrev_nc_u32_e32 v7, 29, v6
	v_sub_nc_u32_e32 v6, 30, v6
	v_lshlrev_b32_e32 v3, v7, v3
	v_cndmask_b32_e32 v6, v9, v6, vcc_lo
	v_and_b32_e32 v3, 3, v3
	v_cndmask_b32_e32 v3, v5, v3, vcc_lo
	v_lshl_add_u32 v5, v6, 23, 0x37800000
	v_lshlrev_b32_e32 v3, 21, v3
	v_or3_b32 v3, v4, v5, v3
	v_cvt_f16_f32_e32 v3, v3
.LBB23_466:
	s_or_b32 exec_lo, exec_lo, s23
	s_mov_b32 s22, 0
	s_branch .LBB23_472
.LBB23_467:
	s_mov_b32 s23, -1
                                        ; implicit-def: $vgpr3
	s_branch .LBB23_478
.LBB23_468:
	s_or_saveexec_b32 s23, s23
	v_mov_b32_e32 v3, 0x7e00
	s_xor_b32 exec_lo, exec_lo, s23
	s_cbranch_execz .LBB23_451
.LBB23_469:
	v_cmp_ne_u16_e32 vcc_lo, 0, v4
	v_mov_b32_e32 v3, v4
	s_andn2_b32 s22, s22, exec_lo
	s_and_b32 s39, vcc_lo, exec_lo
	s_or_b32 s22, s22, s39
	s_or_b32 exec_lo, exec_lo, s23
	s_and_saveexec_b32 s23, s22
	s_cbranch_execnz .LBB23_452
	s_branch .LBB23_453
.LBB23_470:
	s_mov_b32 s22, -1
                                        ; implicit-def: $vgpr3
	s_branch .LBB23_475
.LBB23_471:
	s_mov_b32 s22, -1
                                        ; implicit-def: $vgpr3
.LBB23_472:
	s_and_b32 vcc_lo, exec_lo, s22
	s_cbranch_vccz .LBB23_474
; %bb.473:
	global_load_ubyte v3, v[1:2], off
	s_waitcnt vmcnt(0)
	v_lshlrev_b32_e32 v3, 24, v3
	v_and_b32_e32 v4, 0x7f000000, v3
	v_ffbh_u32_e32 v5, v4
	v_add_nc_u32_e32 v7, 0x1000000, v4
	v_cmp_ne_u32_e32 vcc_lo, 0, v4
	v_min_u32_e32 v5, 32, v5
	v_sub_nc_u32_e64 v5, v5, 4 clamp
	v_lshlrev_b32_e32 v6, v5, v4
	v_lshlrev_b32_e32 v5, 23, v5
	v_lshrrev_b32_e32 v6, 4, v6
	v_sub_nc_u32_e32 v5, v6, v5
	v_ashrrev_i32_e32 v6, 8, v7
	v_add_nc_u32_e32 v5, 0x3c000000, v5
	v_and_or_b32 v5, 0x7f800000, v6, v5
	v_cndmask_b32_e32 v4, 0, v5, vcc_lo
	v_and_or_b32 v3, 0x80000000, v3, v4
	v_cvt_f16_f32_e32 v3, v3
.LBB23_474:
	s_mov_b32 s22, 0
.LBB23_475:
	s_andn2_b32 vcc_lo, exec_lo, s22
	s_cbranch_vccnz .LBB23_477
; %bb.476:
	global_load_ubyte v3, v[1:2], off
	s_waitcnt vmcnt(0)
	v_lshlrev_b32_e32 v4, 25, v3
	v_lshlrev_b16 v3, 8, v3
	v_lshrrev_b32_e32 v5, 4, v4
	v_and_or_b32 v6, 0x7f00, v3, 0.5
	v_cmp_gt_u32_e32 vcc_lo, 0x8000000, v4
	v_bfe_i32 v3, v3, 0, 16
	v_or_b32_e32 v5, 0x70000000, v5
	v_add_f32_e32 v6, -0.5, v6
	v_mul_f32_e32 v5, 0x7800000, v5
	v_cndmask_b32_e32 v4, v5, v6, vcc_lo
	v_and_or_b32 v3, 0x80000000, v3, v4
	v_cvt_f16_f32_e32 v3, v3
.LBB23_477:
	s_mov_b32 s23, 0
	s_mov_b32 s22, -1
.LBB23_478:
	s_andn2_b32 vcc_lo, exec_lo, s23
	s_cbranch_vccnz .LBB23_491
; %bb.479:
	s_cmp_gt_i32 s0, 14
	s_cbranch_scc0 .LBB23_482
; %bb.480:
	s_cmp_eq_u32 s0, 15
	s_cbranch_scc0 .LBB23_485
; %bb.481:
	global_load_ushort v3, v[1:2], off
	s_mov_b32 s22, -1
	s_mov_b32 s1, 0
	s_waitcnt vmcnt(0)
	v_lshlrev_b32_e32 v3, 16, v3
	v_cvt_f16_f32_e32 v3, v3
	s_branch .LBB23_486
.LBB23_482:
	s_mov_b32 s23, -1
                                        ; implicit-def: $vgpr3
	s_branch .LBB23_487
.LBB23_483:
	s_or_saveexec_b32 s23, s23
	v_mov_b32_e32 v3, 0x7e00
	s_xor_b32 exec_lo, exec_lo, s23
	s_cbranch_execz .LBB23_464
.LBB23_484:
	v_cmp_ne_u16_e32 vcc_lo, 0, v4
	v_mov_b32_e32 v3, v4
	s_andn2_b32 s22, s22, exec_lo
	s_and_b32 s39, vcc_lo, exec_lo
	s_or_b32 s22, s22, s39
	s_or_b32 exec_lo, exec_lo, s23
	s_and_saveexec_b32 s23, s22
	s_cbranch_execnz .LBB23_465
	s_branch .LBB23_466
.LBB23_485:
	s_mov_b32 s1, -1
                                        ; implicit-def: $vgpr3
.LBB23_486:
	s_mov_b32 s23, 0
.LBB23_487:
	s_and_b32 vcc_lo, exec_lo, s23
	s_cbranch_vccz .LBB23_491
; %bb.488:
	s_cmp_eq_u32 s0, 11
	s_cbranch_scc0 .LBB23_490
; %bb.489:
	global_load_ubyte v3, v[1:2], off
	s_mov_b32 s1, 0
	s_mov_b32 s22, -1
	s_waitcnt vmcnt(0)
	v_cmp_ne_u16_e32 vcc_lo, 0, v3
	v_cndmask_b32_e64 v3, 0, 0x3c00, vcc_lo
	s_branch .LBB23_491
.LBB23_490:
	s_mov_b32 s1, -1
                                        ; implicit-def: $vgpr3
.LBB23_491:
	s_branch .LBB23_293
.LBB23_492:
	s_cmp_lt_i32 s0, 5
	s_cbranch_scc1 .LBB23_497
; %bb.493:
	s_cmp_lt_i32 s0, 8
	s_cbranch_scc1 .LBB23_498
; %bb.494:
	;; [unrolled: 3-line block ×3, first 2 shown]
	s_cmp_gt_i32 s0, 9
	s_cbranch_scc0 .LBB23_500
; %bb.496:
	global_load_dwordx2 v[3:4], v[1:2], off
	s_mov_b32 s22, 0
	s_waitcnt vmcnt(0)
	v_and_or_b32 v3, 0x1ff, v4, v3
	v_lshrrev_b32_e32 v5, 8, v4
	v_bfe_u32 v6, v4, 20, 11
	v_lshrrev_b32_e32 v4, 16, v4
	v_cmp_ne_u32_e32 vcc_lo, 0, v3
	v_sub_nc_u32_e32 v7, 0x3f1, v6
	v_add_nc_u32_e32 v6, 0xfffffc10, v6
	v_cndmask_b32_e64 v3, 0, 1, vcc_lo
	v_and_or_b32 v3, 0xffe, v5, v3
	v_med3_i32 v5, v7, 0, 13
	v_or_b32_e32 v7, 0x1000, v3
	v_lshrrev_b32_e32 v9, v5, v7
	v_lshlrev_b32_e32 v5, v5, v9
	v_cmp_ne_u32_e32 vcc_lo, v5, v7
	v_lshl_or_b32 v7, v6, 12, v3
	v_cndmask_b32_e64 v5, 0, 1, vcc_lo
	v_cmp_gt_i32_e32 vcc_lo, 1, v6
	v_or_b32_e32 v5, v9, v5
	v_cndmask_b32_e32 v5, v7, v5, vcc_lo
	v_and_b32_e32 v7, 7, v5
	v_lshrrev_b32_e32 v5, 2, v5
	v_cmp_lt_i32_e32 vcc_lo, 5, v7
	v_cndmask_b32_e64 v9, 0, 1, vcc_lo
	v_cmp_eq_u32_e32 vcc_lo, 3, v7
	v_cndmask_b32_e64 v7, 0, 1, vcc_lo
	v_cmp_ne_u32_e32 vcc_lo, 0, v3
	v_or_b32_e32 v7, v7, v9
	v_mov_b32_e32 v9, 0x7e00
	v_add_nc_u32_e32 v5, v5, v7
	v_cndmask_b32_e32 v3, 0x7c00, v9, vcc_lo
	v_cmp_gt_i32_e32 vcc_lo, 31, v6
	v_cndmask_b32_e32 v5, 0x7c00, v5, vcc_lo
	v_cmp_eq_u32_e32 vcc_lo, 0x40f, v6
	v_cndmask_b32_e32 v3, v5, v3, vcc_lo
	v_and_or_b32 v3, 0x8000, v4, v3
	s_branch .LBB23_501
.LBB23_497:
	s_mov_b32 s22, -1
                                        ; implicit-def: $vgpr3
	s_branch .LBB23_519
.LBB23_498:
	s_mov_b32 s22, -1
                                        ; implicit-def: $vgpr3
	s_branch .LBB23_507
.LBB23_499:
	s_mov_b32 s22, -1
                                        ; implicit-def: $vgpr3
	s_branch .LBB23_504
.LBB23_500:
	s_mov_b32 s22, -1
                                        ; implicit-def: $vgpr3
.LBB23_501:
	s_andn2_b32 vcc_lo, exec_lo, s22
	s_cbranch_vccnz .LBB23_503
; %bb.502:
	global_load_dword v3, v[1:2], off
	s_waitcnt vmcnt(0)
	v_cvt_f16_f32_e32 v3, v3
.LBB23_503:
	s_mov_b32 s22, 0
.LBB23_504:
	s_andn2_b32 vcc_lo, exec_lo, s22
	s_cbranch_vccnz .LBB23_506
; %bb.505:
	global_load_dword v3, v[1:2], off
.LBB23_506:
	s_mov_b32 s22, 0
.LBB23_507:
	s_andn2_b32 vcc_lo, exec_lo, s22
	s_cbranch_vccnz .LBB23_518
; %bb.508:
	s_cmp_lt_i32 s0, 6
	s_cbranch_scc1 .LBB23_511
; %bb.509:
	s_cmp_gt_i32 s0, 6
	s_cbranch_scc0 .LBB23_512
; %bb.510:
	global_load_dwordx2 v[3:4], v[1:2], off
	s_mov_b32 s22, 0
	s_waitcnt vmcnt(0)
	v_and_or_b32 v3, 0x1ff, v4, v3
	v_lshrrev_b32_e32 v5, 8, v4
	v_bfe_u32 v6, v4, 20, 11
	v_lshrrev_b32_e32 v4, 16, v4
	v_cmp_ne_u32_e32 vcc_lo, 0, v3
	v_sub_nc_u32_e32 v7, 0x3f1, v6
	v_add_nc_u32_e32 v6, 0xfffffc10, v6
	v_cndmask_b32_e64 v3, 0, 1, vcc_lo
	v_and_or_b32 v3, 0xffe, v5, v3
	v_med3_i32 v5, v7, 0, 13
	v_or_b32_e32 v7, 0x1000, v3
	v_lshrrev_b32_e32 v9, v5, v7
	v_lshlrev_b32_e32 v5, v5, v9
	v_cmp_ne_u32_e32 vcc_lo, v5, v7
	v_lshl_or_b32 v7, v6, 12, v3
	v_cndmask_b32_e64 v5, 0, 1, vcc_lo
	v_cmp_gt_i32_e32 vcc_lo, 1, v6
	v_or_b32_e32 v5, v9, v5
	v_cndmask_b32_e32 v5, v7, v5, vcc_lo
	v_and_b32_e32 v7, 7, v5
	v_lshrrev_b32_e32 v5, 2, v5
	v_cmp_lt_i32_e32 vcc_lo, 5, v7
	v_cndmask_b32_e64 v9, 0, 1, vcc_lo
	v_cmp_eq_u32_e32 vcc_lo, 3, v7
	v_cndmask_b32_e64 v7, 0, 1, vcc_lo
	v_cmp_ne_u32_e32 vcc_lo, 0, v3
	v_or_b32_e32 v7, v7, v9
	v_mov_b32_e32 v9, 0x7e00
	v_add_nc_u32_e32 v5, v5, v7
	v_cndmask_b32_e32 v3, 0x7c00, v9, vcc_lo
	v_cmp_gt_i32_e32 vcc_lo, 31, v6
	v_cndmask_b32_e32 v5, 0x7c00, v5, vcc_lo
	v_cmp_eq_u32_e32 vcc_lo, 0x40f, v6
	v_cndmask_b32_e32 v3, v5, v3, vcc_lo
	v_and_or_b32 v3, 0x8000, v4, v3
	s_branch .LBB23_513
.LBB23_511:
	s_mov_b32 s22, -1
                                        ; implicit-def: $vgpr3
	s_branch .LBB23_516
.LBB23_512:
	s_mov_b32 s22, -1
                                        ; implicit-def: $vgpr3
.LBB23_513:
	s_andn2_b32 vcc_lo, exec_lo, s22
	s_cbranch_vccnz .LBB23_515
; %bb.514:
	global_load_dword v3, v[1:2], off
	s_waitcnt vmcnt(0)
	v_cvt_f16_f32_e32 v3, v3
.LBB23_515:
	s_mov_b32 s22, 0
.LBB23_516:
	s_andn2_b32 vcc_lo, exec_lo, s22
	s_cbranch_vccnz .LBB23_518
; %bb.517:
	global_load_ushort v3, v[1:2], off
.LBB23_518:
	s_mov_b32 s22, 0
.LBB23_519:
	s_andn2_b32 vcc_lo, exec_lo, s22
	s_cbranch_vccnz .LBB23_539
; %bb.520:
	s_cmp_lt_i32 s0, 2
	s_cbranch_scc1 .LBB23_524
; %bb.521:
	s_cmp_lt_i32 s0, 3
	s_cbranch_scc1 .LBB23_525
; %bb.522:
	s_cmp_gt_i32 s0, 3
	s_cbranch_scc0 .LBB23_526
; %bb.523:
	global_load_dwordx2 v[3:4], v[1:2], off
	s_mov_b32 s22, 0
	s_waitcnt vmcnt(0)
	v_xor_b32_e32 v5, v3, v4
	v_ffbh_i32_e32 v6, v4
	v_ashrrev_i32_e32 v5, 31, v5
	v_add_nc_u32_e32 v6, -1, v6
	v_add_nc_u32_e32 v5, 32, v5
	v_min_u32_e32 v5, v6, v5
	v_lshlrev_b64 v[3:4], v5, v[3:4]
	v_min_u32_e32 v3, 1, v3
	v_or_b32_e32 v3, v4, v3
	v_sub_nc_u32_e32 v4, 32, v5
	v_cvt_f32_i32_e32 v3, v3
	v_ldexp_f32 v3, v3, v4
	v_cvt_f16_f32_e32 v3, v3
	s_branch .LBB23_527
.LBB23_524:
	s_mov_b32 s22, -1
                                        ; implicit-def: $vgpr3
	s_branch .LBB23_533
.LBB23_525:
	s_mov_b32 s22, -1
                                        ; implicit-def: $vgpr3
	s_branch .LBB23_530
.LBB23_526:
	s_mov_b32 s22, -1
                                        ; implicit-def: $vgpr3
.LBB23_527:
	s_andn2_b32 vcc_lo, exec_lo, s22
	s_cbranch_vccnz .LBB23_529
; %bb.528:
	global_load_dword v3, v[1:2], off
	s_waitcnt vmcnt(0)
	v_cvt_f32_i32_e32 v3, v3
	v_cvt_f16_f32_e32 v3, v3
.LBB23_529:
	s_mov_b32 s22, 0
.LBB23_530:
	s_andn2_b32 vcc_lo, exec_lo, s22
	s_cbranch_vccnz .LBB23_532
; %bb.531:
	global_load_ushort v3, v[1:2], off
	s_waitcnt vmcnt(0)
	v_cvt_f16_i16_e32 v3, v3
.LBB23_532:
	s_mov_b32 s22, 0
.LBB23_533:
	s_andn2_b32 vcc_lo, exec_lo, s22
	s_cbranch_vccnz .LBB23_539
; %bb.534:
	s_cmp_gt_i32 s0, 0
	s_mov_b32 s0, 0
	s_cbranch_scc0 .LBB23_536
; %bb.535:
	global_load_sbyte v3, v[1:2], off
	s_waitcnt vmcnt(0)
	v_cvt_f16_i16_e32 v3, v3
	s_branch .LBB23_537
.LBB23_536:
	s_mov_b32 s0, -1
                                        ; implicit-def: $vgpr3
.LBB23_537:
	s_andn2_b32 vcc_lo, exec_lo, s0
	s_cbranch_vccnz .LBB23_539
; %bb.538:
	global_load_ubyte v1, v[1:2], off
	s_waitcnt vmcnt(0)
	v_cvt_f16_u16_e32 v3, v1
.LBB23_539:
	s_branch .LBB23_294
.LBB23_540:
	s_mov_b32 s22, 0
	s_mov_b32 s0, s36
.LBB23_541:
                                        ; implicit-def: $vgpr8
.LBB23_542:
	s_andn2_b32 s23, s36, exec_lo
	s_and_b32 s0, s0, exec_lo
	s_andn2_b32 s39, s37, exec_lo
	s_and_b32 s1, s1, exec_lo
	s_or_b32 s40, s23, s0
	s_or_b32 s39, s39, s1
	s_orn2_b32 s0, s22, exec_lo
.LBB23_543:
	s_or_b32 exec_lo, exec_lo, s41
	s_mov_b32 s1, 0
	s_mov_b32 s23, 0
	;; [unrolled: 1-line block ×3, first 2 shown]
                                        ; implicit-def: $vgpr1_vgpr2
                                        ; implicit-def: $vgpr0
                                        ; implicit-def: $vgpr4
	s_and_saveexec_b32 s41, s0
	s_cbranch_execz .LBB23_920
; %bb.544:
	s_mov_b32 s44, -1
	s_mov_b32 s22, s39
	s_mov_b32 s23, s40
	s_mov_b32 s42, exec_lo
	v_cmpx_gt_i32_e64 s33, v8
	s_cbranch_execz .LBB23_819
; %bb.545:
	s_andn2_b32 vcc_lo, exec_lo, s27
	s_cbranch_vccnz .LBB23_550
; %bb.546:
	s_andn2_b32 vcc_lo, exec_lo, s34
	s_cbranch_vccnz .LBB23_551
; %bb.547:
	s_add_i32 s44, s35, 1
	s_cmp_eq_u32 s25, 2
	s_cbranch_scc1 .LBB23_552
; %bb.548:
	v_mov_b32_e32 v2, 0
	v_mov_b32_e32 v0, 0
	;; [unrolled: 1-line block ×3, first 2 shown]
	s_and_b32 s43, s44, 28
	s_mov_b32 s45, 0
	s_mov_b64 s[0:1], s[2:3]
	s_mov_b64 s[22:23], s[20:21]
.LBB23_549:                             ; =>This Inner Loop Header: Depth=1
	s_clause 0x1
	s_load_dwordx8 s[48:55], s[0:1], 0x4
	s_load_dwordx4 s[64:67], s[0:1], 0x24
	s_load_dwordx8 s[56:63], s[22:23], 0x0
	s_add_u32 s0, s0, 48
	s_addc_u32 s1, s1, 0
	s_add_i32 s45, s45, 4
	s_add_u32 s22, s22, 32
	s_addc_u32 s23, s23, 0
	s_cmp_eq_u32 s43, s45
	s_waitcnt vmcnt(0) lgkmcnt(0)
	v_mul_hi_u32 v3, s49, v1
	v_add_nc_u32_e32 v3, v1, v3
	v_lshrrev_b32_e32 v3, s50, v3
	v_mul_hi_u32 v4, s52, v3
	v_mul_lo_u32 v6, v3, s48
	v_add_nc_u32_e32 v4, v3, v4
	v_sub_nc_u32_e32 v1, v1, v6
	v_lshrrev_b32_e32 v4, s53, v4
	v_mul_lo_u32 v6, v1, s56
	v_mul_lo_u32 v9, v1, s57
	v_mul_hi_u32 v5, s55, v4
	v_add_nc_u32_e32 v5, v4, v5
	v_lshrrev_b32_e32 v5, s64, v5
	v_mul_hi_u32 v7, s66, v5
	v_mul_lo_u32 v10, v5, s54
	v_add_nc_u32_e32 v1, v5, v7
	v_mul_lo_u32 v7, v4, s51
	v_sub_nc_u32_e32 v4, v4, v10
	v_lshrrev_b32_e32 v1, s67, v1
	v_mul_lo_u32 v10, v4, s60
	v_mul_lo_u32 v4, v4, s61
	v_sub_nc_u32_e32 v3, v3, v7
	v_mul_lo_u32 v11, v1, s65
	v_mul_lo_u32 v7, v3, s58
	;; [unrolled: 1-line block ×3, first 2 shown]
	v_sub_nc_u32_e32 v5, v5, v11
	v_add3_u32 v0, v6, v0, v7
	v_mul_lo_u32 v11, v5, s62
	v_mul_lo_u32 v5, v5, s63
	v_add3_u32 v2, v9, v2, v3
	v_add3_u32 v0, v10, v0, v11
	;; [unrolled: 1-line block ×3, first 2 shown]
	s_cbranch_scc0 .LBB23_549
	s_branch .LBB23_553
.LBB23_550:
	s_mov_b32 s0, -1
                                        ; implicit-def: $vgpr0
                                        ; implicit-def: $vgpr2
	s_branch .LBB23_557
.LBB23_551:
	v_mov_b32_e32 v0, 0
	v_mov_b32_e32 v2, 0
	s_branch .LBB23_556
.LBB23_552:
	v_mov_b32_e32 v0, 0
	v_mov_b32_e32 v2, 0
	;; [unrolled: 1-line block ×3, first 2 shown]
	s_mov_b32 s43, 0
.LBB23_553:
	s_and_b32 s44, s44, 3
	s_cmp_eq_u32 s44, 0
	s_cbranch_scc1 .LBB23_556
; %bb.554:
	s_lshl_b32 s0, s43, 3
	s_mul_i32 s22, s43, 12
	s_add_u32 s0, s2, s0
	s_addc_u32 s1, s3, 0
	s_add_u32 s0, s0, 0xc4
	s_addc_u32 s1, s1, 0
	;; [unrolled: 2-line block ×3, first 2 shown]
	.p2align	6
.LBB23_555:                             ; =>This Inner Loop Header: Depth=1
	s_clause 0x1
	s_load_dwordx2 s[46:47], s[22:23], 0x4
	s_load_dword s43, s[22:23], 0xc
	s_load_dwordx2 s[48:49], s[0:1], 0x0
	s_add_u32 s22, s22, 12
	s_addc_u32 s23, s23, 0
	s_add_u32 s0, s0, 8
	s_addc_u32 s1, s1, 0
	s_add_i32 s44, s44, -1
	s_cmp_lg_u32 s44, 0
	s_waitcnt vmcnt(0) lgkmcnt(0)
	v_mul_hi_u32 v3, s47, v1
	v_add_nc_u32_e32 v3, v1, v3
	v_lshrrev_b32_e32 v4, s43, v3
	v_mul_lo_u32 v3, v4, s46
	v_sub_nc_u32_e32 v3, v1, v3
	v_mad_u64_u32 v[0:1], null, v3, s48, v[0:1]
	v_mad_u64_u32 v[2:3], null, v3, s49, v[2:3]
	v_mov_b32_e32 v1, v4
	s_cbranch_scc1 .LBB23_555
.LBB23_556:
	s_mov_b32 s0, 0
.LBB23_557:
	s_andn2_b32 vcc_lo, exec_lo, s0
	s_cbranch_vccnz .LBB23_560
; %bb.558:
	s_waitcnt lgkmcnt(0)
	v_mul_hi_u32 v0, s17, v8
	s_andn2_b32 vcc_lo, exec_lo, s31
	v_add_nc_u32_e32 v0, v8, v0
	v_lshrrev_b32_e32 v1, s18, v0
	v_mul_lo_u32 v0, v1, s16
	v_sub_nc_u32_e32 v2, v8, v0
	v_mul_lo_u32 v0, v2, s12
	v_mul_lo_u32 v2, v2, s13
	s_cbranch_vccnz .LBB23_560
; %bb.559:
	s_waitcnt vmcnt(0)
	v_mul_hi_u32 v3, s6, v1
	v_add_nc_u32_e32 v3, v1, v3
	v_lshrrev_b32_e32 v3, s7, v3
	v_mul_lo_u32 v3, v3, s19
	v_sub_nc_u32_e32 v3, v1, v3
	v_mad_u64_u32 v[0:1], null, v3, s14, v[0:1]
	v_mad_u64_u32 v[2:3], null, v3, s15, v[2:3]
.LBB23_560:
	s_waitcnt lgkmcnt(0)
	v_add_co_u32 v1, s0, s10, v2
	v_add_co_ci_u32_e64 v2, null, s11, 0, s0
	s_and_b32 s0, 0xffff, s30
	s_cmp_lt_i32 s0, 11
	s_cbranch_scc1 .LBB23_567
; %bb.561:
	s_cmp_gt_i32 s0, 25
	s_cbranch_scc0 .LBB23_568
; %bb.562:
	s_cmp_gt_i32 s0, 28
	s_cbranch_scc0 .LBB23_569
	;; [unrolled: 3-line block ×4, first 2 shown]
; %bb.565:
	s_cmp_eq_u32 s0, 46
	s_mov_b32 s23, 0
	s_cbranch_scc0 .LBB23_576
; %bb.566:
	global_load_dword v3, v[1:2], off
	s_mov_b32 s22, -1
	s_mov_b32 s1, 0
	s_waitcnt vmcnt(0)
	v_lshlrev_b32_e32 v3, 16, v3
	v_cvt_f16_f32_e32 v3, v3
	s_branch .LBB23_578
.LBB23_567:
	s_mov_b32 s23, -1
	s_mov_b32 s22, 0
	s_mov_b32 s1, s39
                                        ; implicit-def: $vgpr3
	s_branch .LBB23_643
.LBB23_568:
	s_mov_b32 s23, -1
	s_mov_b32 s22, 0
	s_mov_b32 s1, s39
                                        ; implicit-def: $vgpr3
	s_branch .LBB23_607
.LBB23_569:
	s_mov_b32 s23, -1
	s_mov_b32 s22, 0
	s_mov_b32 s1, s39
                                        ; implicit-def: $vgpr3
	s_branch .LBB23_588
.LBB23_570:
	s_mov_b32 s23, -1
	s_mov_b32 s22, 0
	s_mov_b32 s1, s39
                                        ; implicit-def: $vgpr3
	s_branch .LBB23_583
.LBB23_571:
	s_andn2_saveexec_b32 s42, s42
	s_cbranch_execz .LBB23_340
.LBB23_572:
	v_add_f32_e64 v4, 0x46000000, |v3|
	s_andn2_b32 s40, s40, exec_lo
	v_and_b32_e32 v4, 0xff, v4
	v_cmp_ne_u32_e32 vcc_lo, 0, v4
	s_and_b32 s43, vcc_lo, exec_lo
	s_or_b32 s40, s40, s43
	s_or_b32 exec_lo, exec_lo, s42
	v_mov_b32_e32 v5, 0
	s_and_saveexec_b32 s42, s40
	s_cbranch_execnz .LBB23_341
	s_branch .LBB23_342
.LBB23_573:
	s_mov_b32 s23, -1
	s_mov_b32 s22, 0
	s_mov_b32 s1, s39
	s_branch .LBB23_577
.LBB23_574:
	s_andn2_saveexec_b32 s42, s42
	s_cbranch_execz .LBB23_353
.LBB23_575:
	v_add_f32_e64 v4, 0x42800000, |v3|
	s_andn2_b32 s40, s40, exec_lo
	v_and_b32_e32 v4, 0xff, v4
	v_cmp_ne_u32_e32 vcc_lo, 0, v4
	s_and_b32 s43, vcc_lo, exec_lo
	s_or_b32 s40, s40, s43
	s_or_b32 exec_lo, exec_lo, s42
	v_mov_b32_e32 v5, 0
	s_and_saveexec_b32 s42, s40
	s_cbranch_execnz .LBB23_354
	s_branch .LBB23_355
.LBB23_576:
	s_mov_b32 s1, -1
	s_mov_b32 s22, 0
.LBB23_577:
                                        ; implicit-def: $vgpr3
.LBB23_578:
	s_and_b32 vcc_lo, exec_lo, s23
	s_cbranch_vccz .LBB23_582
; %bb.579:
	s_cmp_eq_u32 s0, 44
	s_cbranch_scc0 .LBB23_581
; %bb.580:
	global_load_ubyte v3, v[1:2], off
	s_mov_b32 s1, 0
	s_mov_b32 s22, -1
	s_waitcnt vmcnt(0)
	v_lshlrev_b32_e32 v4, 23, v3
	v_cmp_ne_u32_e32 vcc_lo, 0xff, v3
	v_cvt_f16_f32_e32 v4, v4
	v_cndmask_b32_e32 v4, 0x7e00, v4, vcc_lo
	v_cmp_ne_u32_e32 vcc_lo, 0, v3
	v_cndmask_b32_e32 v3, 0, v4, vcc_lo
	s_branch .LBB23_582
.LBB23_581:
	s_mov_b32 s1, -1
                                        ; implicit-def: $vgpr3
.LBB23_582:
	s_mov_b32 s23, 0
.LBB23_583:
	s_and_b32 vcc_lo, exec_lo, s23
	s_cbranch_vccz .LBB23_587
; %bb.584:
	s_cmp_eq_u32 s0, 29
	s_cbranch_scc0 .LBB23_586
; %bb.585:
	global_load_dwordx2 v[3:4], v[1:2], off
	s_mov_b32 s22, -1
	s_mov_b32 s1, 0
	s_mov_b32 s23, 0
	s_waitcnt vmcnt(0)
	v_ffbh_u32_e32 v5, v4
	v_min_u32_e32 v5, 32, v5
	v_lshlrev_b64 v[3:4], v5, v[3:4]
	v_min_u32_e32 v3, 1, v3
	v_or_b32_e32 v3, v4, v3
	v_sub_nc_u32_e32 v4, 32, v5
	v_cvt_f32_u32_e32 v3, v3
	v_ldexp_f32 v3, v3, v4
	v_cvt_f16_f32_e32 v3, v3
	s_branch .LBB23_588
.LBB23_586:
	s_mov_b32 s1, -1
                                        ; implicit-def: $vgpr3
.LBB23_587:
	s_mov_b32 s23, 0
.LBB23_588:
	s_and_b32 vcc_lo, exec_lo, s23
	s_cbranch_vccz .LBB23_606
; %bb.589:
	s_cmp_lt_i32 s0, 27
	s_cbranch_scc1 .LBB23_592
; %bb.590:
	s_cmp_gt_i32 s0, 27
	s_cbranch_scc0 .LBB23_593
; %bb.591:
	global_load_dword v3, v[1:2], off
	s_mov_b32 s22, 0
	s_waitcnt vmcnt(0)
	v_cvt_f32_u32_e32 v3, v3
	v_cvt_f16_f32_e32 v3, v3
	s_branch .LBB23_594
.LBB23_592:
	s_mov_b32 s22, -1
                                        ; implicit-def: $vgpr3
	s_branch .LBB23_597
.LBB23_593:
	s_mov_b32 s22, -1
                                        ; implicit-def: $vgpr3
.LBB23_594:
	s_andn2_b32 vcc_lo, exec_lo, s22
	s_cbranch_vccnz .LBB23_596
; %bb.595:
	global_load_ushort v3, v[1:2], off
	s_waitcnt vmcnt(0)
	v_cvt_f16_u16_e32 v3, v3
.LBB23_596:
	s_mov_b32 s22, 0
.LBB23_597:
	s_andn2_b32 vcc_lo, exec_lo, s22
	s_cbranch_vccnz .LBB23_605
; %bb.598:
	global_load_ubyte v4, v[1:2], off
	s_mov_b32 s22, 0
	s_mov_b32 s23, exec_lo
	s_waitcnt vmcnt(0)
	v_cmpx_lt_i16_e32 0x7f, v4
	s_xor_b32 s23, exec_lo, s23
	s_cbranch_execz .LBB23_619
; %bb.599:
	s_mov_b32 s22, -1
	s_mov_b32 s43, exec_lo
	v_cmpx_eq_u16_e32 0x80, v4
; %bb.600:
	s_xor_b32 s22, exec_lo, -1
; %bb.601:
	s_or_b32 exec_lo, exec_lo, s43
	s_and_b32 s22, s22, exec_lo
	s_or_saveexec_b32 s23, s23
	v_mov_b32_e32 v3, 0x7e00
	s_xor_b32 exec_lo, exec_lo, s23
	s_cbranch_execnz .LBB23_620
.LBB23_602:
	s_or_b32 exec_lo, exec_lo, s23
	s_and_saveexec_b32 s23, s22
	s_cbranch_execz .LBB23_604
.LBB23_603:
	v_and_b32_e32 v3, 0xffff, v4
	v_lshlrev_b32_e32 v4, 24, v4
	v_and_b32_e32 v5, 7, v3
	v_bfe_u32 v9, v3, 3, 4
	v_and_b32_e32 v4, 0x80000000, v4
	v_ffbh_u32_e32 v6, v5
	v_cmp_eq_u32_e32 vcc_lo, 0, v9
	v_min_u32_e32 v6, 32, v6
	v_subrev_nc_u32_e32 v7, 28, v6
	v_sub_nc_u32_e32 v6, 29, v6
	v_lshlrev_b32_e32 v3, v7, v3
	v_cndmask_b32_e32 v6, v9, v6, vcc_lo
	v_and_b32_e32 v3, 7, v3
	v_cndmask_b32_e32 v3, v5, v3, vcc_lo
	v_lshl_add_u32 v5, v6, 23, 0x3b800000
	v_lshlrev_b32_e32 v3, 20, v3
	v_or3_b32 v3, v4, v5, v3
	v_cvt_f16_f32_e32 v3, v3
.LBB23_604:
	s_or_b32 exec_lo, exec_lo, s23
.LBB23_605:
	s_mov_b32 s22, -1
.LBB23_606:
	s_mov_b32 s23, 0
.LBB23_607:
	s_and_b32 vcc_lo, exec_lo, s23
	s_cbranch_vccz .LBB23_642
; %bb.608:
	s_cmp_gt_i32 s0, 22
	s_cbranch_scc0 .LBB23_618
; %bb.609:
	s_cmp_lt_i32 s0, 24
	s_cbranch_scc1 .LBB23_621
; %bb.610:
	s_cmp_gt_i32 s0, 24
	s_cbranch_scc0 .LBB23_622
; %bb.611:
	global_load_ubyte v4, v[1:2], off
	s_mov_b32 s22, 0
	s_mov_b32 s23, exec_lo
	s_waitcnt vmcnt(0)
	v_cmpx_lt_i16_e32 0x7f, v4
	s_xor_b32 s23, exec_lo, s23
	s_cbranch_execz .LBB23_634
; %bb.612:
	s_mov_b32 s22, -1
	s_mov_b32 s43, exec_lo
	v_cmpx_eq_u16_e32 0x80, v4
; %bb.613:
	s_xor_b32 s22, exec_lo, -1
; %bb.614:
	s_or_b32 exec_lo, exec_lo, s43
	s_and_b32 s22, s22, exec_lo
	s_or_saveexec_b32 s23, s23
	v_mov_b32_e32 v3, 0x7e00
	s_xor_b32 exec_lo, exec_lo, s23
	s_cbranch_execnz .LBB23_635
.LBB23_615:
	s_or_b32 exec_lo, exec_lo, s23
	s_and_saveexec_b32 s23, s22
	s_cbranch_execz .LBB23_617
.LBB23_616:
	v_and_b32_e32 v3, 0xffff, v4
	v_lshlrev_b32_e32 v4, 24, v4
	v_and_b32_e32 v5, 3, v3
	v_bfe_u32 v9, v3, 2, 5
	v_and_b32_e32 v4, 0x80000000, v4
	v_ffbh_u32_e32 v6, v5
	v_cmp_eq_u32_e32 vcc_lo, 0, v9
	v_min_u32_e32 v6, 32, v6
	v_subrev_nc_u32_e32 v7, 29, v6
	v_sub_nc_u32_e32 v6, 30, v6
	v_lshlrev_b32_e32 v3, v7, v3
	v_cndmask_b32_e32 v6, v9, v6, vcc_lo
	v_and_b32_e32 v3, 3, v3
	v_cndmask_b32_e32 v3, v5, v3, vcc_lo
	v_lshl_add_u32 v5, v6, 23, 0x37800000
	v_lshlrev_b32_e32 v3, 21, v3
	v_or3_b32 v3, v4, v5, v3
	v_cvt_f16_f32_e32 v3, v3
.LBB23_617:
	s_or_b32 exec_lo, exec_lo, s23
	s_mov_b32 s22, 0
	s_branch .LBB23_623
.LBB23_618:
	s_mov_b32 s23, -1
                                        ; implicit-def: $vgpr3
	s_branch .LBB23_629
.LBB23_619:
	s_or_saveexec_b32 s23, s23
	v_mov_b32_e32 v3, 0x7e00
	s_xor_b32 exec_lo, exec_lo, s23
	s_cbranch_execz .LBB23_602
.LBB23_620:
	v_cmp_ne_u16_e32 vcc_lo, 0, v4
	v_mov_b32_e32 v3, v4
	s_andn2_b32 s22, s22, exec_lo
	s_and_b32 s43, vcc_lo, exec_lo
	s_or_b32 s22, s22, s43
	s_or_b32 exec_lo, exec_lo, s23
	s_and_saveexec_b32 s23, s22
	s_cbranch_execnz .LBB23_603
	s_branch .LBB23_604
.LBB23_621:
	s_mov_b32 s22, -1
                                        ; implicit-def: $vgpr3
	s_branch .LBB23_626
.LBB23_622:
	s_mov_b32 s22, -1
                                        ; implicit-def: $vgpr3
.LBB23_623:
	s_and_b32 vcc_lo, exec_lo, s22
	s_cbranch_vccz .LBB23_625
; %bb.624:
	global_load_ubyte v3, v[1:2], off
	s_waitcnt vmcnt(0)
	v_lshlrev_b32_e32 v3, 24, v3
	v_and_b32_e32 v4, 0x7f000000, v3
	v_ffbh_u32_e32 v5, v4
	v_add_nc_u32_e32 v7, 0x1000000, v4
	v_cmp_ne_u32_e32 vcc_lo, 0, v4
	v_min_u32_e32 v5, 32, v5
	v_sub_nc_u32_e64 v5, v5, 4 clamp
	v_lshlrev_b32_e32 v6, v5, v4
	v_lshlrev_b32_e32 v5, 23, v5
	v_lshrrev_b32_e32 v6, 4, v6
	v_sub_nc_u32_e32 v5, v6, v5
	v_ashrrev_i32_e32 v6, 8, v7
	v_add_nc_u32_e32 v5, 0x3c000000, v5
	v_and_or_b32 v5, 0x7f800000, v6, v5
	v_cndmask_b32_e32 v4, 0, v5, vcc_lo
	v_and_or_b32 v3, 0x80000000, v3, v4
	v_cvt_f16_f32_e32 v3, v3
.LBB23_625:
	s_mov_b32 s22, 0
.LBB23_626:
	s_andn2_b32 vcc_lo, exec_lo, s22
	s_cbranch_vccnz .LBB23_628
; %bb.627:
	global_load_ubyte v3, v[1:2], off
	s_waitcnt vmcnt(0)
	v_lshlrev_b32_e32 v4, 25, v3
	v_lshlrev_b16 v3, 8, v3
	v_lshrrev_b32_e32 v5, 4, v4
	v_and_or_b32 v6, 0x7f00, v3, 0.5
	v_cmp_gt_u32_e32 vcc_lo, 0x8000000, v4
	v_bfe_i32 v3, v3, 0, 16
	v_or_b32_e32 v5, 0x70000000, v5
	v_add_f32_e32 v6, -0.5, v6
	v_mul_f32_e32 v5, 0x7800000, v5
	v_cndmask_b32_e32 v4, v5, v6, vcc_lo
	v_and_or_b32 v3, 0x80000000, v3, v4
	v_cvt_f16_f32_e32 v3, v3
.LBB23_628:
	s_mov_b32 s23, 0
	s_mov_b32 s22, -1
.LBB23_629:
	s_andn2_b32 vcc_lo, exec_lo, s23
	s_cbranch_vccnz .LBB23_642
; %bb.630:
	s_cmp_gt_i32 s0, 14
	s_cbranch_scc0 .LBB23_633
; %bb.631:
	s_cmp_eq_u32 s0, 15
	s_cbranch_scc0 .LBB23_636
; %bb.632:
	global_load_ushort v3, v[1:2], off
	s_mov_b32 s22, -1
	s_mov_b32 s1, 0
	s_waitcnt vmcnt(0)
	v_lshlrev_b32_e32 v3, 16, v3
	v_cvt_f16_f32_e32 v3, v3
	s_branch .LBB23_637
.LBB23_633:
	s_mov_b32 s23, -1
                                        ; implicit-def: $vgpr3
	s_branch .LBB23_638
.LBB23_634:
	s_or_saveexec_b32 s23, s23
	v_mov_b32_e32 v3, 0x7e00
	s_xor_b32 exec_lo, exec_lo, s23
	s_cbranch_execz .LBB23_615
.LBB23_635:
	v_cmp_ne_u16_e32 vcc_lo, 0, v4
	v_mov_b32_e32 v3, v4
	s_andn2_b32 s22, s22, exec_lo
	s_and_b32 s43, vcc_lo, exec_lo
	s_or_b32 s22, s22, s43
	s_or_b32 exec_lo, exec_lo, s23
	s_and_saveexec_b32 s23, s22
	s_cbranch_execnz .LBB23_616
	s_branch .LBB23_617
.LBB23_636:
	s_mov_b32 s1, -1
                                        ; implicit-def: $vgpr3
.LBB23_637:
	s_mov_b32 s23, 0
.LBB23_638:
	s_and_b32 vcc_lo, exec_lo, s23
	s_cbranch_vccz .LBB23_642
; %bb.639:
	s_cmp_eq_u32 s0, 11
	s_cbranch_scc0 .LBB23_641
; %bb.640:
	global_load_ubyte v3, v[1:2], off
	s_mov_b32 s1, 0
	s_mov_b32 s22, -1
	s_waitcnt vmcnt(0)
	v_cmp_ne_u16_e32 vcc_lo, 0, v3
	v_cndmask_b32_e64 v3, 0, 0x3c00, vcc_lo
	s_branch .LBB23_642
.LBB23_641:
	s_mov_b32 s1, -1
                                        ; implicit-def: $vgpr3
.LBB23_642:
	s_mov_b32 s23, 0
.LBB23_643:
	s_and_b32 vcc_lo, exec_lo, s23
	s_cbranch_vccz .LBB23_692
; %bb.644:
	s_cmp_lt_i32 s0, 5
	s_cbranch_scc1 .LBB23_649
; %bb.645:
	s_cmp_lt_i32 s0, 8
	s_cbranch_scc1 .LBB23_650
	;; [unrolled: 3-line block ×3, first 2 shown]
; %bb.647:
	s_cmp_gt_i32 s0, 9
	s_cbranch_scc0 .LBB23_652
; %bb.648:
	global_load_dwordx2 v[3:4], v[1:2], off
	s_mov_b32 s22, 0
	s_waitcnt vmcnt(0)
	v_and_or_b32 v3, 0x1ff, v4, v3
	v_lshrrev_b32_e32 v5, 8, v4
	v_bfe_u32 v6, v4, 20, 11
	v_lshrrev_b32_e32 v4, 16, v4
	v_cmp_ne_u32_e32 vcc_lo, 0, v3
	v_sub_nc_u32_e32 v7, 0x3f1, v6
	v_add_nc_u32_e32 v6, 0xfffffc10, v6
	v_cndmask_b32_e64 v3, 0, 1, vcc_lo
	v_and_or_b32 v3, 0xffe, v5, v3
	v_med3_i32 v5, v7, 0, 13
	v_or_b32_e32 v7, 0x1000, v3
	v_lshrrev_b32_e32 v9, v5, v7
	v_lshlrev_b32_e32 v5, v5, v9
	v_cmp_ne_u32_e32 vcc_lo, v5, v7
	v_lshl_or_b32 v7, v6, 12, v3
	v_cndmask_b32_e64 v5, 0, 1, vcc_lo
	v_cmp_gt_i32_e32 vcc_lo, 1, v6
	v_or_b32_e32 v5, v9, v5
	v_cndmask_b32_e32 v5, v7, v5, vcc_lo
	v_and_b32_e32 v7, 7, v5
	v_lshrrev_b32_e32 v5, 2, v5
	v_cmp_lt_i32_e32 vcc_lo, 5, v7
	v_cndmask_b32_e64 v9, 0, 1, vcc_lo
	v_cmp_eq_u32_e32 vcc_lo, 3, v7
	v_cndmask_b32_e64 v7, 0, 1, vcc_lo
	v_cmp_ne_u32_e32 vcc_lo, 0, v3
	v_or_b32_e32 v7, v7, v9
	v_mov_b32_e32 v9, 0x7e00
	v_add_nc_u32_e32 v5, v5, v7
	v_cndmask_b32_e32 v3, 0x7c00, v9, vcc_lo
	v_cmp_gt_i32_e32 vcc_lo, 31, v6
	v_cndmask_b32_e32 v5, 0x7c00, v5, vcc_lo
	v_cmp_eq_u32_e32 vcc_lo, 0x40f, v6
	v_cndmask_b32_e32 v3, v5, v3, vcc_lo
	v_and_or_b32 v3, 0x8000, v4, v3
	s_branch .LBB23_653
.LBB23_649:
	s_mov_b32 s22, -1
                                        ; implicit-def: $vgpr3
	s_branch .LBB23_671
.LBB23_650:
	s_mov_b32 s22, -1
                                        ; implicit-def: $vgpr3
	s_branch .LBB23_659
.LBB23_651:
	s_mov_b32 s22, -1
                                        ; implicit-def: $vgpr3
	s_branch .LBB23_656
.LBB23_652:
	s_mov_b32 s22, -1
                                        ; implicit-def: $vgpr3
.LBB23_653:
	s_andn2_b32 vcc_lo, exec_lo, s22
	s_cbranch_vccnz .LBB23_655
; %bb.654:
	global_load_dword v3, v[1:2], off
	s_waitcnt vmcnt(0)
	v_cvt_f16_f32_e32 v3, v3
.LBB23_655:
	s_mov_b32 s22, 0
.LBB23_656:
	s_andn2_b32 vcc_lo, exec_lo, s22
	s_cbranch_vccnz .LBB23_658
; %bb.657:
	global_load_dword v3, v[1:2], off
.LBB23_658:
	s_mov_b32 s22, 0
.LBB23_659:
	s_andn2_b32 vcc_lo, exec_lo, s22
	s_cbranch_vccnz .LBB23_670
; %bb.660:
	s_cmp_lt_i32 s0, 6
	s_cbranch_scc1 .LBB23_663
; %bb.661:
	s_cmp_gt_i32 s0, 6
	s_cbranch_scc0 .LBB23_664
; %bb.662:
	global_load_dwordx2 v[3:4], v[1:2], off
	s_mov_b32 s22, 0
	s_waitcnt vmcnt(0)
	v_and_or_b32 v3, 0x1ff, v4, v3
	v_lshrrev_b32_e32 v5, 8, v4
	v_bfe_u32 v6, v4, 20, 11
	v_lshrrev_b32_e32 v4, 16, v4
	v_cmp_ne_u32_e32 vcc_lo, 0, v3
	v_sub_nc_u32_e32 v7, 0x3f1, v6
	v_add_nc_u32_e32 v6, 0xfffffc10, v6
	v_cndmask_b32_e64 v3, 0, 1, vcc_lo
	v_and_or_b32 v3, 0xffe, v5, v3
	v_med3_i32 v5, v7, 0, 13
	v_or_b32_e32 v7, 0x1000, v3
	v_lshrrev_b32_e32 v9, v5, v7
	v_lshlrev_b32_e32 v5, v5, v9
	v_cmp_ne_u32_e32 vcc_lo, v5, v7
	v_lshl_or_b32 v7, v6, 12, v3
	v_cndmask_b32_e64 v5, 0, 1, vcc_lo
	v_cmp_gt_i32_e32 vcc_lo, 1, v6
	v_or_b32_e32 v5, v9, v5
	v_cndmask_b32_e32 v5, v7, v5, vcc_lo
	v_and_b32_e32 v7, 7, v5
	v_lshrrev_b32_e32 v5, 2, v5
	v_cmp_lt_i32_e32 vcc_lo, 5, v7
	v_cndmask_b32_e64 v9, 0, 1, vcc_lo
	v_cmp_eq_u32_e32 vcc_lo, 3, v7
	v_cndmask_b32_e64 v7, 0, 1, vcc_lo
	v_cmp_ne_u32_e32 vcc_lo, 0, v3
	v_or_b32_e32 v7, v7, v9
	v_mov_b32_e32 v9, 0x7e00
	v_add_nc_u32_e32 v5, v5, v7
	v_cndmask_b32_e32 v3, 0x7c00, v9, vcc_lo
	v_cmp_gt_i32_e32 vcc_lo, 31, v6
	v_cndmask_b32_e32 v5, 0x7c00, v5, vcc_lo
	v_cmp_eq_u32_e32 vcc_lo, 0x40f, v6
	v_cndmask_b32_e32 v3, v5, v3, vcc_lo
	v_and_or_b32 v3, 0x8000, v4, v3
	s_branch .LBB23_665
.LBB23_663:
	s_mov_b32 s22, -1
                                        ; implicit-def: $vgpr3
	s_branch .LBB23_668
.LBB23_664:
	s_mov_b32 s22, -1
                                        ; implicit-def: $vgpr3
.LBB23_665:
	s_andn2_b32 vcc_lo, exec_lo, s22
	s_cbranch_vccnz .LBB23_667
; %bb.666:
	global_load_dword v3, v[1:2], off
	s_waitcnt vmcnt(0)
	v_cvt_f16_f32_e32 v3, v3
.LBB23_667:
	s_mov_b32 s22, 0
.LBB23_668:
	s_andn2_b32 vcc_lo, exec_lo, s22
	s_cbranch_vccnz .LBB23_670
; %bb.669:
	global_load_ushort v3, v[1:2], off
.LBB23_670:
	s_mov_b32 s22, 0
.LBB23_671:
	s_andn2_b32 vcc_lo, exec_lo, s22
	s_cbranch_vccnz .LBB23_691
; %bb.672:
	s_cmp_lt_i32 s0, 2
	s_cbranch_scc1 .LBB23_676
; %bb.673:
	s_cmp_lt_i32 s0, 3
	s_cbranch_scc1 .LBB23_677
; %bb.674:
	s_cmp_gt_i32 s0, 3
	s_cbranch_scc0 .LBB23_678
; %bb.675:
	global_load_dwordx2 v[3:4], v[1:2], off
	s_mov_b32 s22, 0
	s_waitcnt vmcnt(0)
	v_xor_b32_e32 v5, v3, v4
	v_ffbh_i32_e32 v6, v4
	v_ashrrev_i32_e32 v5, 31, v5
	v_add_nc_u32_e32 v6, -1, v6
	v_add_nc_u32_e32 v5, 32, v5
	v_min_u32_e32 v5, v6, v5
	v_lshlrev_b64 v[3:4], v5, v[3:4]
	v_min_u32_e32 v3, 1, v3
	v_or_b32_e32 v3, v4, v3
	v_sub_nc_u32_e32 v4, 32, v5
	v_cvt_f32_i32_e32 v3, v3
	v_ldexp_f32 v3, v3, v4
	v_cvt_f16_f32_e32 v3, v3
	s_branch .LBB23_679
.LBB23_676:
	s_mov_b32 s22, -1
                                        ; implicit-def: $vgpr3
	s_branch .LBB23_685
.LBB23_677:
	s_mov_b32 s22, -1
                                        ; implicit-def: $vgpr3
	s_branch .LBB23_682
.LBB23_678:
	s_mov_b32 s22, -1
                                        ; implicit-def: $vgpr3
.LBB23_679:
	s_andn2_b32 vcc_lo, exec_lo, s22
	s_cbranch_vccnz .LBB23_681
; %bb.680:
	global_load_dword v3, v[1:2], off
	s_waitcnt vmcnt(0)
	v_cvt_f32_i32_e32 v3, v3
	v_cvt_f16_f32_e32 v3, v3
.LBB23_681:
	s_mov_b32 s22, 0
.LBB23_682:
	s_andn2_b32 vcc_lo, exec_lo, s22
	s_cbranch_vccnz .LBB23_684
; %bb.683:
	global_load_ushort v3, v[1:2], off
	s_waitcnt vmcnt(0)
	v_cvt_f16_i16_e32 v3, v3
.LBB23_684:
	s_mov_b32 s22, 0
.LBB23_685:
	s_andn2_b32 vcc_lo, exec_lo, s22
	s_cbranch_vccnz .LBB23_691
; %bb.686:
	s_cmp_gt_i32 s0, 0
	s_mov_b32 s0, 0
	s_cbranch_scc0 .LBB23_688
; %bb.687:
	global_load_sbyte v3, v[1:2], off
	s_waitcnt vmcnt(0)
	v_cvt_f16_i16_e32 v3, v3
	s_branch .LBB23_689
.LBB23_688:
	s_mov_b32 s0, -1
                                        ; implicit-def: $vgpr3
.LBB23_689:
	s_andn2_b32 vcc_lo, exec_lo, s0
	s_cbranch_vccnz .LBB23_691
; %bb.690:
	global_load_ubyte v1, v[1:2], off
	s_waitcnt vmcnt(0)
	v_cvt_f16_u16_e32 v3, v1
.LBB23_691:
	s_mov_b32 s22, -1
.LBB23_692:
	s_andn2_b32 vcc_lo, exec_lo, s22
	s_cbranch_vccnz .LBB23_700
; %bb.693:
	s_waitcnt vmcnt(0)
	v_cvt_f32_f16_e32 v1, v3
	s_mov_b32 s0, 0x3b2d2a58
	s_and_b32 s22, s29, 0xff
	s_cmp_lt_i32 s22, 11
	v_rcp_f32_e64 v2, |v1|
	v_cmp_gt_f32_e64 vcc_lo, |v1|, 1.0
	v_cndmask_b32_e64 v1, |v1|, v2, vcc_lo
	v_mul_f32_e32 v2, v1, v1
	v_fmaak_f32 v4, s0, v2, 0xbc7a590c
	v_add_co_u32 v0, s0, s8, v0
	v_fmaak_f32 v4, v2, v4, 0x3d29fb3f
	v_fmaak_f32 v4, v2, v4, 0xbd97d4d7
	;; [unrolled: 1-line block ×6, first 2 shown]
	v_mul_f32_e32 v2, v2, v4
	v_fmac_f32_e32 v1, v1, v2
	v_sub_f32_e32 v2, 0x3fc90fdb, v1
	v_cndmask_b32_e32 v1, v1, v2, vcc_lo
	v_cvt_f16_f32_e32 v2, v1
	v_add_co_ci_u32_e64 v1, null, s9, 0, s0
	v_bfi_b32 v2, 0x7fff, v2, v3
	s_cbranch_scc1 .LBB23_701
; %bb.694:
	s_and_b32 s23, 0xffff, s22
	s_cmp_gt_i32 s23, 25
	s_cbranch_scc0 .LBB23_702
; %bb.695:
	s_cmp_gt_i32 s23, 28
	s_cbranch_scc0 .LBB23_703
; %bb.696:
	;; [unrolled: 3-line block ×4, first 2 shown]
	s_mov_b32 s44, 0
	s_mov_b32 s0, -1
	s_cmp_eq_u32 s23, 46
	s_mov_b32 s43, 0
	s_cbranch_scc0 .LBB23_706
; %bb.699:
	v_cvt_f32_f16_e32 v3, v2
	v_cmp_o_f16_e32 vcc_lo, v2, v2
	s_mov_b32 s43, -1
	s_mov_b32 s0, 0
	v_bfe_u32 v4, v3, 16, 1
	v_add3_u32 v3, v3, v4, 0x7fff
	v_mov_b32_e32 v4, 0x7fc0
	v_cndmask_b32_sdwa v3, v4, v3, vcc_lo dst_sel:DWORD dst_unused:UNUSED_PAD src0_sel:DWORD src1_sel:WORD_1
	global_store_dword v[0:1], v3, off
	s_branch .LBB23_706
.LBB23_700:
	s_mov_b32 s43, 0
	s_mov_b32 s0, s40
	s_branch .LBB23_817
.LBB23_701:
	s_mov_b32 s23, -1
	s_mov_b32 s43, 0
	s_mov_b32 s0, s40
	s_branch .LBB23_775
.LBB23_702:
	s_mov_b32 s44, -1
	s_mov_b32 s43, 0
	s_mov_b32 s0, s40
	s_branch .LBB23_733
.LBB23_703:
	s_mov_b32 s44, -1
	s_mov_b32 s43, 0
	s_mov_b32 s0, s40
	s_branch .LBB23_716
.LBB23_704:
	s_mov_b32 s44, -1
	s_mov_b32 s43, 0
	s_mov_b32 s0, s40
	s_branch .LBB23_712
.LBB23_705:
	s_mov_b32 s44, -1
	s_mov_b32 s43, 0
	s_mov_b32 s0, s40
.LBB23_706:
	s_and_b32 vcc_lo, exec_lo, s44
	s_cbranch_vccz .LBB23_711
; %bb.707:
	s_cmp_eq_u32 s23, 44
	s_mov_b32 s0, -1
	s_cbranch_scc0 .LBB23_711
; %bb.708:
	v_cvt_f32_f16_e32 v3, v2
	v_mov_b32_e32 v4, 0xff
	s_mov_b32 s43, exec_lo
	v_bfe_u32 v5, v3, 23, 8
	v_cmpx_ne_u32_e32 0xff, v5
	s_cbranch_execz .LBB23_710
; %bb.709:
	v_and_b32_e32 v4, 0x400000, v3
	v_and_or_b32 v5, 0x3fffff, v3, v5
	v_lshrrev_b32_e32 v3, 23, v3
	v_cmp_ne_u32_e32 vcc_lo, 0, v4
	v_cmp_ne_u32_e64 s0, 0, v5
	s_and_b32 s0, vcc_lo, s0
	v_cndmask_b32_e64 v4, 0, 1, s0
	v_add_nc_u32_e32 v4, v3, v4
.LBB23_710:
	s_or_b32 exec_lo, exec_lo, s43
	s_mov_b32 s43, -1
	s_mov_b32 s0, 0
	global_store_byte v[0:1], v4, off
.LBB23_711:
	s_mov_b32 s44, 0
.LBB23_712:
	s_and_b32 vcc_lo, exec_lo, s44
	s_cbranch_vccz .LBB23_715
; %bb.713:
	s_cmp_eq_u32 s23, 29
	s_mov_b32 s0, -1
	s_cbranch_scc0 .LBB23_715
; %bb.714:
	v_cvt_f32_f16_e32 v3, v2
	v_mov_b32_e32 v4, 0
	s_mov_b32 s43, -1
	s_mov_b32 s0, 0
	s_mov_b32 s44, 0
	v_cvt_u32_f32_e32 v3, v3
	global_store_dwordx2 v[0:1], v[3:4], off
	s_branch .LBB23_716
.LBB23_715:
	s_mov_b32 s44, 0
.LBB23_716:
	s_and_b32 vcc_lo, exec_lo, s44
	s_cbranch_vccz .LBB23_732
; %bb.717:
	s_cmp_lt_i32 s23, 27
	s_mov_b32 s43, -1
	s_cbranch_scc1 .LBB23_723
; %bb.718:
	s_cmp_gt_i32 s23, 27
	s_cbranch_scc0 .LBB23_720
; %bb.719:
	v_cvt_f32_f16_e32 v3, v2
	s_mov_b32 s43, 0
	v_cvt_u32_f32_e32 v3, v3
	global_store_dword v[0:1], v3, off
.LBB23_720:
	s_andn2_b32 vcc_lo, exec_lo, s43
	s_cbranch_vccnz .LBB23_722
; %bb.721:
	v_cvt_u16_f16_e32 v3, v2
	global_store_short v[0:1], v3, off
.LBB23_722:
	s_mov_b32 s43, 0
.LBB23_723:
	s_andn2_b32 vcc_lo, exec_lo, s43
	s_cbranch_vccnz .LBB23_731
; %bb.724:
	v_cvt_f32_f16_e32 v3, v2
	v_mov_b32_e32 v5, 0x80
	s_mov_b32 s43, exec_lo
	v_and_b32_e32 v4, 0x7fffffff, v3
	v_cmpx_gt_u32_e32 0x43800000, v4
	s_cbranch_execz .LBB23_730
; %bb.725:
	v_cmp_lt_u32_e32 vcc_lo, 0x3bffffff, v4
	s_mov_b32 s44, 0
                                        ; implicit-def: $vgpr4
	s_and_saveexec_b32 s45, vcc_lo
	s_xor_b32 s45, exec_lo, s45
	s_cbranch_execz .LBB23_847
; %bb.726:
	v_bfe_u32 v4, v3, 20, 1
	s_mov_b32 s44, exec_lo
	v_add3_u32 v4, v3, v4, 0x487ffff
	v_lshrrev_b32_e32 v4, 20, v4
	s_andn2_saveexec_b32 s45, s45
	s_cbranch_execnz .LBB23_848
.LBB23_727:
	s_or_b32 exec_lo, exec_lo, s45
	v_mov_b32_e32 v5, 0
	s_and_saveexec_b32 s45, s44
.LBB23_728:
	v_lshrrev_b32_e32 v3, 24, v3
	v_and_or_b32 v5, 0x80, v3, v4
.LBB23_729:
	s_or_b32 exec_lo, exec_lo, s45
.LBB23_730:
	s_or_b32 exec_lo, exec_lo, s43
	global_store_byte v[0:1], v5, off
.LBB23_731:
	s_mov_b32 s43, -1
.LBB23_732:
	s_mov_b32 s44, 0
.LBB23_733:
	s_and_b32 vcc_lo, exec_lo, s44
	s_cbranch_vccz .LBB23_774
; %bb.734:
	s_cmp_gt_i32 s23, 22
	s_mov_b32 s44, -1
	s_cbranch_scc0 .LBB23_766
; %bb.735:
	s_cmp_lt_i32 s23, 24
	s_mov_b32 s43, -1
	s_cbranch_scc1 .LBB23_755
; %bb.736:
	s_cmp_gt_i32 s23, 24
	s_cbranch_scc0 .LBB23_744
; %bb.737:
	v_cvt_f32_f16_e32 v3, v2
	v_mov_b32_e32 v5, 0x80
	s_mov_b32 s43, exec_lo
	v_and_b32_e32 v4, 0x7fffffff, v3
	v_cmpx_gt_u32_e32 0x47800000, v4
	s_cbranch_execz .LBB23_743
; %bb.738:
	v_cmp_lt_u32_e32 vcc_lo, 0x37ffffff, v4
	s_mov_b32 s44, 0
                                        ; implicit-def: $vgpr4
	s_and_saveexec_b32 s45, vcc_lo
	s_xor_b32 s45, exec_lo, s45
	s_cbranch_execz .LBB23_850
; %bb.739:
	v_bfe_u32 v4, v3, 21, 1
	s_mov_b32 s44, exec_lo
	v_add3_u32 v4, v3, v4, 0x88fffff
	v_lshrrev_b32_e32 v4, 21, v4
	s_andn2_saveexec_b32 s45, s45
	s_cbranch_execnz .LBB23_851
.LBB23_740:
	s_or_b32 exec_lo, exec_lo, s45
	v_mov_b32_e32 v5, 0
	s_and_saveexec_b32 s45, s44
.LBB23_741:
	v_lshrrev_b32_e32 v3, 24, v3
	v_and_or_b32 v5, 0x80, v3, v4
.LBB23_742:
	s_or_b32 exec_lo, exec_lo, s45
.LBB23_743:
	s_or_b32 exec_lo, exec_lo, s43
	s_mov_b32 s43, 0
	global_store_byte v[0:1], v5, off
.LBB23_744:
	s_and_b32 vcc_lo, exec_lo, s43
	s_cbranch_vccz .LBB23_754
; %bb.745:
	v_cvt_f32_f16_e32 v3, v2
	s_mov_b32 s43, exec_lo
                                        ; implicit-def: $vgpr4
	v_and_b32_e32 v5, 0x7fffffff, v3
	v_cmpx_gt_u32_e32 0x43f00000, v5
	s_xor_b32 s43, exec_lo, s43
	s_cbranch_execz .LBB23_751
; %bb.746:
	s_mov_b32 s44, exec_lo
                                        ; implicit-def: $vgpr4
	v_cmpx_lt_u32_e32 0x3c7fffff, v5
	s_xor_b32 s44, exec_lo, s44
; %bb.747:
	v_bfe_u32 v4, v3, 20, 1
	v_add3_u32 v4, v3, v4, 0x407ffff
	v_and_b32_e32 v5, 0xff00000, v4
	v_lshrrev_b32_e32 v4, 20, v4
	v_cmp_ne_u32_e32 vcc_lo, 0x7f00000, v5
	v_cndmask_b32_e32 v4, 0x7e, v4, vcc_lo
; %bb.748:
	s_andn2_saveexec_b32 s44, s44
; %bb.749:
	v_add_f32_e64 v4, 0x46800000, |v3|
; %bb.750:
	s_or_b32 exec_lo, exec_lo, s44
                                        ; implicit-def: $vgpr5
.LBB23_751:
	s_andn2_saveexec_b32 s43, s43
; %bb.752:
	v_mov_b32_e32 v4, 0x7f
	v_cmp_lt_u32_e32 vcc_lo, 0x7f800000, v5
	v_cndmask_b32_e32 v4, 0x7e, v4, vcc_lo
; %bb.753:
	s_or_b32 exec_lo, exec_lo, s43
	v_lshrrev_b32_e32 v3, 24, v3
	v_and_or_b32 v3, 0x80, v3, v4
	global_store_byte v[0:1], v3, off
.LBB23_754:
	s_mov_b32 s43, 0
.LBB23_755:
	s_andn2_b32 vcc_lo, exec_lo, s43
	s_cbranch_vccnz .LBB23_765
; %bb.756:
	v_cvt_f32_f16_e32 v3, v2
	s_mov_b32 s43, exec_lo
                                        ; implicit-def: $vgpr4
	v_and_b32_e32 v5, 0x7fffffff, v3
	v_cmpx_gt_u32_e32 0x47800000, v5
	s_xor_b32 s43, exec_lo, s43
	s_cbranch_execz .LBB23_762
; %bb.757:
	s_mov_b32 s44, exec_lo
                                        ; implicit-def: $vgpr4
	v_cmpx_lt_u32_e32 0x387fffff, v5
	s_xor_b32 s44, exec_lo, s44
; %bb.758:
	v_bfe_u32 v4, v3, 21, 1
	v_add3_u32 v4, v3, v4, 0x80fffff
	v_lshrrev_b32_e32 v4, 21, v4
; %bb.759:
	s_andn2_saveexec_b32 s44, s44
; %bb.760:
	v_add_f32_e64 v4, 0x43000000, |v3|
; %bb.761:
	s_or_b32 exec_lo, exec_lo, s44
                                        ; implicit-def: $vgpr5
.LBB23_762:
	s_andn2_saveexec_b32 s43, s43
; %bb.763:
	v_mov_b32_e32 v4, 0x7f
	v_cmp_lt_u32_e32 vcc_lo, 0x7f800000, v5
	v_cndmask_b32_e32 v4, 0x7c, v4, vcc_lo
; %bb.764:
	s_or_b32 exec_lo, exec_lo, s43
	v_lshrrev_b32_e32 v3, 24, v3
	v_and_or_b32 v3, 0x80, v3, v4
	global_store_byte v[0:1], v3, off
.LBB23_765:
	s_mov_b32 s44, 0
	s_mov_b32 s43, -1
.LBB23_766:
	s_andn2_b32 vcc_lo, exec_lo, s44
	s_cbranch_vccnz .LBB23_774
; %bb.767:
	s_cmp_gt_i32 s23, 14
	s_mov_b32 s44, -1
	s_cbranch_scc0 .LBB23_771
; %bb.768:
	s_cmp_eq_u32 s23, 15
	s_mov_b32 s0, -1
	s_cbranch_scc0 .LBB23_770
; %bb.769:
	v_cvt_f32_f16_e32 v3, v2
	v_cmp_o_f16_e32 vcc_lo, v2, v2
	s_mov_b32 s43, -1
	s_mov_b32 s0, 0
	v_bfe_u32 v4, v3, 16, 1
	v_add3_u32 v3, v3, v4, 0x7fff
	v_mov_b32_e32 v4, 0x7fc0
	v_cndmask_b32_sdwa v3, v4, v3, vcc_lo dst_sel:DWORD dst_unused:UNUSED_PAD src0_sel:DWORD src1_sel:WORD_1
	global_store_short v[0:1], v3, off
.LBB23_770:
	s_mov_b32 s44, 0
.LBB23_771:
	s_and_b32 vcc_lo, exec_lo, s44
	s_cbranch_vccz .LBB23_774
; %bb.772:
	s_cmp_eq_u32 s23, 11
	s_mov_b32 s0, -1
	s_cbranch_scc0 .LBB23_774
; %bb.773:
	v_cmp_neq_f16_e32 vcc_lo, 0, v2
	s_mov_b32 s0, 0
	s_mov_b32 s43, -1
	v_cndmask_b32_e64 v3, 0, 1, vcc_lo
	global_store_byte v[0:1], v3, off
.LBB23_774:
	s_mov_b32 s23, 0
.LBB23_775:
	s_and_b32 vcc_lo, exec_lo, s23
	s_cbranch_vccz .LBB23_814
; %bb.776:
	s_and_b32 s22, 0xffff, s22
	s_mov_b32 s23, -1
	s_cmp_lt_i32 s22, 5
	s_cbranch_scc1 .LBB23_797
; %bb.777:
	s_cmp_lt_i32 s22, 8
	s_cbranch_scc1 .LBB23_787
; %bb.778:
	;; [unrolled: 3-line block ×3, first 2 shown]
	s_cmp_gt_i32 s22, 9
	s_cbranch_scc0 .LBB23_781
; %bb.780:
	v_cvt_f32_f16_e32 v3, v2
	v_mov_b32_e32 v5, 0
	s_mov_b32 s23, 0
	v_cvt_f64_f32_e32 v[3:4], v3
	v_mov_b32_e32 v6, v5
	global_store_dwordx4 v[0:1], v[3:6], off
.LBB23_781:
	s_andn2_b32 vcc_lo, exec_lo, s23
	s_cbranch_vccnz .LBB23_783
; %bb.782:
	v_cvt_f32_f16_e32 v3, v2
	v_mov_b32_e32 v4, 0
	global_store_dwordx2 v[0:1], v[3:4], off
.LBB23_783:
	s_mov_b32 s23, 0
.LBB23_784:
	s_andn2_b32 vcc_lo, exec_lo, s23
	s_cbranch_vccnz .LBB23_786
; %bb.785:
	v_and_b32_e32 v3, 0xffff, v2
	global_store_dword v[0:1], v3, off
.LBB23_786:
	s_mov_b32 s23, 0
.LBB23_787:
	s_andn2_b32 vcc_lo, exec_lo, s23
	s_cbranch_vccnz .LBB23_796
; %bb.788:
	s_cmp_lt_i32 s22, 6
	s_mov_b32 s23, -1
	s_cbranch_scc1 .LBB23_794
; %bb.789:
	s_cmp_gt_i32 s22, 6
	s_cbranch_scc0 .LBB23_791
; %bb.790:
	v_cvt_f32_f16_e32 v3, v2
	s_mov_b32 s23, 0
	v_cvt_f64_f32_e32 v[3:4], v3
	global_store_dwordx2 v[0:1], v[3:4], off
.LBB23_791:
	s_andn2_b32 vcc_lo, exec_lo, s23
	s_cbranch_vccnz .LBB23_793
; %bb.792:
	v_cvt_f32_f16_e32 v3, v2
	global_store_dword v[0:1], v3, off
.LBB23_793:
	s_mov_b32 s23, 0
.LBB23_794:
	s_andn2_b32 vcc_lo, exec_lo, s23
	s_cbranch_vccnz .LBB23_796
; %bb.795:
	global_store_short v[0:1], v2, off
.LBB23_796:
	s_mov_b32 s23, 0
.LBB23_797:
	s_andn2_b32 vcc_lo, exec_lo, s23
	s_cbranch_vccnz .LBB23_813
; %bb.798:
	s_cmp_lt_i32 s22, 2
	s_mov_b32 s23, -1
	s_cbranch_scc1 .LBB23_808
; %bb.799:
	s_cmp_lt_i32 s22, 3
	s_cbranch_scc1 .LBB23_805
; %bb.800:
	s_cmp_gt_i32 s22, 3
	s_cbranch_scc0 .LBB23_802
; %bb.801:
	v_cvt_f32_f16_e32 v3, v2
	s_mov_b32 s23, 0
	v_cvt_i32_f32_e32 v3, v3
	v_ashrrev_i32_e32 v4, 31, v3
	global_store_dwordx2 v[0:1], v[3:4], off
.LBB23_802:
	s_andn2_b32 vcc_lo, exec_lo, s23
	s_cbranch_vccnz .LBB23_804
; %bb.803:
	v_cvt_f32_f16_e32 v3, v2
	v_cvt_i32_f32_e32 v3, v3
	global_store_dword v[0:1], v3, off
.LBB23_804:
	s_mov_b32 s23, 0
.LBB23_805:
	s_andn2_b32 vcc_lo, exec_lo, s23
	s_cbranch_vccnz .LBB23_807
; %bb.806:
	v_cvt_i16_f16_e32 v3, v2
	global_store_short v[0:1], v3, off
.LBB23_807:
	s_mov_b32 s23, 0
.LBB23_808:
	s_andn2_b32 vcc_lo, exec_lo, s23
	s_cbranch_vccnz .LBB23_813
; %bb.809:
	s_cmp_gt_i32 s22, 0
	s_mov_b32 s22, -1
	s_cbranch_scc0 .LBB23_811
; %bb.810:
	v_cvt_i16_f16_e32 v3, v2
	s_mov_b32 s22, 0
	global_store_byte v[0:1], v3, off
.LBB23_811:
	s_andn2_b32 vcc_lo, exec_lo, s22
	s_cbranch_vccnz .LBB23_813
; %bb.812:
	v_cvt_f32_f16_e32 v2, v2
	v_cvt_i32_f32_e32 v2, v2
	global_store_byte v[0:1], v2, off
.LBB23_813:
	s_mov_b32 s43, -1
.LBB23_814:
	s_andn2_b32 vcc_lo, exec_lo, s43
	s_cbranch_vccnz .LBB23_816
; %bb.815:
	v_add_nc_u32_e32 v8, 0x80, v8
	s_mov_b32 s43, -1
	s_branch .LBB23_818
.LBB23_816:
	s_mov_b32 s43, 0
.LBB23_817:
                                        ; implicit-def: $vgpr8
.LBB23_818:
	s_andn2_b32 s22, s40, exec_lo
	s_and_b32 s0, s0, exec_lo
	s_andn2_b32 s44, s39, exec_lo
	s_and_b32 s1, s1, exec_lo
	s_or_b32 s23, s22, s0
	s_or_b32 s22, s44, s1
	s_orn2_b32 s44, s43, exec_lo
.LBB23_819:
	s_or_b32 exec_lo, exec_lo, s42
	s_mov_b32 s0, 0
	s_mov_b32 s1, 0
	;; [unrolled: 1-line block ×3, first 2 shown]
                                        ; implicit-def: $vgpr1_vgpr2
                                        ; implicit-def: $vgpr0
                                        ; implicit-def: $vgpr4
	s_and_saveexec_b32 s42, s44
	s_cbranch_execz .LBB23_919
; %bb.820:
	v_cmp_gt_i32_e32 vcc_lo, s33, v8
	s_mov_b32 s45, s22
	s_mov_b32 s44, 0
                                        ; implicit-def: $vgpr1_vgpr2
                                        ; implicit-def: $vgpr0
                                        ; implicit-def: $vgpr4
	s_and_saveexec_b32 s33, vcc_lo
	s_cbranch_execz .LBB23_918
; %bb.821:
	s_andn2_b32 vcc_lo, exec_lo, s27
	s_cbranch_vccnz .LBB23_826
; %bb.822:
	s_andn2_b32 vcc_lo, exec_lo, s34
	s_cbranch_vccnz .LBB23_827
; %bb.823:
	s_add_i32 s35, s35, 1
	s_cmp_eq_u32 s25, 2
	s_cbranch_scc1 .LBB23_828
; %bb.824:
	v_mov_b32_e32 v2, 0
	v_mov_b32_e32 v0, 0
	;; [unrolled: 1-line block ×3, first 2 shown]
	s_and_b32 s34, s35, 28
	s_mov_b64 s[0:1], s[2:3]
.LBB23_825:                             ; =>This Inner Loop Header: Depth=1
	s_clause 0x1
	s_load_dwordx8 s[44:51], s[0:1], 0x4
	s_load_dwordx4 s[60:63], s[0:1], 0x24
	s_load_dwordx8 s[52:59], s[20:21], 0x0
	s_add_u32 s0, s0, 48
	s_addc_u32 s1, s1, 0
	s_add_i32 s43, s43, 4
	s_add_u32 s20, s20, 32
	s_addc_u32 s21, s21, 0
	s_cmp_eq_u32 s34, s43
	s_waitcnt vmcnt(0) lgkmcnt(0)
	v_mul_hi_u32 v3, s45, v1
	v_add_nc_u32_e32 v3, v1, v3
	v_lshrrev_b32_e32 v3, s46, v3
	v_mul_hi_u32 v4, s48, v3
	v_mul_lo_u32 v6, v3, s44
	v_add_nc_u32_e32 v4, v3, v4
	v_sub_nc_u32_e32 v1, v1, v6
	v_lshrrev_b32_e32 v4, s49, v4
	v_mul_lo_u32 v6, v1, s52
	v_mul_lo_u32 v9, v1, s53
	v_mul_hi_u32 v5, s51, v4
	v_add_nc_u32_e32 v5, v4, v5
	v_lshrrev_b32_e32 v5, s60, v5
	v_mul_hi_u32 v7, s62, v5
	v_mul_lo_u32 v10, v5, s50
	v_add_nc_u32_e32 v1, v5, v7
	v_mul_lo_u32 v7, v4, s47
	v_sub_nc_u32_e32 v4, v4, v10
	v_lshrrev_b32_e32 v1, s63, v1
	v_mul_lo_u32 v10, v4, s56
	v_mul_lo_u32 v4, v4, s57
	v_sub_nc_u32_e32 v3, v3, v7
	v_mul_lo_u32 v11, v1, s61
	v_mul_lo_u32 v7, v3, s54
	;; [unrolled: 1-line block ×3, first 2 shown]
	v_sub_nc_u32_e32 v5, v5, v11
	v_add3_u32 v0, v6, v0, v7
	v_mul_lo_u32 v11, v5, s58
	v_mul_lo_u32 v5, v5, s59
	v_add3_u32 v2, v9, v2, v3
	v_add3_u32 v0, v10, v0, v11
	;; [unrolled: 1-line block ×3, first 2 shown]
	s_cbranch_scc0 .LBB23_825
	s_branch .LBB23_829
.LBB23_826:
	s_mov_b32 s0, -1
                                        ; implicit-def: $vgpr0
                                        ; implicit-def: $vgpr2
	s_branch .LBB23_833
.LBB23_827:
	v_mov_b32_e32 v0, 0
	v_mov_b32_e32 v2, 0
	s_branch .LBB23_832
.LBB23_828:
	v_mov_b32_e32 v0, 0
	v_mov_b32_e32 v2, 0
	;; [unrolled: 1-line block ×3, first 2 shown]
	s_mov_b32 s34, 0
.LBB23_829:
	s_and_b32 s35, s35, 3
	s_cmp_eq_u32 s35, 0
	s_cbranch_scc1 .LBB23_832
; %bb.830:
	s_lshl_b32 s0, s34, 3
	s_mul_i32 s20, s34, 12
	s_add_u32 s0, s2, s0
	s_addc_u32 s1, s3, 0
	s_add_u32 s0, s0, 0xc4
	s_addc_u32 s1, s1, 0
	;; [unrolled: 2-line block ×3, first 2 shown]
.LBB23_831:                             ; =>This Inner Loop Header: Depth=1
	s_clause 0x1
	s_load_dwordx2 s[44:45], s[20:21], 0x4
	s_load_dword s34, s[20:21], 0xc
	s_load_dwordx2 s[46:47], s[0:1], 0x0
	s_add_u32 s20, s20, 12
	s_addc_u32 s21, s21, 0
	s_add_u32 s0, s0, 8
	s_addc_u32 s1, s1, 0
	s_add_i32 s35, s35, -1
	s_cmp_lg_u32 s35, 0
	s_waitcnt vmcnt(0) lgkmcnt(0)
	v_mul_hi_u32 v3, s45, v1
	v_add_nc_u32_e32 v3, v1, v3
	v_lshrrev_b32_e32 v4, s34, v3
	v_mul_lo_u32 v3, v4, s44
	v_sub_nc_u32_e32 v3, v1, v3
	v_mad_u64_u32 v[0:1], null, v3, s46, v[0:1]
	v_mad_u64_u32 v[2:3], null, v3, s47, v[2:3]
	v_mov_b32_e32 v1, v4
	s_cbranch_scc1 .LBB23_831
.LBB23_832:
	s_mov_b32 s0, 0
.LBB23_833:
	s_andn2_b32 vcc_lo, exec_lo, s0
	s_cbranch_vccnz .LBB23_836
; %bb.834:
	s_waitcnt lgkmcnt(0)
	v_mul_hi_u32 v0, s17, v8
	s_andn2_b32 vcc_lo, exec_lo, s31
	v_add_nc_u32_e32 v0, v8, v0
	v_lshrrev_b32_e32 v1, s18, v0
	v_mul_lo_u32 v0, v1, s16
	v_sub_nc_u32_e32 v2, v8, v0
	v_mul_lo_u32 v0, v2, s12
	v_mul_lo_u32 v2, v2, s13
	s_cbranch_vccnz .LBB23_836
; %bb.835:
	s_waitcnt vmcnt(0)
	v_mul_hi_u32 v3, s6, v1
	v_add_nc_u32_e32 v3, v1, v3
	v_lshrrev_b32_e32 v3, s7, v3
	v_mul_lo_u32 v3, v3, s19
	v_sub_nc_u32_e32 v3, v1, v3
	v_mad_u64_u32 v[0:1], null, v3, s14, v[0:1]
	v_mad_u64_u32 v[2:3], null, v3, s15, v[2:3]
.LBB23_836:
	s_waitcnt lgkmcnt(0)
	v_add_co_u32 v1, s0, s10, v2
	v_add_co_ci_u32_e64 v2, null, s11, 0, s0
	s_and_b32 s0, 0xffff, s30
	s_cmp_lt_i32 s0, 11
	s_cbranch_scc1 .LBB23_843
; %bb.837:
	s_cmp_gt_i32 s0, 25
	s_mov_b32 s6, 0
	s_cbranch_scc0 .LBB23_844
; %bb.838:
	s_cmp_gt_i32 s0, 28
	s_cbranch_scc0 .LBB23_845
; %bb.839:
	s_cmp_gt_i32 s0, 43
	;; [unrolled: 3-line block ×3, first 2 shown]
	s_cbranch_scc0 .LBB23_849
; %bb.841:
	s_cmp_eq_u32 s0, 46
	s_mov_b32 s10, 0
	s_cbranch_scc0 .LBB23_852
; %bb.842:
	global_load_dword v3, v[1:2], off
	s_mov_b32 s1, 0
	s_mov_b32 s7, -1
	s_waitcnt vmcnt(0)
	v_lshlrev_b32_e32 v3, 16, v3
	v_cvt_f16_f32_e32 v4, v3
	s_branch .LBB23_854
.LBB23_843:
	s_mov_b32 s0, -1
	s_mov_b32 s7, 0
	s_mov_b32 s6, 0
	;; [unrolled: 1-line block ×3, first 2 shown]
                                        ; implicit-def: $vgpr4
	s_branch .LBB23_917
.LBB23_844:
	s_mov_b32 s10, -1
	s_mov_b32 s7, 0
	s_mov_b32 s1, s22
                                        ; implicit-def: $vgpr4
	s_branch .LBB23_883
.LBB23_845:
	s_mov_b32 s10, -1
	s_mov_b32 s7, 0
	s_mov_b32 s1, s22
                                        ; implicit-def: $vgpr4
	s_branch .LBB23_864
.LBB23_846:
	s_mov_b32 s10, -1
	s_mov_b32 s7, 0
	s_mov_b32 s1, s22
                                        ; implicit-def: $vgpr4
	s_branch .LBB23_859
.LBB23_847:
	s_andn2_saveexec_b32 s45, s45
	s_cbranch_execz .LBB23_727
.LBB23_848:
	v_add_f32_e64 v4, 0x46000000, |v3|
	s_andn2_b32 s44, s44, exec_lo
	v_and_b32_e32 v4, 0xff, v4
	v_cmp_ne_u32_e32 vcc_lo, 0, v4
	s_and_b32 s46, vcc_lo, exec_lo
	s_or_b32 s44, s44, s46
	s_or_b32 exec_lo, exec_lo, s45
	v_mov_b32_e32 v5, 0
	s_and_saveexec_b32 s45, s44
	s_cbranch_execnz .LBB23_728
	s_branch .LBB23_729
.LBB23_849:
	s_mov_b32 s10, -1
	s_mov_b32 s7, 0
	s_mov_b32 s1, s22
	s_branch .LBB23_853
.LBB23_850:
	s_andn2_saveexec_b32 s45, s45
	s_cbranch_execz .LBB23_740
.LBB23_851:
	v_add_f32_e64 v4, 0x42800000, |v3|
	s_andn2_b32 s44, s44, exec_lo
	v_and_b32_e32 v4, 0xff, v4
	v_cmp_ne_u32_e32 vcc_lo, 0, v4
	s_and_b32 s46, vcc_lo, exec_lo
	s_or_b32 s44, s44, s46
	s_or_b32 exec_lo, exec_lo, s45
	v_mov_b32_e32 v5, 0
	s_and_saveexec_b32 s45, s44
	s_cbranch_execnz .LBB23_741
	s_branch .LBB23_742
.LBB23_852:
	s_mov_b32 s1, -1
	s_mov_b32 s7, 0
.LBB23_853:
                                        ; implicit-def: $vgpr4
.LBB23_854:
	s_and_b32 vcc_lo, exec_lo, s10
	s_cbranch_vccz .LBB23_858
; %bb.855:
	s_cmp_eq_u32 s0, 44
	s_cbranch_scc0 .LBB23_857
; %bb.856:
	global_load_ubyte v3, v[1:2], off
	s_mov_b32 s1, 0
	s_mov_b32 s7, -1
	s_waitcnt vmcnt(0)
	v_lshlrev_b32_e32 v4, 23, v3
	v_cmp_ne_u32_e32 vcc_lo, 0xff, v3
	v_cvt_f16_f32_e32 v4, v4
	v_cndmask_b32_e32 v4, 0x7e00, v4, vcc_lo
	v_cmp_ne_u32_e32 vcc_lo, 0, v3
	v_cndmask_b32_e32 v4, 0, v4, vcc_lo
	s_branch .LBB23_858
.LBB23_857:
	s_mov_b32 s1, -1
                                        ; implicit-def: $vgpr4
.LBB23_858:
	s_mov_b32 s10, 0
.LBB23_859:
	s_and_b32 vcc_lo, exec_lo, s10
	s_cbranch_vccz .LBB23_863
; %bb.860:
	s_cmp_eq_u32 s0, 29
	s_cbranch_scc0 .LBB23_862
; %bb.861:
	global_load_dwordx2 v[3:4], v[1:2], off
	s_mov_b32 s1, 0
	s_mov_b32 s7, -1
	s_mov_b32 s10, 0
	s_waitcnt vmcnt(0)
	v_ffbh_u32_e32 v5, v4
	v_min_u32_e32 v5, 32, v5
	v_lshlrev_b64 v[3:4], v5, v[3:4]
	v_min_u32_e32 v3, 1, v3
	v_or_b32_e32 v3, v4, v3
	v_sub_nc_u32_e32 v4, 32, v5
	v_cvt_f32_u32_e32 v3, v3
	v_ldexp_f32 v3, v3, v4
	v_cvt_f16_f32_e32 v4, v3
	s_branch .LBB23_864
.LBB23_862:
	s_mov_b32 s1, -1
                                        ; implicit-def: $vgpr4
.LBB23_863:
	s_mov_b32 s10, 0
.LBB23_864:
	s_and_b32 vcc_lo, exec_lo, s10
	s_cbranch_vccz .LBB23_882
; %bb.865:
	s_cmp_lt_i32 s0, 27
	s_cbranch_scc1 .LBB23_868
; %bb.866:
	s_cmp_gt_i32 s0, 27
	s_cbranch_scc0 .LBB23_869
; %bb.867:
	global_load_dword v3, v[1:2], off
	s_mov_b32 s7, 0
	s_waitcnt vmcnt(0)
	v_cvt_f32_u32_e32 v3, v3
	v_cvt_f16_f32_e32 v4, v3
	s_branch .LBB23_870
.LBB23_868:
	s_mov_b32 s7, -1
                                        ; implicit-def: $vgpr4
	s_branch .LBB23_873
.LBB23_869:
	s_mov_b32 s7, -1
                                        ; implicit-def: $vgpr4
.LBB23_870:
	s_andn2_b32 vcc_lo, exec_lo, s7
	s_cbranch_vccnz .LBB23_872
; %bb.871:
	global_load_ushort v3, v[1:2], off
	s_waitcnt vmcnt(0)
	v_cvt_f16_u16_e32 v4, v3
.LBB23_872:
	s_mov_b32 s7, 0
.LBB23_873:
	s_andn2_b32 vcc_lo, exec_lo, s7
	s_cbranch_vccnz .LBB23_881
; %bb.874:
	global_load_ubyte v3, v[1:2], off
	s_mov_b32 s7, 0
	s_mov_b32 s10, exec_lo
	s_waitcnt vmcnt(0)
	v_cmpx_lt_i16_e32 0x7f, v3
	s_xor_b32 s10, exec_lo, s10
	s_cbranch_execz .LBB23_895
; %bb.875:
	s_mov_b32 s7, -1
	s_mov_b32 s11, exec_lo
	v_cmpx_eq_u16_e32 0x80, v3
; %bb.876:
	s_xor_b32 s7, exec_lo, -1
; %bb.877:
	s_or_b32 exec_lo, exec_lo, s11
	s_and_b32 s7, s7, exec_lo
	s_or_saveexec_b32 s10, s10
	v_mov_b32_e32 v4, 0x7e00
	s_xor_b32 exec_lo, exec_lo, s10
	s_cbranch_execnz .LBB23_896
.LBB23_878:
	s_or_b32 exec_lo, exec_lo, s10
	s_and_saveexec_b32 s10, s7
	s_cbranch_execz .LBB23_880
.LBB23_879:
	v_and_b32_e32 v4, 0xffff, v3
	v_lshlrev_b32_e32 v3, 24, v3
	v_and_b32_e32 v5, 7, v4
	v_bfe_u32 v8, v4, 3, 4
	v_and_b32_e32 v3, 0x80000000, v3
	v_ffbh_u32_e32 v6, v5
	v_cmp_eq_u32_e32 vcc_lo, 0, v8
	v_min_u32_e32 v6, 32, v6
	v_subrev_nc_u32_e32 v7, 28, v6
	v_sub_nc_u32_e32 v6, 29, v6
	v_lshlrev_b32_e32 v4, v7, v4
	v_cndmask_b32_e32 v6, v8, v6, vcc_lo
	v_and_b32_e32 v4, 7, v4
	v_cndmask_b32_e32 v4, v5, v4, vcc_lo
	v_lshl_add_u32 v5, v6, 23, 0x3b800000
	v_lshlrev_b32_e32 v4, 20, v4
	v_or3_b32 v3, v3, v5, v4
	v_cvt_f16_f32_e32 v4, v3
.LBB23_880:
	s_or_b32 exec_lo, exec_lo, s10
.LBB23_881:
	s_mov_b32 s7, -1
.LBB23_882:
	s_mov_b32 s10, 0
.LBB23_883:
	s_and_b32 vcc_lo, exec_lo, s10
	s_cbranch_vccz .LBB23_916
; %bb.884:
	s_cmp_gt_i32 s0, 22
	s_cbranch_scc0 .LBB23_894
; %bb.885:
	s_cmp_lt_i32 s0, 24
	s_cbranch_scc1 .LBB23_897
; %bb.886:
	s_cmp_gt_i32 s0, 24
	s_cbranch_scc0 .LBB23_898
; %bb.887:
	global_load_ubyte v3, v[1:2], off
	s_mov_b32 s7, exec_lo
	s_waitcnt vmcnt(0)
	v_cmpx_lt_i16_e32 0x7f, v3
	s_xor_b32 s7, exec_lo, s7
	s_cbranch_execz .LBB23_910
; %bb.888:
	s_mov_b32 s6, -1
	s_mov_b32 s10, exec_lo
	v_cmpx_eq_u16_e32 0x80, v3
; %bb.889:
	s_xor_b32 s6, exec_lo, -1
; %bb.890:
	s_or_b32 exec_lo, exec_lo, s10
	s_and_b32 s6, s6, exec_lo
	s_or_saveexec_b32 s7, s7
	v_mov_b32_e32 v4, 0x7e00
	s_xor_b32 exec_lo, exec_lo, s7
	s_cbranch_execnz .LBB23_911
.LBB23_891:
	s_or_b32 exec_lo, exec_lo, s7
	s_and_saveexec_b32 s7, s6
	s_cbranch_execz .LBB23_893
.LBB23_892:
	v_and_b32_e32 v4, 0xffff, v3
	v_lshlrev_b32_e32 v3, 24, v3
	v_and_b32_e32 v5, 3, v4
	v_bfe_u32 v8, v4, 2, 5
	v_and_b32_e32 v3, 0x80000000, v3
	v_ffbh_u32_e32 v6, v5
	v_cmp_eq_u32_e32 vcc_lo, 0, v8
	v_min_u32_e32 v6, 32, v6
	v_subrev_nc_u32_e32 v7, 29, v6
	v_sub_nc_u32_e32 v6, 30, v6
	v_lshlrev_b32_e32 v4, v7, v4
	v_cndmask_b32_e32 v6, v8, v6, vcc_lo
	v_and_b32_e32 v4, 3, v4
	v_cndmask_b32_e32 v4, v5, v4, vcc_lo
	v_lshl_add_u32 v5, v6, 23, 0x37800000
	v_lshlrev_b32_e32 v4, 21, v4
	v_or3_b32 v3, v3, v5, v4
	v_cvt_f16_f32_e32 v4, v3
.LBB23_893:
	s_or_b32 exec_lo, exec_lo, s7
	s_mov_b32 s6, 0
	s_branch .LBB23_899
.LBB23_894:
	s_mov_b32 s6, -1
                                        ; implicit-def: $vgpr4
	s_branch .LBB23_905
.LBB23_895:
	s_or_saveexec_b32 s10, s10
	v_mov_b32_e32 v4, 0x7e00
	s_xor_b32 exec_lo, exec_lo, s10
	s_cbranch_execz .LBB23_878
.LBB23_896:
	v_cmp_ne_u16_e32 vcc_lo, 0, v3
	v_mov_b32_e32 v4, v3
	s_andn2_b32 s7, s7, exec_lo
	s_and_b32 s11, vcc_lo, exec_lo
	s_or_b32 s7, s7, s11
	s_or_b32 exec_lo, exec_lo, s10
	s_and_saveexec_b32 s10, s7
	s_cbranch_execnz .LBB23_879
	s_branch .LBB23_880
.LBB23_897:
	s_mov_b32 s6, -1
                                        ; implicit-def: $vgpr4
	s_branch .LBB23_902
.LBB23_898:
	s_mov_b32 s6, -1
                                        ; implicit-def: $vgpr4
.LBB23_899:
	s_and_b32 vcc_lo, exec_lo, s6
	s_cbranch_vccz .LBB23_901
; %bb.900:
	global_load_ubyte v3, v[1:2], off
	s_waitcnt vmcnt(0)
	v_lshlrev_b32_e32 v3, 24, v3
	v_and_b32_e32 v4, 0x7f000000, v3
	v_ffbh_u32_e32 v5, v4
	v_add_nc_u32_e32 v7, 0x1000000, v4
	v_cmp_ne_u32_e32 vcc_lo, 0, v4
	v_min_u32_e32 v5, 32, v5
	v_sub_nc_u32_e64 v5, v5, 4 clamp
	v_lshlrev_b32_e32 v6, v5, v4
	v_lshlrev_b32_e32 v5, 23, v5
	v_lshrrev_b32_e32 v6, 4, v6
	v_sub_nc_u32_e32 v5, v6, v5
	v_ashrrev_i32_e32 v6, 8, v7
	v_add_nc_u32_e32 v5, 0x3c000000, v5
	v_and_or_b32 v5, 0x7f800000, v6, v5
	v_cndmask_b32_e32 v4, 0, v5, vcc_lo
	v_and_or_b32 v3, 0x80000000, v3, v4
	v_cvt_f16_f32_e32 v4, v3
.LBB23_901:
	s_mov_b32 s6, 0
.LBB23_902:
	s_andn2_b32 vcc_lo, exec_lo, s6
	s_cbranch_vccnz .LBB23_904
; %bb.903:
	global_load_ubyte v3, v[1:2], off
	s_waitcnt vmcnt(0)
	v_lshlrev_b32_e32 v4, 25, v3
	v_lshlrev_b16 v3, 8, v3
	v_lshrrev_b32_e32 v5, 4, v4
	v_and_or_b32 v6, 0x7f00, v3, 0.5
	v_cmp_gt_u32_e32 vcc_lo, 0x8000000, v4
	v_bfe_i32 v3, v3, 0, 16
	v_or_b32_e32 v5, 0x70000000, v5
	v_add_f32_e32 v6, -0.5, v6
	v_mul_f32_e32 v5, 0x7800000, v5
	v_cndmask_b32_e32 v4, v5, v6, vcc_lo
	v_and_or_b32 v3, 0x80000000, v3, v4
	v_cvt_f16_f32_e32 v4, v3
.LBB23_904:
	s_mov_b32 s6, 0
	s_mov_b32 s7, -1
.LBB23_905:
	s_andn2_b32 vcc_lo, exec_lo, s6
	s_mov_b32 s6, 0
	s_cbranch_vccnz .LBB23_916
; %bb.906:
	s_cmp_gt_i32 s0, 14
	s_cbranch_scc0 .LBB23_909
; %bb.907:
	s_cmp_eq_u32 s0, 15
	s_cbranch_scc0 .LBB23_912
; %bb.908:
	global_load_ushort v3, v[1:2], off
	s_mov_b32 s1, 0
	s_mov_b32 s7, -1
	s_waitcnt vmcnt(0)
	v_lshlrev_b32_e32 v3, 16, v3
	v_cvt_f16_f32_e32 v4, v3
	s_branch .LBB23_914
.LBB23_909:
	s_mov_b32 s6, -1
	s_branch .LBB23_913
.LBB23_910:
	s_or_saveexec_b32 s7, s7
	v_mov_b32_e32 v4, 0x7e00
	s_xor_b32 exec_lo, exec_lo, s7
	s_cbranch_execz .LBB23_891
.LBB23_911:
	v_cmp_ne_u16_e32 vcc_lo, 0, v3
	v_mov_b32_e32 v4, v3
	s_andn2_b32 s6, s6, exec_lo
	s_and_b32 s10, vcc_lo, exec_lo
	s_or_b32 s6, s6, s10
	s_or_b32 exec_lo, exec_lo, s7
	s_and_saveexec_b32 s7, s6
	s_cbranch_execnz .LBB23_892
	s_branch .LBB23_893
.LBB23_912:
	s_mov_b32 s1, -1
.LBB23_913:
                                        ; implicit-def: $vgpr4
.LBB23_914:
	s_and_b32 vcc_lo, exec_lo, s6
	s_mov_b32 s6, 0
	s_cbranch_vccz .LBB23_916
; %bb.915:
	s_cmp_lg_u32 s0, 11
	s_mov_b32 s6, -1
	s_cselect_b32 s0, -1, 0
	s_andn2_b32 s1, s1, exec_lo
	s_and_b32 s0, s0, exec_lo
	s_or_b32 s1, s1, s0
.LBB23_916:
	s_mov_b32 s0, 0
.LBB23_917:
	s_and_b32 s43, s7, exec_lo
	s_andn2_b32 s7, s22, exec_lo
	s_and_b32 s1, s1, exec_lo
	s_and_b32 s44, s0, exec_lo
	;; [unrolled: 1-line block ×3, first 2 shown]
	s_or_b32 s45, s7, s1
.LBB23_918:
	s_or_b32 exec_lo, exec_lo, s33
	s_waitcnt lgkmcnt(0)
	s_andn2_b32 s6, s22, exec_lo
	s_and_b32 s7, s45, exec_lo
	s_and_b32 s43, s43, exec_lo
	;; [unrolled: 1-line block ×4, first 2 shown]
	s_or_b32 s22, s6, s7
.LBB23_919:
	s_or_b32 exec_lo, exec_lo, s42
	s_waitcnt lgkmcnt(0)
	s_andn2_b32 s6, s40, exec_lo
	s_and_b32 s7, s23, exec_lo
	s_and_b32 s42, s43, exec_lo
	s_or_b32 s40, s6, s7
	s_andn2_b32 s6, s39, exec_lo
	s_and_b32 s7, s22, exec_lo
	s_and_b32 s23, s1, exec_lo
	;; [unrolled: 1-line block ×3, first 2 shown]
	s_or_b32 s39, s6, s7
.LBB23_920:
	s_or_b32 exec_lo, exec_lo, s41
	s_andn2_b32 s0, s36, exec_lo
	s_waitcnt lgkmcnt(0)
	s_and_b32 s6, s40, exec_lo
	s_and_b32 s7, s39, exec_lo
	s_or_b32 s36, s0, s6
	s_andn2_b32 s6, s37, exec_lo
	s_and_b32 s0, s42, exec_lo
	s_and_b32 s22, s23, exec_lo
	s_and_b32 s39, s1, exec_lo
	s_or_b32 s37, s6, s7
	s_or_b32 exec_lo, exec_lo, s38
	s_mov_b32 s1, 0
	s_and_saveexec_b32 s6, s37
	s_cbranch_execz .LBB23_274
.LBB23_921:
	s_mov_b32 s1, exec_lo
	s_andn2_b32 s39, s39, exec_lo
	s_trap 2
	s_or_b32 exec_lo, exec_lo, s6
	s_and_saveexec_b32 s6, s39
	s_xor_b32 s6, exec_lo, s6
	s_cbranch_execnz .LBB23_275
.LBB23_922:
	s_or_b32 exec_lo, exec_lo, s6
	s_and_saveexec_b32 s6, s22
	s_cbranch_execz .LBB23_968
.LBB23_923:
	s_sext_i32_i16 s7, s30
	s_cmp_lt_i32 s7, 5
	s_cbranch_scc1 .LBB23_928
; %bb.924:
	s_cmp_lt_i32 s7, 8
	s_cbranch_scc1 .LBB23_929
; %bb.925:
	;; [unrolled: 3-line block ×3, first 2 shown]
	s_cmp_gt_i32 s7, 9
	s_cbranch_scc0 .LBB23_931
; %bb.927:
	global_load_dwordx2 v[3:4], v[1:2], off
	s_mov_b32 s7, 0
	s_waitcnt vmcnt(0)
	v_and_or_b32 v3, 0x1ff, v4, v3
	v_lshrrev_b32_e32 v5, 8, v4
	v_bfe_u32 v6, v4, 20, 11
	v_lshrrev_b32_e32 v4, 16, v4
	v_cmp_ne_u32_e32 vcc_lo, 0, v3
	v_sub_nc_u32_e32 v7, 0x3f1, v6
	v_add_nc_u32_e32 v6, 0xfffffc10, v6
	v_cndmask_b32_e64 v3, 0, 1, vcc_lo
	v_and_or_b32 v3, 0xffe, v5, v3
	v_med3_i32 v5, v7, 0, 13
	v_or_b32_e32 v7, 0x1000, v3
	v_lshrrev_b32_e32 v8, v5, v7
	v_lshlrev_b32_e32 v5, v5, v8
	v_cmp_ne_u32_e32 vcc_lo, v5, v7
	v_lshl_or_b32 v7, v6, 12, v3
	v_cndmask_b32_e64 v5, 0, 1, vcc_lo
	v_cmp_gt_i32_e32 vcc_lo, 1, v6
	v_or_b32_e32 v5, v8, v5
	v_cndmask_b32_e32 v5, v7, v5, vcc_lo
	v_and_b32_e32 v7, 7, v5
	v_lshrrev_b32_e32 v5, 2, v5
	v_cmp_lt_i32_e32 vcc_lo, 5, v7
	v_cndmask_b32_e64 v8, 0, 1, vcc_lo
	v_cmp_eq_u32_e32 vcc_lo, 3, v7
	v_cndmask_b32_e64 v7, 0, 1, vcc_lo
	v_cmp_ne_u32_e32 vcc_lo, 0, v3
	v_or_b32_e32 v7, v7, v8
	v_mov_b32_e32 v8, 0x7e00
	v_add_nc_u32_e32 v5, v5, v7
	v_cndmask_b32_e32 v3, 0x7c00, v8, vcc_lo
	v_cmp_gt_i32_e32 vcc_lo, 31, v6
	v_cndmask_b32_e32 v5, 0x7c00, v5, vcc_lo
	v_cmp_eq_u32_e32 vcc_lo, 0x40f, v6
	v_cndmask_b32_e32 v3, v5, v3, vcc_lo
	v_and_or_b32 v4, 0x8000, v4, v3
	s_branch .LBB23_932
.LBB23_928:
                                        ; implicit-def: $vgpr4
	s_branch .LBB23_949
.LBB23_929:
                                        ; implicit-def: $vgpr4
	s_branch .LBB23_938
.LBB23_930:
	s_mov_b32 s7, -1
                                        ; implicit-def: $vgpr4
	s_branch .LBB23_935
.LBB23_931:
	s_mov_b32 s7, -1
                                        ; implicit-def: $vgpr4
.LBB23_932:
	s_andn2_b32 vcc_lo, exec_lo, s7
	s_cbranch_vccnz .LBB23_934
; %bb.933:
	global_load_dword v3, v[1:2], off
	s_waitcnt vmcnt(0)
	v_cvt_f16_f32_e32 v4, v3
.LBB23_934:
	s_mov_b32 s7, 0
.LBB23_935:
	s_andn2_b32 vcc_lo, exec_lo, s7
	s_cbranch_vccnz .LBB23_937
; %bb.936:
	global_load_dword v4, v[1:2], off
.LBB23_937:
	s_cbranch_execnz .LBB23_948
.LBB23_938:
	s_sext_i32_i16 s7, s30
	s_cmp_lt_i32 s7, 6
	s_cbranch_scc1 .LBB23_941
; %bb.939:
	s_cmp_gt_i32 s7, 6
	s_cbranch_scc0 .LBB23_942
; %bb.940:
	global_load_dwordx2 v[3:4], v[1:2], off
	s_mov_b32 s7, 0
	s_waitcnt vmcnt(0)
	v_and_or_b32 v3, 0x1ff, v4, v3
	v_lshrrev_b32_e32 v5, 8, v4
	v_bfe_u32 v6, v4, 20, 11
	v_lshrrev_b32_e32 v4, 16, v4
	v_cmp_ne_u32_e32 vcc_lo, 0, v3
	v_sub_nc_u32_e32 v7, 0x3f1, v6
	v_add_nc_u32_e32 v6, 0xfffffc10, v6
	v_cndmask_b32_e64 v3, 0, 1, vcc_lo
	v_and_or_b32 v3, 0xffe, v5, v3
	v_med3_i32 v5, v7, 0, 13
	v_or_b32_e32 v7, 0x1000, v3
	v_lshrrev_b32_e32 v8, v5, v7
	v_lshlrev_b32_e32 v5, v5, v8
	v_cmp_ne_u32_e32 vcc_lo, v5, v7
	v_lshl_or_b32 v7, v6, 12, v3
	v_cndmask_b32_e64 v5, 0, 1, vcc_lo
	v_cmp_gt_i32_e32 vcc_lo, 1, v6
	v_or_b32_e32 v5, v8, v5
	v_cndmask_b32_e32 v5, v7, v5, vcc_lo
	v_and_b32_e32 v7, 7, v5
	v_lshrrev_b32_e32 v5, 2, v5
	v_cmp_lt_i32_e32 vcc_lo, 5, v7
	v_cndmask_b32_e64 v8, 0, 1, vcc_lo
	v_cmp_eq_u32_e32 vcc_lo, 3, v7
	v_cndmask_b32_e64 v7, 0, 1, vcc_lo
	v_cmp_ne_u32_e32 vcc_lo, 0, v3
	v_or_b32_e32 v7, v7, v8
	v_mov_b32_e32 v8, 0x7e00
	v_add_nc_u32_e32 v5, v5, v7
	v_cndmask_b32_e32 v3, 0x7c00, v8, vcc_lo
	v_cmp_gt_i32_e32 vcc_lo, 31, v6
	v_cndmask_b32_e32 v5, 0x7c00, v5, vcc_lo
	v_cmp_eq_u32_e32 vcc_lo, 0x40f, v6
	v_cndmask_b32_e32 v3, v5, v3, vcc_lo
	v_and_or_b32 v4, 0x8000, v4, v3
	s_branch .LBB23_943
.LBB23_941:
	s_mov_b32 s7, -1
                                        ; implicit-def: $vgpr4
	s_branch .LBB23_946
.LBB23_942:
	s_mov_b32 s7, -1
                                        ; implicit-def: $vgpr4
.LBB23_943:
	s_andn2_b32 vcc_lo, exec_lo, s7
	s_cbranch_vccnz .LBB23_945
; %bb.944:
	global_load_dword v3, v[1:2], off
	s_waitcnt vmcnt(0)
	v_cvt_f16_f32_e32 v4, v3
.LBB23_945:
	s_mov_b32 s7, 0
.LBB23_946:
	s_andn2_b32 vcc_lo, exec_lo, s7
	s_cbranch_vccnz .LBB23_948
; %bb.947:
	global_load_ushort v4, v[1:2], off
.LBB23_948:
	s_cbranch_execnz .LBB23_967
.LBB23_949:
	s_sext_i32_i16 s7, s30
	s_cmp_lt_i32 s7, 2
	s_cbranch_scc1 .LBB23_953
; %bb.950:
	s_cmp_lt_i32 s7, 3
	s_cbranch_scc1 .LBB23_954
; %bb.951:
	s_cmp_gt_i32 s7, 3
	s_cbranch_scc0 .LBB23_955
; %bb.952:
	global_load_dwordx2 v[3:4], v[1:2], off
	s_mov_b32 s7, 0
	s_waitcnt vmcnt(0)
	v_xor_b32_e32 v5, v3, v4
	v_ffbh_i32_e32 v6, v4
	v_ashrrev_i32_e32 v5, 31, v5
	v_add_nc_u32_e32 v6, -1, v6
	v_add_nc_u32_e32 v5, 32, v5
	v_min_u32_e32 v5, v6, v5
	v_lshlrev_b64 v[3:4], v5, v[3:4]
	v_min_u32_e32 v3, 1, v3
	v_or_b32_e32 v3, v4, v3
	v_sub_nc_u32_e32 v4, 32, v5
	v_cvt_f32_i32_e32 v3, v3
	v_ldexp_f32 v3, v3, v4
	v_cvt_f16_f32_e32 v4, v3
	s_branch .LBB23_956
.LBB23_953:
                                        ; implicit-def: $vgpr4
	s_branch .LBB23_962
.LBB23_954:
	s_mov_b32 s7, -1
                                        ; implicit-def: $vgpr4
	s_branch .LBB23_959
.LBB23_955:
	s_mov_b32 s7, -1
                                        ; implicit-def: $vgpr4
.LBB23_956:
	s_andn2_b32 vcc_lo, exec_lo, s7
	s_cbranch_vccnz .LBB23_958
; %bb.957:
	global_load_dword v3, v[1:2], off
	s_waitcnt vmcnt(0)
	v_cvt_f32_i32_e32 v3, v3
	v_cvt_f16_f32_e32 v4, v3
.LBB23_958:
	s_mov_b32 s7, 0
.LBB23_959:
	s_andn2_b32 vcc_lo, exec_lo, s7
	s_cbranch_vccnz .LBB23_961
; %bb.960:
	global_load_ushort v3, v[1:2], off
	s_waitcnt vmcnt(0)
	v_cvt_f16_i16_e32 v4, v3
.LBB23_961:
	s_cbranch_execnz .LBB23_967
.LBB23_962:
	s_sext_i32_i16 s7, s30
	s_cmp_gt_i32 s7, 0
	s_mov_b32 s7, 0
	s_cbranch_scc0 .LBB23_964
; %bb.963:
	global_load_sbyte v3, v[1:2], off
	s_waitcnt vmcnt(0)
	v_cvt_f16_i16_e32 v4, v3
	s_branch .LBB23_965
.LBB23_964:
	s_mov_b32 s7, -1
                                        ; implicit-def: $vgpr4
.LBB23_965:
	s_andn2_b32 vcc_lo, exec_lo, s7
	s_cbranch_vccnz .LBB23_967
; %bb.966:
	global_load_ubyte v1, v[1:2], off
	s_waitcnt vmcnt(0)
	v_cvt_f16_u16_e32 v4, v1
.LBB23_967:
	s_or_b32 s0, s0, exec_lo
.LBB23_968:
	s_or_b32 exec_lo, exec_lo, s6
	s_mov_b32 s11, 0
	s_mov_b32 s10, 0
                                        ; implicit-def: $sgpr6
                                        ; implicit-def: $vgpr1_vgpr2
                                        ; implicit-def: $vgpr3
	s_and_saveexec_b32 s7, s0
	s_cbranch_execz .LBB23_976
; %bb.969:
	s_waitcnt vmcnt(0)
	v_cvt_f32_f16_e32 v1, v4
	s_mov_b32 s0, 0x3b2d2a58
	s_and_b32 s6, s29, 0xff
	s_cmp_lt_i32 s6, 11
	v_rcp_f32_e64 v2, |v1|
	v_cmp_gt_f32_e64 vcc_lo, |v1|, 1.0
	v_cndmask_b32_e64 v1, |v1|, v2, vcc_lo
	v_mul_f32_e32 v2, v1, v1
	v_fmaak_f32 v3, s0, v2, 0xbc7a590c
	v_fmaak_f32 v3, v2, v3, 0x3d29fb3f
	;; [unrolled: 1-line block ×7, first 2 shown]
	v_mul_f32_e32 v2, v2, v3
	v_fmac_f32_e32 v1, v1, v2
	v_sub_f32_e32 v2, 0x3fc90fdb, v1
	v_cndmask_b32_e32 v1, v1, v2, vcc_lo
	v_cvt_f16_f32_e32 v3, v1
	v_add_co_u32 v1, s0, s8, v0
	v_add_co_ci_u32_e64 v2, null, s9, 0, s0
	v_bfi_b32 v3, 0x7fff, v3, v4
	s_cbranch_scc1 .LBB23_979
; %bb.970:
	s_and_b32 s8, 0xffff, s6
	s_mov_b32 s9, -1
	s_cmp_gt_i32 s8, 25
	s_mov_b32 s0, s36
	s_cbranch_scc0 .LBB23_1007
; %bb.971:
	s_cmp_gt_i32 s8, 28
	s_mov_b32 s0, s36
	s_cbranch_scc0 .LBB23_991
; %bb.972:
	;; [unrolled: 4-line block ×4, first 2 shown]
	s_cmp_eq_u32 s8, 46
	s_mov_b32 s0, -1
	s_cbranch_scc0 .LBB23_980
; %bb.975:
	v_cvt_f32_f16_e32 v0, v3
	v_cmp_o_f16_e32 vcc_lo, v3, v3
	s_mov_b32 s0, 0
	s_mov_b32 s9, 0
	v_bfe_u32 v4, v0, 16, 1
	v_add3_u32 v0, v0, v4, 0x7fff
	v_mov_b32_e32 v4, 0x7fc0
	v_cndmask_b32_sdwa v0, v4, v0, vcc_lo dst_sel:DWORD dst_unused:UNUSED_PAD src0_sel:DWORD src1_sel:WORD_1
	global_store_dword v[1:2], v0, off
	s_branch .LBB23_981
.LBB23_976:
	s_or_b32 exec_lo, exec_lo, s7
	s_and_saveexec_b32 s0, s36
	s_cbranch_execnz .LBB23_1049
.LBB23_977:
	s_or_b32 exec_lo, exec_lo, s0
	s_and_saveexec_b32 s0, s11
	s_xor_b32 s0, exec_lo, s0
	s_cbranch_execz .LBB23_1050
.LBB23_978:
	s_waitcnt vmcnt(0)
	v_cmp_neq_f16_e32 vcc_lo, 0, v3
	v_cndmask_b32_e64 v0, 0, 1, vcc_lo
	global_store_byte v[1:2], v0, off
	s_or_b32 exec_lo, exec_lo, s0
	s_and_saveexec_b32 s0, s10
	s_xor_b32 s0, exec_lo, s0
	s_cbranch_execz .LBB23_1088
	s_branch .LBB23_1051
.LBB23_979:
	s_mov_b32 s9, -1
	s_mov_b32 s0, s36
	s_branch .LBB23_1048
.LBB23_980:
	s_mov_b32 s9, 0
.LBB23_981:
	s_and_b32 vcc_lo, exec_lo, s9
	s_cbranch_vccz .LBB23_986
; %bb.982:
	s_cmp_eq_u32 s8, 44
	s_mov_b32 s0, -1
	s_cbranch_scc0 .LBB23_986
; %bb.983:
	v_cvt_f32_f16_e32 v0, v3
	v_mov_b32_e32 v4, 0xff
	s_mov_b32 s9, exec_lo
	v_bfe_u32 v5, v0, 23, 8
	v_cmpx_ne_u32_e32 0xff, v5
	s_cbranch_execz .LBB23_985
; %bb.984:
	v_and_b32_e32 v4, 0x400000, v0
	v_and_or_b32 v5, 0x3fffff, v0, v5
	v_lshrrev_b32_e32 v0, 23, v0
	v_cmp_ne_u32_e32 vcc_lo, 0, v4
	v_cmp_ne_u32_e64 s0, 0, v5
	s_and_b32 s0, vcc_lo, s0
	v_cndmask_b32_e64 v4, 0, 1, s0
	v_add_nc_u32_e32 v4, v0, v4
.LBB23_985:
	s_or_b32 exec_lo, exec_lo, s9
	s_mov_b32 s0, 0
	global_store_byte v[1:2], v4, off
.LBB23_986:
	s_mov_b32 s9, 0
.LBB23_987:
	s_and_b32 vcc_lo, exec_lo, s9
	s_cbranch_vccz .LBB23_990
; %bb.988:
	s_cmp_eq_u32 s8, 29
	s_mov_b32 s0, -1
	s_cbranch_scc0 .LBB23_990
; %bb.989:
	v_cvt_f32_f16_e32 v0, v3
	v_mov_b32_e32 v5, 0
	s_mov_b32 s0, 0
	s_mov_b32 s9, 0
	v_cvt_u32_f32_e32 v4, v0
	global_store_dwordx2 v[1:2], v[4:5], off
	s_branch .LBB23_991
.LBB23_990:
	s_mov_b32 s9, 0
.LBB23_991:
	s_and_b32 vcc_lo, exec_lo, s9
	s_cbranch_vccz .LBB23_1006
; %bb.992:
	s_cmp_lt_i32 s8, 27
	s_mov_b32 s9, -1
	s_cbranch_scc1 .LBB23_998
; %bb.993:
	s_cmp_gt_i32 s8, 27
	s_cbranch_scc0 .LBB23_995
; %bb.994:
	v_cvt_f32_f16_e32 v0, v3
	s_mov_b32 s9, 0
	v_cvt_u32_f32_e32 v0, v0
	global_store_dword v[1:2], v0, off
.LBB23_995:
	s_andn2_b32 vcc_lo, exec_lo, s9
	s_cbranch_vccnz .LBB23_997
; %bb.996:
	v_cvt_u16_f16_e32 v0, v3
	global_store_short v[1:2], v0, off
.LBB23_997:
	s_mov_b32 s9, 0
.LBB23_998:
	s_andn2_b32 vcc_lo, exec_lo, s9
	s_cbranch_vccnz .LBB23_1006
; %bb.999:
	v_cvt_f32_f16_e32 v0, v3
	v_mov_b32_e32 v5, 0x80
	s_mov_b32 s9, exec_lo
	v_and_b32_e32 v4, 0x7fffffff, v0
	v_cmpx_gt_u32_e32 0x43800000, v4
	s_cbranch_execz .LBB23_1005
; %bb.1000:
	v_cmp_lt_u32_e32 vcc_lo, 0x3bffffff, v4
                                        ; implicit-def: $vgpr4
	s_and_saveexec_b32 s11, vcc_lo
	s_xor_b32 s11, exec_lo, s11
	s_cbranch_execz .LBB23_1159
; %bb.1001:
	v_bfe_u32 v4, v0, 20, 1
	s_mov_b32 s10, exec_lo
	v_add3_u32 v4, v0, v4, 0x487ffff
	v_lshrrev_b32_e32 v4, 20, v4
	s_andn2_saveexec_b32 s11, s11
	s_cbranch_execnz .LBB23_1160
.LBB23_1002:
	s_or_b32 exec_lo, exec_lo, s11
	v_mov_b32_e32 v5, 0
	s_and_saveexec_b32 s11, s10
.LBB23_1003:
	v_lshrrev_b32_e32 v0, 24, v0
	v_and_or_b32 v5, 0x80, v0, v4
.LBB23_1004:
	s_or_b32 exec_lo, exec_lo, s11
.LBB23_1005:
	s_or_b32 exec_lo, exec_lo, s9
	global_store_byte v[1:2], v5, off
.LBB23_1006:
	s_mov_b32 s9, 0
.LBB23_1007:
	s_and_b32 vcc_lo, exec_lo, s9
	s_mov_b32 s9, 0
	s_cbranch_vccz .LBB23_1047
; %bb.1008:
	s_cmp_gt_i32 s8, 22
	s_mov_b32 s10, -1
	s_cbranch_scc0 .LBB23_1040
; %bb.1009:
	s_cmp_lt_i32 s8, 24
	s_cbranch_scc1 .LBB23_1029
; %bb.1010:
	s_cmp_gt_i32 s8, 24
	s_cbranch_scc0 .LBB23_1018
; %bb.1011:
	v_cvt_f32_f16_e32 v0, v3
	v_mov_b32_e32 v5, 0x80
	s_mov_b32 s10, exec_lo
	v_and_b32_e32 v4, 0x7fffffff, v0
	v_cmpx_gt_u32_e32 0x47800000, v4
	s_cbranch_execz .LBB23_1017
; %bb.1012:
	v_cmp_lt_u32_e32 vcc_lo, 0x37ffffff, v4
	s_mov_b32 s11, 0
                                        ; implicit-def: $vgpr4
	s_and_saveexec_b32 s12, vcc_lo
	s_xor_b32 s12, exec_lo, s12
	s_cbranch_execz .LBB23_1285
; %bb.1013:
	v_bfe_u32 v4, v0, 21, 1
	s_mov_b32 s11, exec_lo
	v_add3_u32 v4, v0, v4, 0x88fffff
	v_lshrrev_b32_e32 v4, 21, v4
	s_andn2_saveexec_b32 s12, s12
	s_cbranch_execnz .LBB23_1286
.LBB23_1014:
	s_or_b32 exec_lo, exec_lo, s12
	v_mov_b32_e32 v5, 0
	s_and_saveexec_b32 s12, s11
.LBB23_1015:
	v_lshrrev_b32_e32 v0, 24, v0
	v_and_or_b32 v5, 0x80, v0, v4
.LBB23_1016:
	s_or_b32 exec_lo, exec_lo, s12
.LBB23_1017:
	s_or_b32 exec_lo, exec_lo, s10
	s_mov_b32 s10, 0
	global_store_byte v[1:2], v5, off
.LBB23_1018:
	s_and_b32 vcc_lo, exec_lo, s10
	s_cbranch_vccz .LBB23_1028
; %bb.1019:
	v_cvt_f32_f16_e32 v0, v3
	s_mov_b32 s10, exec_lo
                                        ; implicit-def: $vgpr4
	v_and_b32_e32 v5, 0x7fffffff, v0
	v_cmpx_gt_u32_e32 0x43f00000, v5
	s_xor_b32 s10, exec_lo, s10
	s_cbranch_execz .LBB23_1025
; %bb.1020:
	s_mov_b32 s11, exec_lo
                                        ; implicit-def: $vgpr4
	v_cmpx_lt_u32_e32 0x3c7fffff, v5
	s_xor_b32 s11, exec_lo, s11
; %bb.1021:
	v_bfe_u32 v4, v0, 20, 1
	v_add3_u32 v4, v0, v4, 0x407ffff
	v_and_b32_e32 v5, 0xff00000, v4
	v_lshrrev_b32_e32 v4, 20, v4
	v_cmp_ne_u32_e32 vcc_lo, 0x7f00000, v5
	v_cndmask_b32_e32 v4, 0x7e, v4, vcc_lo
; %bb.1022:
	s_andn2_saveexec_b32 s11, s11
; %bb.1023:
	v_add_f32_e64 v4, 0x46800000, |v0|
; %bb.1024:
	s_or_b32 exec_lo, exec_lo, s11
                                        ; implicit-def: $vgpr5
.LBB23_1025:
	s_andn2_saveexec_b32 s10, s10
; %bb.1026:
	v_mov_b32_e32 v4, 0x7f
	v_cmp_lt_u32_e32 vcc_lo, 0x7f800000, v5
	v_cndmask_b32_e32 v4, 0x7e, v4, vcc_lo
; %bb.1027:
	s_or_b32 exec_lo, exec_lo, s10
	v_lshrrev_b32_e32 v0, 24, v0
	v_and_or_b32 v0, 0x80, v0, v4
	global_store_byte v[1:2], v0, off
.LBB23_1028:
	s_mov_b32 s10, 0
.LBB23_1029:
	s_andn2_b32 vcc_lo, exec_lo, s10
	s_cbranch_vccnz .LBB23_1039
; %bb.1030:
	v_cvt_f32_f16_e32 v0, v3
	s_mov_b32 s10, exec_lo
                                        ; implicit-def: $vgpr4
	v_and_b32_e32 v5, 0x7fffffff, v0
	v_cmpx_gt_u32_e32 0x47800000, v5
	s_xor_b32 s10, exec_lo, s10
	s_cbranch_execz .LBB23_1036
; %bb.1031:
	s_mov_b32 s11, exec_lo
                                        ; implicit-def: $vgpr4
	v_cmpx_lt_u32_e32 0x387fffff, v5
	s_xor_b32 s11, exec_lo, s11
; %bb.1032:
	v_bfe_u32 v4, v0, 21, 1
	v_add3_u32 v4, v0, v4, 0x80fffff
	v_lshrrev_b32_e32 v4, 21, v4
; %bb.1033:
	s_andn2_saveexec_b32 s11, s11
; %bb.1034:
	v_add_f32_e64 v4, 0x43000000, |v0|
; %bb.1035:
	s_or_b32 exec_lo, exec_lo, s11
                                        ; implicit-def: $vgpr5
.LBB23_1036:
	s_andn2_saveexec_b32 s10, s10
; %bb.1037:
	v_mov_b32_e32 v4, 0x7f
	v_cmp_lt_u32_e32 vcc_lo, 0x7f800000, v5
	v_cndmask_b32_e32 v4, 0x7c, v4, vcc_lo
; %bb.1038:
	s_or_b32 exec_lo, exec_lo, s10
	v_lshrrev_b32_e32 v0, 24, v0
	v_and_or_b32 v0, 0x80, v0, v4
	global_store_byte v[1:2], v0, off
.LBB23_1039:
	s_mov_b32 s10, 0
.LBB23_1040:
	s_andn2_b32 vcc_lo, exec_lo, s10
	s_mov_b32 s11, 0
	s_cbranch_vccnz .LBB23_1048
; %bb.1041:
	s_cmp_gt_i32 s8, 14
	s_mov_b32 s10, -1
	s_cbranch_scc0 .LBB23_1045
; %bb.1042:
	s_cmp_eq_u32 s8, 15
	s_mov_b32 s0, -1
	s_cbranch_scc0 .LBB23_1044
; %bb.1043:
	v_cvt_f32_f16_e32 v0, v3
	v_cmp_o_f16_e32 vcc_lo, v3, v3
	s_mov_b32 s0, 0
	v_bfe_u32 v4, v0, 16, 1
	v_add3_u32 v0, v0, v4, 0x7fff
	v_mov_b32_e32 v4, 0x7fc0
	v_cndmask_b32_sdwa v0, v4, v0, vcc_lo dst_sel:DWORD dst_unused:UNUSED_PAD src0_sel:DWORD src1_sel:WORD_1
	global_store_short v[1:2], v0, off
.LBB23_1044:
	s_mov_b32 s10, 0
.LBB23_1045:
	s_and_b32 vcc_lo, exec_lo, s10
	s_cbranch_vccz .LBB23_1048
; %bb.1046:
	s_cmp_lg_u32 s8, 11
	s_mov_b32 s11, -1
	s_cselect_b32 s8, -1, 0
	s_andn2_b32 s0, s0, exec_lo
	s_and_b32 s8, s8, exec_lo
	s_or_b32 s0, s0, s8
	s_branch .LBB23_1048
.LBB23_1047:
	s_mov_b32 s11, 0
.LBB23_1048:
	s_andn2_b32 s8, s36, exec_lo
	s_and_b32 s0, s0, exec_lo
	s_and_b32 s10, s9, exec_lo
	;; [unrolled: 1-line block ×3, first 2 shown]
	s_or_b32 s36, s8, s0
	s_or_b32 exec_lo, exec_lo, s7
	s_and_saveexec_b32 s0, s36
	s_cbranch_execz .LBB23_977
.LBB23_1049:
	s_or_b32 s1, s1, exec_lo
	s_andn2_b32 s11, s11, exec_lo
	s_trap 2
	s_or_b32 exec_lo, exec_lo, s0
	s_and_saveexec_b32 s0, s11
	s_xor_b32 s0, exec_lo, s0
	s_cbranch_execnz .LBB23_978
.LBB23_1050:
	s_or_b32 exec_lo, exec_lo, s0
	s_and_saveexec_b32 s0, s10
	s_xor_b32 s0, exec_lo, s0
	s_cbranch_execz .LBB23_1088
.LBB23_1051:
	s_sext_i32_i16 s8, s6
	s_mov_b32 s7, -1
	s_cmp_lt_i32 s8, 5
	s_cbranch_scc1 .LBB23_1072
; %bb.1052:
	s_cmp_lt_i32 s8, 8
	s_cbranch_scc1 .LBB23_1062
; %bb.1053:
	;; [unrolled: 3-line block ×3, first 2 shown]
	s_cmp_gt_i32 s8, 9
	s_cbranch_scc0 .LBB23_1056
; %bb.1055:
	s_waitcnt vmcnt(0)
	v_cvt_f32_f16_e32 v0, v3
	v_mov_b32_e32 v6, 0
	s_mov_b32 s7, 0
	v_cvt_f64_f32_e32 v[4:5], v0
	v_mov_b32_e32 v7, v6
	global_store_dwordx4 v[1:2], v[4:7], off
.LBB23_1056:
	s_andn2_b32 vcc_lo, exec_lo, s7
	s_cbranch_vccnz .LBB23_1058
; %bb.1057:
	s_waitcnt vmcnt(0)
	v_cvt_f32_f16_e32 v4, v3
	v_mov_b32_e32 v5, 0
	global_store_dwordx2 v[1:2], v[4:5], off
.LBB23_1058:
	s_mov_b32 s7, 0
.LBB23_1059:
	s_andn2_b32 vcc_lo, exec_lo, s7
	s_cbranch_vccnz .LBB23_1061
; %bb.1060:
	s_waitcnt vmcnt(0)
	v_and_b32_e32 v0, 0xffff, v3
	global_store_dword v[1:2], v0, off
.LBB23_1061:
	s_mov_b32 s7, 0
.LBB23_1062:
	s_andn2_b32 vcc_lo, exec_lo, s7
	s_cbranch_vccnz .LBB23_1071
; %bb.1063:
	s_sext_i32_i16 s8, s6
	s_mov_b32 s7, -1
	s_cmp_lt_i32 s8, 6
	s_cbranch_scc1 .LBB23_1069
; %bb.1064:
	s_cmp_gt_i32 s8, 6
	s_cbranch_scc0 .LBB23_1066
; %bb.1065:
	s_waitcnt vmcnt(0)
	v_cvt_f32_f16_e32 v0, v3
	s_mov_b32 s7, 0
	v_cvt_f64_f32_e32 v[4:5], v0
	global_store_dwordx2 v[1:2], v[4:5], off
.LBB23_1066:
	s_andn2_b32 vcc_lo, exec_lo, s7
	s_cbranch_vccnz .LBB23_1068
; %bb.1067:
	s_waitcnt vmcnt(0)
	v_cvt_f32_f16_e32 v0, v3
	global_store_dword v[1:2], v0, off
.LBB23_1068:
	s_mov_b32 s7, 0
.LBB23_1069:
	s_andn2_b32 vcc_lo, exec_lo, s7
	s_cbranch_vccnz .LBB23_1071
; %bb.1070:
	s_waitcnt vmcnt(0)
	global_store_short v[1:2], v3, off
.LBB23_1071:
	s_mov_b32 s7, 0
.LBB23_1072:
	s_andn2_b32 vcc_lo, exec_lo, s7
	s_cbranch_vccnz .LBB23_1088
; %bb.1073:
	s_sext_i32_i16 s8, s6
	s_mov_b32 s7, -1
	s_cmp_lt_i32 s8, 2
	s_cbranch_scc1 .LBB23_1083
; %bb.1074:
	s_cmp_lt_i32 s8, 3
	s_cbranch_scc1 .LBB23_1080
; %bb.1075:
	s_cmp_gt_i32 s8, 3
	s_cbranch_scc0 .LBB23_1077
; %bb.1076:
	s_waitcnt vmcnt(0)
	v_cvt_f32_f16_e32 v0, v3
	s_mov_b32 s7, 0
	v_cvt_i32_f32_e32 v4, v0
	v_ashrrev_i32_e32 v5, 31, v4
	global_store_dwordx2 v[1:2], v[4:5], off
.LBB23_1077:
	s_andn2_b32 vcc_lo, exec_lo, s7
	s_cbranch_vccnz .LBB23_1079
; %bb.1078:
	s_waitcnt vmcnt(0)
	v_cvt_f32_f16_e32 v0, v3
	v_cvt_i32_f32_e32 v0, v0
	global_store_dword v[1:2], v0, off
.LBB23_1079:
	s_mov_b32 s7, 0
.LBB23_1080:
	s_andn2_b32 vcc_lo, exec_lo, s7
	s_cbranch_vccnz .LBB23_1082
; %bb.1081:
	s_waitcnt vmcnt(0)
	v_cvt_i16_f16_e32 v0, v3
	global_store_short v[1:2], v0, off
.LBB23_1082:
	s_mov_b32 s7, 0
.LBB23_1083:
	s_andn2_b32 vcc_lo, exec_lo, s7
	s_cbranch_vccnz .LBB23_1088
; %bb.1084:
	s_sext_i32_i16 s6, s6
	s_cmp_gt_i32 s6, 0
	s_mov_b32 s6, -1
	s_cbranch_scc0 .LBB23_1086
; %bb.1085:
	s_waitcnt vmcnt(0)
	v_cvt_i16_f16_e32 v0, v3
	s_mov_b32 s6, 0
	global_store_byte v[1:2], v0, off
.LBB23_1086:
	s_andn2_b32 vcc_lo, exec_lo, s6
	s_cbranch_vccnz .LBB23_1088
; %bb.1087:
	s_waitcnt vmcnt(0)
	v_cvt_f32_f16_e32 v0, v3
	v_cvt_i32_f32_e32 v0, v0
	global_store_byte v[1:2], v0, off
.LBB23_1088:
	s_or_b32 exec_lo, exec_lo, s0
	s_and_b32 s12, s1, exec_lo
                                        ; implicit-def: $vgpr15
                                        ; implicit-def: $vgpr8
.LBB23_1089:
	s_or_saveexec_b32 s13, s28
	s_mov_b32 s0, 0
                                        ; implicit-def: $vgpr0_vgpr1
                                        ; implicit-def: $sgpr6
                                        ; implicit-def: $vgpr2
	s_xor_b32 exec_lo, exec_lo, s13
	s_cbranch_execz .LBB23_2097
; %bb.1090:
	v_cndmask_b32_e64 v0, 0, 1, s27
	s_andn2_b32 vcc_lo, exec_lo, s27
	s_cbranch_vccnz .LBB23_1096
; %bb.1091:
	s_cmp_lg_u32 s24, 0
	s_mov_b32 s8, 0
	s_cbranch_scc0 .LBB23_1097
; %bb.1092:
	s_min_u32 s10, s25, 15
	s_add_i32 s10, s10, 1
	s_cmp_eq_u32 s25, 2
	s_cbranch_scc1 .LBB23_1098
; %bb.1093:
	v_mov_b32_e32 v13, 0
	v_mov_b32_e32 v6, 0
	;; [unrolled: 1-line block ×3, first 2 shown]
	s_and_b32 s9, s10, 28
	s_add_u32 s0, s2, 0xc4
	s_addc_u32 s1, s3, 0
	s_mov_b32 s11, 0
	s_mov_b64 s[6:7], s[2:3]
.LBB23_1094:                            ; =>This Inner Loop Header: Depth=1
	s_clause 0x1
	s_load_dwordx8 s[16:23], s[6:7], 0x4
	s_load_dwordx4 s[28:31], s[6:7], 0x24
	s_load_dwordx8 s[36:43], s[0:1], 0x0
	s_add_u32 s6, s6, 48
	s_addc_u32 s7, s7, 0
	s_add_i32 s11, s11, 4
	s_add_u32 s0, s0, 32
	s_addc_u32 s1, s1, 0
	s_cmp_lg_u32 s9, s11
	s_waitcnt lgkmcnt(0)
	v_mul_hi_u32 v2, s17, v1
	v_add_nc_u32_e32 v2, v1, v2
	v_lshrrev_b32_e32 v2, s18, v2
	s_waitcnt vmcnt(0)
	v_mul_hi_u32 v3, s20, v2
	v_mul_lo_u32 v5, v2, s16
	v_add_nc_u32_e32 v3, v2, v3
	v_sub_nc_u32_e32 v1, v1, v5
	v_lshrrev_b32_e32 v3, s21, v3
	v_mul_lo_u32 v5, v1, s36
	v_mul_lo_u32 v9, v1, s37
	v_mul_hi_u32 v4, s23, v3
	v_add_nc_u32_e32 v4, v3, v4
	v_lshrrev_b32_e32 v4, s28, v4
	v_mul_hi_u32 v7, s30, v4
	v_mul_lo_u32 v10, v4, s22
	v_add_nc_u32_e32 v1, v4, v7
	v_mul_lo_u32 v7, v3, s19
	v_sub_nc_u32_e32 v3, v3, v10
	v_lshrrev_b32_e32 v1, s31, v1
	v_mul_lo_u32 v10, v3, s40
	v_mul_lo_u32 v3, v3, s41
	v_sub_nc_u32_e32 v2, v2, v7
	v_mul_lo_u32 v11, v1, s29
	v_mul_lo_u32 v7, v2, s38
	;; [unrolled: 1-line block ×3, first 2 shown]
	v_sub_nc_u32_e32 v4, v4, v11
	v_add3_u32 v5, v5, v6, v7
	v_mul_lo_u32 v11, v4, s42
	v_mul_lo_u32 v4, v4, s43
	v_add3_u32 v2, v9, v13, v2
	v_add3_u32 v6, v10, v5, v11
	;; [unrolled: 1-line block ×3, first 2 shown]
	s_cbranch_scc1 .LBB23_1094
; %bb.1095:
	s_and_b32 s10, s10, 3
	s_cmp_eq_u32 s10, 0
	s_cbranch_scc0 .LBB23_1099
	s_branch .LBB23_1101
.LBB23_1096:
	s_mov_b32 s8, -1
                                        ; implicit-def: $vgpr6
                                        ; implicit-def: $vgpr13
	s_branch .LBB23_1101
.LBB23_1097:
	v_mov_b32_e32 v6, 0
	v_mov_b32_e32 v13, 0
	s_branch .LBB23_1101
.LBB23_1098:
	v_mov_b32_e32 v6, 0
	v_mov_b32_e32 v13, 0
	;; [unrolled: 1-line block ×3, first 2 shown]
	s_mov_b32 s9, 0
	s_and_b32 s10, s10, 3
	s_cmp_eq_u32 s10, 0
	s_cbranch_scc1 .LBB23_1101
.LBB23_1099:
	s_lshl_b32 s0, s9, 3
	s_mul_i32 s6, s9, 12
	s_add_u32 s0, s2, s0
	s_addc_u32 s1, s3, 0
	s_add_u32 s0, s0, 0xc4
	s_addc_u32 s1, s1, 0
	;; [unrolled: 2-line block ×3, first 2 shown]
	.p2align	6
.LBB23_1100:                            ; =>This Inner Loop Header: Depth=1
	s_clause 0x1
	s_load_dwordx2 s[14:15], s[6:7], 0x4
	s_load_dword s9, s[6:7], 0xc
	s_load_dwordx2 s[16:17], s[0:1], 0x0
	s_add_u32 s6, s6, 12
	s_addc_u32 s7, s7, 0
	s_add_u32 s0, s0, 8
	s_addc_u32 s1, s1, 0
	s_add_i32 s10, s10, -1
	s_cmp_lg_u32 s10, 0
	s_waitcnt lgkmcnt(0)
	v_mul_hi_u32 v2, s15, v1
	v_add_nc_u32_e32 v2, v1, v2
	v_lshrrev_b32_e32 v2, s9, v2
	s_waitcnt vmcnt(0)
	v_mul_lo_u32 v3, v2, s14
	v_sub_nc_u32_e32 v1, v1, v3
	v_mad_u64_u32 v[6:7], null, v1, s16, v[6:7]
	v_mad_u64_u32 v[13:14], null, v1, s17, v[13:14]
	v_mov_b32_e32 v1, v2
	s_cbranch_scc1 .LBB23_1100
.LBB23_1101:
	s_andn2_b32 vcc_lo, exec_lo, s8
	s_cbranch_vccnz .LBB23_1104
; %bb.1102:
	s_clause 0x1
	s_load_dwordx4 s[8:11], s[2:3], 0x4
	s_load_dwordx2 s[0:1], s[2:3], 0xc4
	s_cmp_lt_u32 s24, 2
	s_waitcnt lgkmcnt(0)
	v_mul_hi_u32 v1, s9, v8
	v_add_nc_u32_e32 v1, v8, v1
	v_lshrrev_b32_e32 v1, s10, v1
	v_mul_lo_u32 v2, v1, s8
	v_sub_nc_u32_e32 v2, v8, v2
	v_mul_lo_u32 v6, v2, s0
	v_mul_lo_u32 v13, v2, s1
	s_cbranch_scc1 .LBB23_1104
; %bb.1103:
	s_clause 0x1
	s_load_dwordx4 s[8:11], s[2:3], 0x10
	s_load_dwordx2 s[0:1], s[2:3], 0xcc
	s_waitcnt lgkmcnt(0)
	v_mul_hi_u32 v2, s9, v1
	v_add_nc_u32_e32 v2, v1, v2
	v_lshrrev_b32_e32 v2, s10, v2
	v_mul_lo_u32 v2, v2, s8
	v_sub_nc_u32_e32 v1, v1, v2
	v_mad_u64_u32 v[6:7], null, v1, s0, v[6:7]
	v_mad_u64_u32 v[13:14], null, v1, s1, v[13:14]
.LBB23_1104:
	v_cmp_ne_u32_e32 vcc_lo, 1, v0
	v_add_nc_u32_e32 v1, 0x80, v8
	s_cbranch_vccnz .LBB23_1110
; %bb.1105:
	s_cmp_lg_u32 s24, 0
	s_mov_b32 s8, 0
	s_cbranch_scc0 .LBB23_1111
; %bb.1106:
	s_min_u32 s10, s25, 15
	s_add_i32 s10, s10, 1
	s_cmp_eq_u32 s25, 2
	s_cbranch_scc1 .LBB23_1112
; %bb.1107:
	v_mov_b32_e32 v11, 0
	s_waitcnt vmcnt(0)
	v_mov_b32_e32 v4, 0
	v_mov_b32_e32 v2, v1
	s_and_b32 s9, s10, 28
	s_add_u32 s0, s2, 0xc4
	s_addc_u32 s1, s3, 0
	s_mov_b32 s11, 0
	s_mov_b64 s[6:7], s[2:3]
.LBB23_1108:                            ; =>This Inner Loop Header: Depth=1
	s_clause 0x1
	s_load_dwordx8 s[16:23], s[6:7], 0x4
	s_load_dwordx4 s[28:31], s[6:7], 0x24
	s_load_dwordx8 s[36:43], s[0:1], 0x0
	s_add_u32 s6, s6, 48
	s_addc_u32 s7, s7, 0
	s_add_i32 s11, s11, 4
	s_add_u32 s0, s0, 32
	s_addc_u32 s1, s1, 0
	s_cmp_lg_u32 s9, s11
	s_waitcnt lgkmcnt(0)
	v_mul_hi_u32 v3, s17, v2
	v_add_nc_u32_e32 v3, v2, v3
	v_lshrrev_b32_e32 v3, s18, v3
	v_mul_hi_u32 v5, s20, v3
	v_mul_lo_u32 v9, v3, s16
	v_add_nc_u32_e32 v5, v3, v5
	v_sub_nc_u32_e32 v2, v2, v9
	v_lshrrev_b32_e32 v5, s21, v5
	v_mul_lo_u32 v9, v2, s36
	v_mul_lo_u32 v12, v2, s37
	v_mul_hi_u32 v7, s23, v5
	v_add_nc_u32_e32 v7, v5, v7
	v_lshrrev_b32_e32 v7, s28, v7
	v_mul_hi_u32 v10, s30, v7
	v_mul_lo_u32 v14, v7, s22
	v_add_nc_u32_e32 v2, v7, v10
	v_mul_lo_u32 v10, v5, s19
	v_sub_nc_u32_e32 v5, v5, v14
	v_lshrrev_b32_e32 v2, s31, v2
	v_mul_lo_u32 v14, v5, s40
	v_mul_lo_u32 v5, v5, s41
	v_sub_nc_u32_e32 v3, v3, v10
	v_mul_lo_u32 v16, v2, s29
	v_mul_lo_u32 v10, v3, s38
	;; [unrolled: 1-line block ×3, first 2 shown]
	v_sub_nc_u32_e32 v7, v7, v16
	v_add3_u32 v4, v9, v4, v10
	v_mul_lo_u32 v16, v7, s42
	v_mul_lo_u32 v7, v7, s43
	v_add3_u32 v3, v12, v11, v3
	v_add3_u32 v4, v14, v4, v16
	;; [unrolled: 1-line block ×3, first 2 shown]
	s_cbranch_scc1 .LBB23_1108
; %bb.1109:
	s_and_b32 s10, s10, 3
	s_cmp_eq_u32 s10, 0
	s_cbranch_scc0 .LBB23_1113
	s_branch .LBB23_1115
.LBB23_1110:
	s_mov_b32 s8, -1
                                        ; implicit-def: $vgpr4
                                        ; implicit-def: $vgpr11
	s_branch .LBB23_1115
.LBB23_1111:
	s_waitcnt vmcnt(0)
	v_mov_b32_e32 v4, 0
	v_mov_b32_e32 v11, 0
	s_branch .LBB23_1115
.LBB23_1112:
	s_waitcnt vmcnt(0)
	v_mov_b32_e32 v4, 0
	v_mov_b32_e32 v11, 0
	v_mov_b32_e32 v2, v1
	s_mov_b32 s9, 0
	s_and_b32 s10, s10, 3
	s_cmp_eq_u32 s10, 0
	s_cbranch_scc1 .LBB23_1115
.LBB23_1113:
	s_lshl_b32 s0, s9, 3
	s_mul_i32 s6, s9, 12
	s_add_u32 s0, s2, s0
	s_addc_u32 s1, s3, 0
	s_add_u32 s0, s0, 0xc4
	s_addc_u32 s1, s1, 0
	;; [unrolled: 2-line block ×3, first 2 shown]
	.p2align	6
.LBB23_1114:                            ; =>This Inner Loop Header: Depth=1
	s_clause 0x1
	s_load_dwordx2 s[14:15], s[6:7], 0x4
	s_load_dword s9, s[6:7], 0xc
	s_load_dwordx2 s[16:17], s[0:1], 0x0
	s_add_u32 s6, s6, 12
	s_addc_u32 s7, s7, 0
	s_add_u32 s0, s0, 8
	s_addc_u32 s1, s1, 0
	s_add_i32 s10, s10, -1
	s_cmp_lg_u32 s10, 0
	s_waitcnt lgkmcnt(0)
	v_mul_hi_u32 v3, s15, v2
	v_add_nc_u32_e32 v3, v2, v3
	v_lshrrev_b32_e32 v3, s9, v3
	v_mul_lo_u32 v5, v3, s14
	v_sub_nc_u32_e32 v2, v2, v5
	v_mad_u64_u32 v[4:5], null, v2, s16, v[4:5]
	v_mad_u64_u32 v[11:12], null, v2, s17, v[11:12]
	v_mov_b32_e32 v2, v3
	s_cbranch_scc1 .LBB23_1114
.LBB23_1115:
	s_andn2_b32 vcc_lo, exec_lo, s8
	s_cbranch_vccnz .LBB23_1118
; %bb.1116:
	s_clause 0x1
	s_load_dwordx4 s[8:11], s[2:3], 0x4
	s_load_dwordx2 s[0:1], s[2:3], 0xc4
	s_cmp_lt_u32 s24, 2
	s_waitcnt lgkmcnt(0)
	v_mul_hi_u32 v2, s9, v1
	v_add_nc_u32_e32 v2, v1, v2
	v_lshrrev_b32_e32 v2, s10, v2
	s_waitcnt vmcnt(0)
	v_mul_lo_u32 v3, v2, s8
	v_sub_nc_u32_e32 v1, v1, v3
	v_mul_lo_u32 v4, v1, s0
	v_mul_lo_u32 v11, v1, s1
	s_cbranch_scc1 .LBB23_1118
; %bb.1117:
	s_clause 0x1
	s_load_dwordx4 s[8:11], s[2:3], 0x10
	s_load_dwordx2 s[0:1], s[2:3], 0xcc
	s_waitcnt lgkmcnt(0)
	v_mul_hi_u32 v1, s9, v2
	v_add_nc_u32_e32 v1, v2, v1
	v_lshrrev_b32_e32 v1, s10, v1
	v_mul_lo_u32 v1, v1, s8
	v_sub_nc_u32_e32 v1, v2, v1
	v_mad_u64_u32 v[4:5], null, v1, s0, v[4:5]
	v_mad_u64_u32 v[11:12], null, v1, s1, v[11:12]
.LBB23_1118:
	v_cmp_ne_u32_e32 vcc_lo, 1, v0
	v_add_nc_u32_e32 v1, 0x100, v8
	s_cbranch_vccnz .LBB23_1124
; %bb.1119:
	s_cmp_lg_u32 s24, 0
	s_mov_b32 s8, 0
	s_cbranch_scc0 .LBB23_1125
; %bb.1120:
	s_min_u32 s10, s25, 15
	s_add_i32 s10, s10, 1
	s_cmp_eq_u32 s25, 2
	s_cbranch_scc1 .LBB23_1126
; %bb.1121:
	v_mov_b32_e32 v9, 0
	v_mov_b32_e32 v2, 0
	s_waitcnt vmcnt(0)
	v_mov_b32_e32 v3, v1
	s_and_b32 s9, s10, 28
	s_add_u32 s0, s2, 0xc4
	s_addc_u32 s1, s3, 0
	s_mov_b32 s11, 0
	s_mov_b64 s[6:7], s[2:3]
.LBB23_1122:                            ; =>This Inner Loop Header: Depth=1
	s_clause 0x1
	s_load_dwordx8 s[16:23], s[6:7], 0x4
	s_load_dwordx4 s[28:31], s[6:7], 0x24
	s_load_dwordx8 s[36:43], s[0:1], 0x0
	s_add_u32 s6, s6, 48
	s_addc_u32 s7, s7, 0
	s_add_i32 s11, s11, 4
	s_add_u32 s0, s0, 32
	s_addc_u32 s1, s1, 0
	s_cmp_lg_u32 s9, s11
	s_waitcnt lgkmcnt(0)
	v_mul_hi_u32 v5, s17, v3
	v_add_nc_u32_e32 v5, v3, v5
	v_lshrrev_b32_e32 v5, s18, v5
	v_mul_hi_u32 v7, s20, v5
	v_mul_lo_u32 v10, v5, s16
	v_add_nc_u32_e32 v7, v5, v7
	v_sub_nc_u32_e32 v3, v3, v10
	v_lshrrev_b32_e32 v7, s21, v7
	v_mul_lo_u32 v10, v3, s36
	v_mul_lo_u32 v14, v3, s37
	v_mul_hi_u32 v8, s23, v7
	v_add_nc_u32_e32 v8, v7, v8
	v_lshrrev_b32_e32 v8, s28, v8
	v_mul_hi_u32 v12, s30, v8
	v_mul_lo_u32 v16, v8, s22
	v_add_nc_u32_e32 v3, v8, v12
	v_mul_lo_u32 v12, v7, s19
	v_sub_nc_u32_e32 v7, v7, v16
	v_lshrrev_b32_e32 v3, s31, v3
	v_mul_lo_u32 v16, v7, s40
	v_mul_lo_u32 v7, v7, s41
	v_sub_nc_u32_e32 v5, v5, v12
	v_mul_lo_u32 v17, v3, s29
	v_mul_lo_u32 v12, v5, s38
	;; [unrolled: 1-line block ×3, first 2 shown]
	v_sub_nc_u32_e32 v8, v8, v17
	v_add3_u32 v2, v10, v2, v12
	v_mul_lo_u32 v17, v8, s42
	v_mul_lo_u32 v8, v8, s43
	v_add3_u32 v5, v14, v9, v5
	v_add3_u32 v2, v16, v2, v17
	;; [unrolled: 1-line block ×3, first 2 shown]
	s_cbranch_scc1 .LBB23_1122
; %bb.1123:
	s_and_b32 s10, s10, 3
	s_cmp_eq_u32 s10, 0
	s_cbranch_scc0 .LBB23_1127
	s_branch .LBB23_1129
.LBB23_1124:
	s_mov_b32 s8, -1
                                        ; implicit-def: $vgpr2
                                        ; implicit-def: $vgpr9
	s_branch .LBB23_1129
.LBB23_1125:
	v_mov_b32_e32 v2, 0
	v_mov_b32_e32 v9, 0
	s_branch .LBB23_1129
.LBB23_1126:
	v_mov_b32_e32 v2, 0
	v_mov_b32_e32 v9, 0
	s_waitcnt vmcnt(0)
	v_mov_b32_e32 v3, v1
	s_mov_b32 s9, 0
	s_and_b32 s10, s10, 3
	s_cmp_eq_u32 s10, 0
	s_cbranch_scc1 .LBB23_1129
.LBB23_1127:
	s_lshl_b32 s0, s9, 3
	s_mul_i32 s6, s9, 12
	s_add_u32 s0, s2, s0
	s_addc_u32 s1, s3, 0
	s_add_u32 s0, s0, 0xc4
	s_addc_u32 s1, s1, 0
	;; [unrolled: 2-line block ×3, first 2 shown]
	.p2align	6
.LBB23_1128:                            ; =>This Inner Loop Header: Depth=1
	s_clause 0x1
	s_load_dwordx2 s[14:15], s[6:7], 0x4
	s_load_dword s9, s[6:7], 0xc
	s_load_dwordx2 s[16:17], s[0:1], 0x0
	s_add_u32 s6, s6, 12
	s_addc_u32 s7, s7, 0
	s_add_u32 s0, s0, 8
	s_addc_u32 s1, s1, 0
	s_add_i32 s10, s10, -1
	s_cmp_lg_u32 s10, 0
	s_waitcnt lgkmcnt(0)
	v_mul_hi_u32 v5, s15, v3
	v_add_nc_u32_e32 v5, v3, v5
	v_lshrrev_b32_e32 v5, s9, v5
	v_mul_lo_u32 v7, v5, s14
	v_sub_nc_u32_e32 v7, v3, v7
	v_mad_u64_u32 v[2:3], null, v7, s16, v[2:3]
	v_mad_u64_u32 v[9:10], null, v7, s17, v[9:10]
	v_mov_b32_e32 v3, v5
	s_cbranch_scc1 .LBB23_1128
.LBB23_1129:
	s_andn2_b32 vcc_lo, exec_lo, s8
	s_cbranch_vccnz .LBB23_1132
; %bb.1130:
	s_clause 0x1
	s_load_dwordx4 s[8:11], s[2:3], 0x4
	s_load_dwordx2 s[0:1], s[2:3], 0xc4
	s_cmp_lt_u32 s24, 2
	s_waitcnt lgkmcnt(0)
	v_mul_hi_u32 v2, s9, v1
	v_add_nc_u32_e32 v2, v1, v2
	s_waitcnt vmcnt(0)
	v_lshrrev_b32_e32 v3, s10, v2
	v_mul_lo_u32 v2, v3, s8
	v_sub_nc_u32_e32 v1, v1, v2
	v_mul_lo_u32 v2, v1, s0
	v_mul_lo_u32 v9, v1, s1
	s_cbranch_scc1 .LBB23_1132
; %bb.1131:
	s_clause 0x1
	s_load_dwordx4 s[8:11], s[2:3], 0x10
	s_load_dwordx2 s[0:1], s[2:3], 0xcc
	s_waitcnt lgkmcnt(0)
	v_mul_hi_u32 v1, s9, v3
	v_add_nc_u32_e32 v1, v3, v1
	v_lshrrev_b32_e32 v1, s10, v1
	v_mul_lo_u32 v1, v1, s8
	v_sub_nc_u32_e32 v1, v3, v1
	v_mad_u64_u32 v[2:3], null, v1, s0, v[2:3]
	v_mad_u64_u32 v[9:10], null, v1, s1, v[9:10]
.LBB23_1132:
	v_cmp_ne_u32_e32 vcc_lo, 1, v0
	s_cbranch_vccnz .LBB23_1138
; %bb.1133:
	s_cmp_lg_u32 s24, 0
	s_mov_b32 s8, 0
	s_cbranch_scc0 .LBB23_1139
; %bb.1134:
	s_min_u32 s10, s25, 15
	s_add_i32 s10, s10, 1
	s_cmp_eq_u32 s25, 2
	s_cbranch_scc1 .LBB23_1140
; %bb.1135:
	v_mov_b32_e32 v7, 0
	v_mov_b32_e32 v0, 0
	;; [unrolled: 1-line block ×3, first 2 shown]
	s_and_b32 s9, s10, 28
	s_add_u32 s0, s2, 0xc4
	s_addc_u32 s1, s3, 0
	s_mov_b32 s11, 0
	s_mov_b64 s[6:7], s[2:3]
.LBB23_1136:                            ; =>This Inner Loop Header: Depth=1
	s_clause 0x1
	s_load_dwordx8 s[16:23], s[6:7], 0x4
	s_load_dwordx4 s[28:31], s[6:7], 0x24
	s_load_dwordx8 s[36:43], s[0:1], 0x0
	s_add_u32 s6, s6, 48
	s_addc_u32 s7, s7, 0
	s_add_i32 s11, s11, 4
	s_add_u32 s0, s0, 32
	s_addc_u32 s1, s1, 0
	s_cmp_lg_u32 s9, s11
	s_waitcnt vmcnt(0) lgkmcnt(0)
	v_mul_hi_u32 v3, s17, v1
	v_add_nc_u32_e32 v3, v1, v3
	v_lshrrev_b32_e32 v3, s18, v3
	v_mul_hi_u32 v5, s20, v3
	v_mul_lo_u32 v10, v3, s16
	v_add_nc_u32_e32 v5, v3, v5
	v_sub_nc_u32_e32 v1, v1, v10
	v_lshrrev_b32_e32 v5, s21, v5
	v_mul_lo_u32 v10, v1, s36
	v_mul_lo_u32 v14, v1, s37
	v_mul_hi_u32 v8, s23, v5
	v_add_nc_u32_e32 v8, v5, v8
	v_lshrrev_b32_e32 v8, s28, v8
	v_mul_hi_u32 v12, s30, v8
	v_mul_lo_u32 v16, v8, s22
	v_add_nc_u32_e32 v1, v8, v12
	v_mul_lo_u32 v12, v5, s19
	v_sub_nc_u32_e32 v5, v5, v16
	v_lshrrev_b32_e32 v1, s31, v1
	v_mul_lo_u32 v16, v5, s40
	v_mul_lo_u32 v5, v5, s41
	v_sub_nc_u32_e32 v3, v3, v12
	v_mul_lo_u32 v17, v1, s29
	v_mul_lo_u32 v12, v3, s38
	;; [unrolled: 1-line block ×3, first 2 shown]
	v_sub_nc_u32_e32 v8, v8, v17
	v_add3_u32 v0, v10, v0, v12
	v_mul_lo_u32 v17, v8, s42
	v_mul_lo_u32 v8, v8, s43
	v_add3_u32 v3, v14, v7, v3
	v_add3_u32 v0, v16, v0, v17
	;; [unrolled: 1-line block ×3, first 2 shown]
	s_cbranch_scc1 .LBB23_1136
; %bb.1137:
	s_and_b32 s10, s10, 3
	s_cmp_eq_u32 s10, 0
	s_cbranch_scc0 .LBB23_1141
	s_branch .LBB23_1143
.LBB23_1138:
	s_mov_b32 s8, -1
                                        ; implicit-def: $vgpr0
                                        ; implicit-def: $vgpr7
	s_branch .LBB23_1143
.LBB23_1139:
	v_mov_b32_e32 v0, 0
	v_mov_b32_e32 v7, 0
	s_branch .LBB23_1143
.LBB23_1140:
	v_mov_b32_e32 v0, 0
	v_mov_b32_e32 v7, 0
	;; [unrolled: 1-line block ×3, first 2 shown]
	s_mov_b32 s9, 0
	s_and_b32 s10, s10, 3
	s_cmp_eq_u32 s10, 0
	s_cbranch_scc1 .LBB23_1143
.LBB23_1141:
	s_lshl_b32 s0, s9, 3
	s_mul_i32 s6, s9, 12
	s_add_u32 s0, s2, s0
	s_addc_u32 s1, s3, 0
	s_add_u32 s0, s0, 0xc4
	s_addc_u32 s1, s1, 0
	;; [unrolled: 2-line block ×3, first 2 shown]
	.p2align	6
.LBB23_1142:                            ; =>This Inner Loop Header: Depth=1
	s_clause 0x1
	s_load_dwordx2 s[14:15], s[6:7], 0x4
	s_load_dword s9, s[6:7], 0xc
	s_load_dwordx2 s[16:17], s[0:1], 0x0
	s_add_u32 s6, s6, 12
	s_addc_u32 s7, s7, 0
	s_add_u32 s0, s0, 8
	s_addc_u32 s1, s1, 0
	s_add_i32 s10, s10, -1
	s_cmp_lg_u32 s10, 0
	s_waitcnt vmcnt(0) lgkmcnt(0)
	v_mul_hi_u32 v3, s15, v1
	v_add_nc_u32_e32 v3, v1, v3
	v_lshrrev_b32_e32 v3, s9, v3
	v_mul_lo_u32 v5, v3, s14
	v_sub_nc_u32_e32 v5, v1, v5
	v_mad_u64_u32 v[0:1], null, v5, s16, v[0:1]
	v_mad_u64_u32 v[7:8], null, v5, s17, v[7:8]
	v_mov_b32_e32 v1, v3
	s_cbranch_scc1 .LBB23_1142
.LBB23_1143:
	s_andn2_b32 vcc_lo, exec_lo, s8
	s_cbranch_vccnz .LBB23_1146
; %bb.1144:
	s_clause 0x1
	s_load_dwordx4 s[8:11], s[2:3], 0x4
	s_load_dwordx2 s[0:1], s[2:3], 0xc4
	s_cmp_lt_u32 s24, 2
	s_waitcnt lgkmcnt(0)
	v_mul_hi_u32 v0, s9, v15
	v_add_nc_u32_e32 v0, v15, v0
	v_lshrrev_b32_e32 v1, s10, v0
	v_mul_lo_u32 v0, v1, s8
	s_waitcnt vmcnt(0)
	v_sub_nc_u32_e32 v3, v15, v0
	v_mul_lo_u32 v0, v3, s0
	v_mul_lo_u32 v7, v3, s1
	s_cbranch_scc1 .LBB23_1146
; %bb.1145:
	s_clause 0x1
	s_load_dwordx4 s[8:11], s[2:3], 0x10
	s_load_dwordx2 s[0:1], s[2:3], 0xcc
	s_waitcnt lgkmcnt(0)
	v_mul_hi_u32 v3, s9, v1
	v_add_nc_u32_e32 v3, v1, v3
	v_lshrrev_b32_e32 v3, s10, v3
	v_mul_lo_u32 v3, v3, s8
	v_sub_nc_u32_e32 v3, v1, v3
	v_mad_u64_u32 v[0:1], null, v3, s0, v[0:1]
	v_mad_u64_u32 v[7:8], null, v3, s1, v[7:8]
.LBB23_1146:
	s_clause 0x1
	s_load_dwordx4 s[8:11], s[2:3], 0x148
	s_load_dword s2, s[4:5], 0x160
	s_waitcnt lgkmcnt(0)
	v_add_co_u32 v12, s0, s10, v13
	v_add_co_ci_u32_e64 v13, null, s11, 0, s0
	s_bfe_u32 s0, s2, 0x80010
	s_cmp_lt_i32 s0, 11
	s_cbranch_scc1 .LBB23_1153
; %bb.1147:
	s_and_b32 s1, 0xffff, s0
	s_mov_b32 s4, 0
	s_cmp_gt_i32 s1, 25
	s_cbranch_scc0 .LBB23_1155
; %bb.1148:
	s_cmp_gt_i32 s1, 28
	s_cbranch_scc0 .LBB23_1156
; %bb.1149:
	;; [unrolled: 3-line block ×4, first 2 shown]
	s_cmp_eq_u32 s1, 46
	s_mov_b32 s6, 0
	s_cbranch_scc0 .LBB23_1161
; %bb.1152:
	global_load_dword v1, v[12:13], off
	s_mov_b32 s3, 0
	s_mov_b32 s5, -1
	s_waitcnt vmcnt(0)
	v_lshlrev_b32_e32 v1, 16, v1
	v_cvt_f16_f32_e32 v1, v1
	s_branch .LBB23_1163
.LBB23_1153:
	s_mov_b32 s5, 0
	s_mov_b32 s1, s12
                                        ; implicit-def: $vgpr1
	s_cbranch_execnz .LBB23_1226
.LBB23_1154:
	s_andn2_b32 vcc_lo, exec_lo, s5
	s_cbranch_vccz .LBB23_1271
	s_branch .LBB23_2095
.LBB23_1155:
	s_mov_b32 s5, 0
	s_mov_b32 s3, 0
                                        ; implicit-def: $vgpr1
	s_cbranch_execnz .LBB23_1191
	s_branch .LBB23_1222
.LBB23_1156:
	s_mov_b32 s6, -1
	s_mov_b32 s5, 0
	s_mov_b32 s3, 0
                                        ; implicit-def: $vgpr1
	s_branch .LBB23_1172
.LBB23_1157:
	s_mov_b32 s5, 0
	s_mov_b32 s3, 0
                                        ; implicit-def: $vgpr1
	s_cbranch_execnz .LBB23_1168
	s_branch .LBB23_1171
.LBB23_1158:
	s_mov_b32 s6, -1
	s_mov_b32 s5, 0
	s_mov_b32 s3, 0
	s_branch .LBB23_1162
.LBB23_1159:
	s_andn2_saveexec_b32 s11, s11
	s_cbranch_execz .LBB23_1002
.LBB23_1160:
	v_add_f32_e64 v4, 0x46000000, |v0|
	s_andn2_b32 s10, s10, exec_lo
	v_and_b32_e32 v4, 0xff, v4
	v_cmp_ne_u32_e32 vcc_lo, 0, v4
	s_and_b32 s12, vcc_lo, exec_lo
	s_or_b32 s10, s10, s12
	s_or_b32 exec_lo, exec_lo, s11
	v_mov_b32_e32 v5, 0
	s_and_saveexec_b32 s11, s10
	s_cbranch_execnz .LBB23_1003
	s_branch .LBB23_1004
.LBB23_1161:
	s_mov_b32 s3, -1
	s_mov_b32 s5, 0
.LBB23_1162:
                                        ; implicit-def: $vgpr1
.LBB23_1163:
	s_and_b32 vcc_lo, exec_lo, s6
	s_cbranch_vccz .LBB23_1166
; %bb.1164:
	s_cmp_eq_u32 s1, 44
	s_cbranch_scc0 .LBB23_1167
; %bb.1165:
	global_load_ubyte v1, v[12:13], off
	s_mov_b32 s3, 0
	s_mov_b32 s5, -1
	s_waitcnt vmcnt(0)
	v_lshlrev_b32_e32 v3, 23, v1
	v_cmp_ne_u32_e32 vcc_lo, 0xff, v1
	v_cvt_f16_f32_e32 v3, v3
	v_cndmask_b32_e32 v3, 0x7e00, v3, vcc_lo
	v_cmp_ne_u32_e32 vcc_lo, 0, v1
	v_cndmask_b32_e32 v1, 0, v3, vcc_lo
.LBB23_1166:
	s_branch .LBB23_1171
.LBB23_1167:
	s_mov_b32 s3, -1
                                        ; implicit-def: $vgpr1
	s_branch .LBB23_1171
.LBB23_1168:
	s_cmp_eq_u32 s1, 29
	s_cbranch_scc0 .LBB23_1170
; %bb.1169:
	global_load_dwordx2 v[14:15], v[12:13], off
	s_mov_b32 s3, 0
	s_mov_b32 s5, -1
	s_mov_b32 s6, 0
	s_waitcnt vmcnt(0)
	v_ffbh_u32_e32 v1, v15
	v_min_u32_e32 v1, 32, v1
	v_lshlrev_b64 v[14:15], v1, v[14:15]
	v_sub_nc_u32_e32 v1, 32, v1
	v_min_u32_e32 v3, 1, v14
	v_or_b32_e32 v3, v15, v3
	v_cvt_f32_u32_e32 v3, v3
	v_ldexp_f32 v1, v3, v1
	v_cvt_f16_f32_e32 v1, v1
	s_branch .LBB23_1172
.LBB23_1170:
	s_mov_b32 s3, -1
                                        ; implicit-def: $vgpr1
.LBB23_1171:
	s_mov_b32 s6, 0
.LBB23_1172:
	s_and_b32 vcc_lo, exec_lo, s6
	s_cbranch_vccz .LBB23_1190
; %bb.1173:
	s_cmp_lt_i32 s1, 27
	s_cbranch_scc1 .LBB23_1176
; %bb.1174:
	s_cmp_gt_i32 s1, 27
	s_cbranch_scc0 .LBB23_1177
; %bb.1175:
	global_load_dword v1, v[12:13], off
	s_mov_b32 s5, 0
	s_waitcnt vmcnt(0)
	v_cvt_f32_u32_e32 v1, v1
	v_cvt_f16_f32_e32 v1, v1
	s_branch .LBB23_1178
.LBB23_1176:
	s_mov_b32 s5, -1
                                        ; implicit-def: $vgpr1
	s_branch .LBB23_1181
.LBB23_1177:
	s_mov_b32 s5, -1
                                        ; implicit-def: $vgpr1
.LBB23_1178:
	s_andn2_b32 vcc_lo, exec_lo, s5
	s_cbranch_vccnz .LBB23_1180
; %bb.1179:
	global_load_ushort v1, v[12:13], off
	s_waitcnt vmcnt(0)
	v_cvt_f16_u16_e32 v1, v1
.LBB23_1180:
	s_mov_b32 s5, 0
.LBB23_1181:
	s_andn2_b32 vcc_lo, exec_lo, s5
	s_cbranch_vccnz .LBB23_1189
; %bb.1182:
	global_load_ubyte v3, v[12:13], off
	s_mov_b32 s5, 0
	s_mov_b32 s6, exec_lo
	s_waitcnt vmcnt(0)
	v_cmpx_lt_i16_e32 0x7f, v3
	s_xor_b32 s6, exec_lo, s6
	s_cbranch_execz .LBB23_1202
; %bb.1183:
	s_mov_b32 s5, -1
	s_mov_b32 s7, exec_lo
	v_cmpx_eq_u16_e32 0x80, v3
; %bb.1184:
	s_xor_b32 s5, exec_lo, -1
; %bb.1185:
	s_or_b32 exec_lo, exec_lo, s7
	s_and_b32 s5, s5, exec_lo
	s_or_saveexec_b32 s6, s6
	v_mov_b32_e32 v1, 0x7e00
	s_xor_b32 exec_lo, exec_lo, s6
	s_cbranch_execnz .LBB23_1203
.LBB23_1186:
	s_or_b32 exec_lo, exec_lo, s6
	s_and_saveexec_b32 s6, s5
	s_cbranch_execz .LBB23_1188
.LBB23_1187:
	v_and_b32_e32 v1, 0xffff, v3
	v_lshlrev_b32_e32 v3, 24, v3
	v_and_b32_e32 v5, 7, v1
	v_bfe_u32 v14, v1, 3, 4
	v_and_b32_e32 v3, 0x80000000, v3
	v_ffbh_u32_e32 v8, v5
	v_cmp_eq_u32_e32 vcc_lo, 0, v14
	v_min_u32_e32 v8, 32, v8
	v_subrev_nc_u32_e32 v10, 28, v8
	v_sub_nc_u32_e32 v8, 29, v8
	v_lshlrev_b32_e32 v1, v10, v1
	v_cndmask_b32_e32 v8, v14, v8, vcc_lo
	v_and_b32_e32 v1, 7, v1
	v_cndmask_b32_e32 v1, v5, v1, vcc_lo
	v_lshl_add_u32 v5, v8, 23, 0x3b800000
	v_lshlrev_b32_e32 v1, 20, v1
	v_or3_b32 v1, v3, v5, v1
	v_cvt_f16_f32_e32 v1, v1
.LBB23_1188:
	s_or_b32 exec_lo, exec_lo, s6
.LBB23_1189:
	s_mov_b32 s5, -1
.LBB23_1190:
	s_branch .LBB23_1222
.LBB23_1191:
	s_cmp_gt_i32 s1, 22
	s_cbranch_scc0 .LBB23_1201
; %bb.1192:
	s_cmp_lt_i32 s1, 24
	s_cbranch_scc1 .LBB23_1204
; %bb.1193:
	s_cmp_gt_i32 s1, 24
	s_cbranch_scc0 .LBB23_1205
; %bb.1194:
	global_load_ubyte v3, v[12:13], off
	s_mov_b32 s5, exec_lo
	s_waitcnt vmcnt(0)
	v_cmpx_lt_i16_e32 0x7f, v3
	s_xor_b32 s5, exec_lo, s5
	s_cbranch_execz .LBB23_1216
; %bb.1195:
	s_mov_b32 s4, -1
	s_mov_b32 s6, exec_lo
	v_cmpx_eq_u16_e32 0x80, v3
; %bb.1196:
	s_xor_b32 s4, exec_lo, -1
; %bb.1197:
	s_or_b32 exec_lo, exec_lo, s6
	s_and_b32 s4, s4, exec_lo
	s_or_saveexec_b32 s5, s5
	v_mov_b32_e32 v1, 0x7e00
	s_xor_b32 exec_lo, exec_lo, s5
	s_cbranch_execnz .LBB23_1217
.LBB23_1198:
	s_or_b32 exec_lo, exec_lo, s5
	s_and_saveexec_b32 s5, s4
	s_cbranch_execz .LBB23_1200
.LBB23_1199:
	v_and_b32_e32 v1, 0xffff, v3
	v_lshlrev_b32_e32 v3, 24, v3
	v_and_b32_e32 v5, 3, v1
	v_bfe_u32 v14, v1, 2, 5
	v_and_b32_e32 v3, 0x80000000, v3
	v_ffbh_u32_e32 v8, v5
	v_cmp_eq_u32_e32 vcc_lo, 0, v14
	v_min_u32_e32 v8, 32, v8
	v_subrev_nc_u32_e32 v10, 29, v8
	v_sub_nc_u32_e32 v8, 30, v8
	v_lshlrev_b32_e32 v1, v10, v1
	v_cndmask_b32_e32 v8, v14, v8, vcc_lo
	v_and_b32_e32 v1, 3, v1
	v_cndmask_b32_e32 v1, v5, v1, vcc_lo
	v_lshl_add_u32 v5, v8, 23, 0x37800000
	v_lshlrev_b32_e32 v1, 21, v1
	v_or3_b32 v1, v3, v5, v1
	v_cvt_f16_f32_e32 v1, v1
.LBB23_1200:
	s_or_b32 exec_lo, exec_lo, s5
	s_mov_b32 s4, 0
	s_branch .LBB23_1206
.LBB23_1201:
                                        ; implicit-def: $vgpr1
	s_mov_b32 s4, 0
	s_branch .LBB23_1212
.LBB23_1202:
	s_or_saveexec_b32 s6, s6
	v_mov_b32_e32 v1, 0x7e00
	s_xor_b32 exec_lo, exec_lo, s6
	s_cbranch_execz .LBB23_1186
.LBB23_1203:
	v_cmp_ne_u16_e32 vcc_lo, 0, v3
	v_mov_b32_e32 v1, v3
	s_andn2_b32 s5, s5, exec_lo
	s_and_b32 s7, vcc_lo, exec_lo
	s_or_b32 s5, s5, s7
	s_or_b32 exec_lo, exec_lo, s6
	s_and_saveexec_b32 s6, s5
	s_cbranch_execnz .LBB23_1187
	s_branch .LBB23_1188
.LBB23_1204:
	s_mov_b32 s4, -1
                                        ; implicit-def: $vgpr1
	s_branch .LBB23_1209
.LBB23_1205:
	s_mov_b32 s4, -1
                                        ; implicit-def: $vgpr1
.LBB23_1206:
	s_and_b32 vcc_lo, exec_lo, s4
	s_cbranch_vccz .LBB23_1208
; %bb.1207:
	global_load_ubyte v1, v[12:13], off
	s_waitcnt vmcnt(0)
	v_lshlrev_b32_e32 v1, 24, v1
	v_and_b32_e32 v3, 0x7f000000, v1
	v_ffbh_u32_e32 v5, v3
	v_add_nc_u32_e32 v10, 0x1000000, v3
	v_cmp_ne_u32_e32 vcc_lo, 0, v3
	v_min_u32_e32 v5, 32, v5
	v_sub_nc_u32_e64 v5, v5, 4 clamp
	v_lshlrev_b32_e32 v8, v5, v3
	v_lshlrev_b32_e32 v5, 23, v5
	v_lshrrev_b32_e32 v8, 4, v8
	v_sub_nc_u32_e32 v5, v8, v5
	v_ashrrev_i32_e32 v8, 8, v10
	v_add_nc_u32_e32 v5, 0x3c000000, v5
	v_and_or_b32 v5, 0x7f800000, v8, v5
	v_cndmask_b32_e32 v3, 0, v5, vcc_lo
	v_and_or_b32 v1, 0x80000000, v1, v3
	v_cvt_f16_f32_e32 v1, v1
.LBB23_1208:
	s_mov_b32 s4, 0
.LBB23_1209:
	s_andn2_b32 vcc_lo, exec_lo, s4
	s_cbranch_vccnz .LBB23_1211
; %bb.1210:
	global_load_ubyte v1, v[12:13], off
	s_waitcnt vmcnt(0)
	v_lshlrev_b32_e32 v3, 25, v1
	v_lshlrev_b16 v1, 8, v1
	v_lshrrev_b32_e32 v5, 4, v3
	v_and_or_b32 v8, 0x7f00, v1, 0.5
	v_cmp_gt_u32_e32 vcc_lo, 0x8000000, v3
	v_bfe_i32 v1, v1, 0, 16
	v_or_b32_e32 v5, 0x70000000, v5
	v_add_f32_e32 v8, -0.5, v8
	v_mul_f32_e32 v5, 0x7800000, v5
	v_cndmask_b32_e32 v3, v5, v8, vcc_lo
	v_and_or_b32 v1, 0x80000000, v1, v3
	v_cvt_f16_f32_e32 v1, v1
.LBB23_1211:
	s_mov_b32 s5, -1
	s_mov_b32 s4, 0
	s_cbranch_execnz .LBB23_1222
.LBB23_1212:
	s_cmp_gt_i32 s1, 14
	s_cbranch_scc0 .LBB23_1215
; %bb.1213:
	s_cmp_eq_u32 s1, 15
	s_cbranch_scc0 .LBB23_1218
; %bb.1214:
	global_load_ushort v1, v[12:13], off
	s_mov_b32 s3, 0
	s_mov_b32 s5, -1
	s_waitcnt vmcnt(0)
	v_lshlrev_b32_e32 v1, 16, v1
	v_cvt_f16_f32_e32 v1, v1
	s_branch .LBB23_1220
.LBB23_1215:
	s_mov_b32 s4, -1
	s_branch .LBB23_1219
.LBB23_1216:
	s_or_saveexec_b32 s5, s5
	v_mov_b32_e32 v1, 0x7e00
	s_xor_b32 exec_lo, exec_lo, s5
	s_cbranch_execz .LBB23_1198
.LBB23_1217:
	v_cmp_ne_u16_e32 vcc_lo, 0, v3
	v_mov_b32_e32 v1, v3
	s_andn2_b32 s4, s4, exec_lo
	s_and_b32 s6, vcc_lo, exec_lo
	s_or_b32 s4, s4, s6
	s_or_b32 exec_lo, exec_lo, s5
	s_and_saveexec_b32 s5, s4
	s_cbranch_execnz .LBB23_1199
	s_branch .LBB23_1200
.LBB23_1218:
	s_mov_b32 s3, -1
.LBB23_1219:
                                        ; implicit-def: $vgpr1
.LBB23_1220:
	s_and_b32 vcc_lo, exec_lo, s4
	s_mov_b32 s4, 0
	s_cbranch_vccz .LBB23_1222
; %bb.1221:
	s_cmp_lg_u32 s1, 11
	s_mov_b32 s4, -1
	s_cselect_b32 s3, -1, 0
.LBB23_1222:
	s_and_b32 vcc_lo, exec_lo, s3
	s_mov_b32 s1, s12
	s_cbranch_vccnz .LBB23_1283
; %bb.1223:
	s_andn2_b32 vcc_lo, exec_lo, s4
	s_cbranch_vccnz .LBB23_1225
.LBB23_1224:
	global_load_ubyte v1, v[12:13], off
	s_mov_b32 s5, -1
	s_waitcnt vmcnt(0)
	v_cmp_ne_u16_e32 vcc_lo, 0, v1
	v_cndmask_b32_e64 v1, 0, 0x3c00, vcc_lo
.LBB23_1225:
	s_branch .LBB23_1154
.LBB23_1226:
	s_and_b32 s0, 0xffff, s0
	s_cmp_lt_i32 s0, 5
	s_cbranch_scc1 .LBB23_1231
; %bb.1227:
	s_cmp_lt_i32 s0, 8
	s_cbranch_scc1 .LBB23_1232
; %bb.1228:
	;; [unrolled: 3-line block ×3, first 2 shown]
	s_cmp_gt_i32 s0, 9
	s_cbranch_scc0 .LBB23_1234
; %bb.1230:
	global_load_dwordx2 v[14:15], v[12:13], off
	s_mov_b32 s3, 0
	s_waitcnt vmcnt(0)
	v_and_or_b32 v1, 0x1ff, v15, v14
	v_lshrrev_b32_e32 v3, 8, v15
	v_bfe_u32 v5, v15, 20, 11
	v_cmp_ne_u32_e32 vcc_lo, 0, v1
	v_sub_nc_u32_e32 v8, 0x3f1, v5
	v_add_nc_u32_e32 v5, 0xfffffc10, v5
	v_cndmask_b32_e64 v1, 0, 1, vcc_lo
	v_and_or_b32 v1, 0xffe, v3, v1
	v_med3_i32 v3, v8, 0, 13
	v_or_b32_e32 v8, 0x1000, v1
	v_lshrrev_b32_e32 v10, v3, v8
	v_lshlrev_b32_e32 v3, v3, v10
	v_cmp_ne_u32_e32 vcc_lo, v3, v8
	v_lshl_or_b32 v8, v5, 12, v1
	v_cndmask_b32_e64 v3, 0, 1, vcc_lo
	v_cmp_gt_i32_e32 vcc_lo, 1, v5
	v_or_b32_e32 v3, v10, v3
	v_cndmask_b32_e32 v3, v8, v3, vcc_lo
	v_and_b32_e32 v8, 7, v3
	v_lshrrev_b32_e32 v3, 2, v3
	v_cmp_lt_i32_e32 vcc_lo, 5, v8
	v_cndmask_b32_e64 v10, 0, 1, vcc_lo
	v_cmp_eq_u32_e32 vcc_lo, 3, v8
	v_cndmask_b32_e64 v8, 0, 1, vcc_lo
	v_cmp_ne_u32_e32 vcc_lo, 0, v1
	v_or_b32_e32 v8, v8, v10
	v_mov_b32_e32 v10, 0x7e00
	v_add_nc_u32_e32 v3, v3, v8
	v_cndmask_b32_e32 v1, 0x7c00, v10, vcc_lo
	v_cmp_gt_i32_e32 vcc_lo, 31, v5
	v_cndmask_b32_e32 v3, 0x7c00, v3, vcc_lo
	v_cmp_eq_u32_e32 vcc_lo, 0x40f, v5
	v_cndmask_b32_e32 v1, v3, v1, vcc_lo
	v_lshrrev_b32_e32 v3, 16, v15
	v_and_or_b32 v1, 0x8000, v3, v1
	s_branch .LBB23_1235
.LBB23_1231:
                                        ; implicit-def: $vgpr1
	s_branch .LBB23_1252
.LBB23_1232:
                                        ; implicit-def: $vgpr1
	s_branch .LBB23_1241
.LBB23_1233:
	s_mov_b32 s3, -1
                                        ; implicit-def: $vgpr1
	s_branch .LBB23_1238
.LBB23_1234:
	s_mov_b32 s3, -1
                                        ; implicit-def: $vgpr1
.LBB23_1235:
	s_andn2_b32 vcc_lo, exec_lo, s3
	s_cbranch_vccnz .LBB23_1237
; %bb.1236:
	global_load_dword v1, v[12:13], off
	s_waitcnt vmcnt(0)
	v_cvt_f16_f32_e32 v1, v1
.LBB23_1237:
	s_mov_b32 s3, 0
.LBB23_1238:
	s_andn2_b32 vcc_lo, exec_lo, s3
	s_cbranch_vccnz .LBB23_1240
; %bb.1239:
	global_load_dword v1, v[12:13], off
.LBB23_1240:
	s_cbranch_execnz .LBB23_1251
.LBB23_1241:
	s_cmp_lt_i32 s0, 6
	s_cbranch_scc1 .LBB23_1244
; %bb.1242:
	s_cmp_gt_i32 s0, 6
	s_cbranch_scc0 .LBB23_1245
; %bb.1243:
	global_load_dwordx2 v[14:15], v[12:13], off
	s_mov_b32 s3, 0
	s_waitcnt vmcnt(0)
	v_and_or_b32 v1, 0x1ff, v15, v14
	v_lshrrev_b32_e32 v3, 8, v15
	v_bfe_u32 v5, v15, 20, 11
	v_cmp_ne_u32_e32 vcc_lo, 0, v1
	v_sub_nc_u32_e32 v8, 0x3f1, v5
	v_add_nc_u32_e32 v5, 0xfffffc10, v5
	v_cndmask_b32_e64 v1, 0, 1, vcc_lo
	v_and_or_b32 v1, 0xffe, v3, v1
	v_med3_i32 v3, v8, 0, 13
	v_or_b32_e32 v8, 0x1000, v1
	v_lshrrev_b32_e32 v10, v3, v8
	v_lshlrev_b32_e32 v3, v3, v10
	v_cmp_ne_u32_e32 vcc_lo, v3, v8
	v_lshl_or_b32 v8, v5, 12, v1
	v_cndmask_b32_e64 v3, 0, 1, vcc_lo
	v_cmp_gt_i32_e32 vcc_lo, 1, v5
	v_or_b32_e32 v3, v10, v3
	v_cndmask_b32_e32 v3, v8, v3, vcc_lo
	v_and_b32_e32 v8, 7, v3
	v_lshrrev_b32_e32 v3, 2, v3
	v_cmp_lt_i32_e32 vcc_lo, 5, v8
	v_cndmask_b32_e64 v10, 0, 1, vcc_lo
	v_cmp_eq_u32_e32 vcc_lo, 3, v8
	v_cndmask_b32_e64 v8, 0, 1, vcc_lo
	v_cmp_ne_u32_e32 vcc_lo, 0, v1
	v_or_b32_e32 v8, v8, v10
	v_mov_b32_e32 v10, 0x7e00
	v_add_nc_u32_e32 v3, v3, v8
	v_cndmask_b32_e32 v1, 0x7c00, v10, vcc_lo
	v_cmp_gt_i32_e32 vcc_lo, 31, v5
	v_cndmask_b32_e32 v3, 0x7c00, v3, vcc_lo
	v_cmp_eq_u32_e32 vcc_lo, 0x40f, v5
	v_cndmask_b32_e32 v1, v3, v1, vcc_lo
	v_lshrrev_b32_e32 v3, 16, v15
	v_and_or_b32 v1, 0x8000, v3, v1
	s_branch .LBB23_1246
.LBB23_1244:
	s_mov_b32 s3, -1
                                        ; implicit-def: $vgpr1
	s_branch .LBB23_1249
.LBB23_1245:
	s_mov_b32 s3, -1
                                        ; implicit-def: $vgpr1
.LBB23_1246:
	s_andn2_b32 vcc_lo, exec_lo, s3
	s_cbranch_vccnz .LBB23_1248
; %bb.1247:
	global_load_dword v1, v[12:13], off
	s_waitcnt vmcnt(0)
	v_cvt_f16_f32_e32 v1, v1
.LBB23_1248:
	s_mov_b32 s3, 0
.LBB23_1249:
	s_andn2_b32 vcc_lo, exec_lo, s3
	s_cbranch_vccnz .LBB23_1251
; %bb.1250:
	global_load_ushort v1, v[12:13], off
.LBB23_1251:
	s_cbranch_execnz .LBB23_1270
.LBB23_1252:
	s_cmp_lt_i32 s0, 2
	s_cbranch_scc1 .LBB23_1256
; %bb.1253:
	s_cmp_lt_i32 s0, 3
	s_cbranch_scc1 .LBB23_1257
; %bb.1254:
	s_cmp_gt_i32 s0, 3
	s_cbranch_scc0 .LBB23_1258
; %bb.1255:
	global_load_dwordx2 v[14:15], v[12:13], off
	s_mov_b32 s3, 0
	s_waitcnt vmcnt(0)
	v_xor_b32_e32 v1, v14, v15
	v_ffbh_i32_e32 v3, v15
	v_ashrrev_i32_e32 v1, 31, v1
	v_add_nc_u32_e32 v3, -1, v3
	v_add_nc_u32_e32 v1, 32, v1
	v_min_u32_e32 v1, v3, v1
	v_lshlrev_b64 v[14:15], v1, v[14:15]
	v_sub_nc_u32_e32 v1, 32, v1
	v_min_u32_e32 v3, 1, v14
	v_or_b32_e32 v3, v15, v3
	v_cvt_f32_i32_e32 v3, v3
	v_ldexp_f32 v1, v3, v1
	v_cvt_f16_f32_e32 v1, v1
	s_branch .LBB23_1259
.LBB23_1256:
                                        ; implicit-def: $vgpr1
	s_branch .LBB23_1265
.LBB23_1257:
	s_mov_b32 s3, -1
                                        ; implicit-def: $vgpr1
	s_branch .LBB23_1262
.LBB23_1258:
	s_mov_b32 s3, -1
                                        ; implicit-def: $vgpr1
.LBB23_1259:
	s_andn2_b32 vcc_lo, exec_lo, s3
	s_cbranch_vccnz .LBB23_1261
; %bb.1260:
	global_load_dword v1, v[12:13], off
	s_waitcnt vmcnt(0)
	v_cvt_f32_i32_e32 v1, v1
	v_cvt_f16_f32_e32 v1, v1
.LBB23_1261:
	s_mov_b32 s3, 0
.LBB23_1262:
	s_andn2_b32 vcc_lo, exec_lo, s3
	s_cbranch_vccnz .LBB23_1264
; %bb.1263:
	global_load_ushort v1, v[12:13], off
	s_waitcnt vmcnt(0)
	v_cvt_f16_i16_e32 v1, v1
.LBB23_1264:
	s_cbranch_execnz .LBB23_1270
.LBB23_1265:
	s_cmp_gt_i32 s0, 0
	s_mov_b32 s0, 0
	s_cbranch_scc0 .LBB23_1267
; %bb.1266:
	global_load_sbyte v1, v[12:13], off
	s_waitcnt vmcnt(0)
	v_cvt_f16_i16_e32 v1, v1
	s_branch .LBB23_1268
.LBB23_1267:
	s_mov_b32 s0, -1
                                        ; implicit-def: $vgpr1
.LBB23_1268:
	s_andn2_b32 vcc_lo, exec_lo, s0
	s_cbranch_vccnz .LBB23_1270
; %bb.1269:
	global_load_ubyte v1, v[12:13], off
	s_waitcnt vmcnt(0)
	v_cvt_f16_u16_e32 v1, v1
.LBB23_1270:
.LBB23_1271:
	v_add_co_u32 v10, s3, s10, v11
	s_lshr_b32 s0, s2, 16
	v_add_co_ci_u32_e64 v11, null, s11, 0, s3
	s_and_b32 s0, s0, 0xff
	s_cmp_lt_i32 s0, 11
	s_cbranch_scc1 .LBB23_1278
; %bb.1272:
	s_and_b32 s3, 0xffff, s0
	s_mov_b32 s5, 0
	s_cmp_gt_i32 s3, 25
	s_cbranch_scc0 .LBB23_1280
; %bb.1273:
	s_cmp_gt_i32 s3, 28
	s_cbranch_scc0 .LBB23_1281
; %bb.1274:
	;; [unrolled: 3-line block ×4, first 2 shown]
	s_cmp_eq_u32 s3, 46
	s_mov_b32 s7, 0
	s_cbranch_scc0 .LBB23_1287
; %bb.1277:
	global_load_dword v3, v[10:11], off
	s_mov_b32 s4, 0
	s_mov_b32 s6, -1
	s_waitcnt vmcnt(0)
	v_lshlrev_b32_e32 v3, 16, v3
	v_cvt_f16_f32_e32 v3, v3
	s_branch .LBB23_1289
.LBB23_1278:
	s_mov_b32 s6, 0
                                        ; implicit-def: $vgpr3
	s_cbranch_execnz .LBB23_1354
.LBB23_1279:
	s_andn2_b32 vcc_lo, exec_lo, s6
	s_cbranch_vccnz .LBB23_2095
	s_branch .LBB23_1401
.LBB23_1280:
	s_mov_b32 s6, 0
	s_mov_b32 s4, 0
                                        ; implicit-def: $vgpr3
	s_cbranch_execnz .LBB23_1318
	s_branch .LBB23_1350
.LBB23_1281:
	s_mov_b32 s7, -1
	s_mov_b32 s6, 0
	s_mov_b32 s4, 0
                                        ; implicit-def: $vgpr3
	s_branch .LBB23_1299
.LBB23_1282:
	s_mov_b32 s7, -1
	s_mov_b32 s6, 0
	s_mov_b32 s4, 0
                                        ; implicit-def: $vgpr3
	s_branch .LBB23_1294
.LBB23_1283:
	s_or_b32 s1, s12, exec_lo
	s_trap 2
	s_cbranch_execz .LBB23_1224
	s_branch .LBB23_1225
.LBB23_1284:
	s_mov_b32 s7, -1
	s_mov_b32 s6, 0
	s_mov_b32 s4, 0
	s_branch .LBB23_1288
.LBB23_1285:
	s_andn2_saveexec_b32 s12, s12
	s_cbranch_execz .LBB23_1014
.LBB23_1286:
	v_add_f32_e64 v4, 0x42800000, |v0|
	s_andn2_b32 s11, s11, exec_lo
	v_and_b32_e32 v4, 0xff, v4
	v_cmp_ne_u32_e32 vcc_lo, 0, v4
	s_and_b32 s13, vcc_lo, exec_lo
	s_or_b32 s11, s11, s13
	s_or_b32 exec_lo, exec_lo, s12
	v_mov_b32_e32 v5, 0
	s_and_saveexec_b32 s12, s11
	s_cbranch_execnz .LBB23_1015
	s_branch .LBB23_1016
.LBB23_1287:
	s_mov_b32 s4, -1
	s_mov_b32 s6, 0
.LBB23_1288:
                                        ; implicit-def: $vgpr3
.LBB23_1289:
	s_and_b32 vcc_lo, exec_lo, s7
	s_cbranch_vccz .LBB23_1293
; %bb.1290:
	s_cmp_eq_u32 s3, 44
	s_cbranch_scc0 .LBB23_1292
; %bb.1291:
	global_load_ubyte v3, v[10:11], off
	s_mov_b32 s4, 0
	s_mov_b32 s6, -1
	s_waitcnt vmcnt(0)
	v_lshlrev_b32_e32 v5, 23, v3
	v_cmp_ne_u32_e32 vcc_lo, 0xff, v3
	v_cvt_f16_f32_e32 v5, v5
	v_cndmask_b32_e32 v5, 0x7e00, v5, vcc_lo
	v_cmp_ne_u32_e32 vcc_lo, 0, v3
	v_cndmask_b32_e32 v3, 0, v5, vcc_lo
	s_branch .LBB23_1293
.LBB23_1292:
	s_mov_b32 s4, -1
                                        ; implicit-def: $vgpr3
.LBB23_1293:
	s_mov_b32 s7, 0
.LBB23_1294:
	s_and_b32 vcc_lo, exec_lo, s7
	s_cbranch_vccz .LBB23_1298
; %bb.1295:
	s_cmp_eq_u32 s3, 29
	s_cbranch_scc0 .LBB23_1297
; %bb.1296:
	global_load_dwordx2 v[12:13], v[10:11], off
	s_mov_b32 s4, 0
	s_mov_b32 s6, -1
	s_mov_b32 s7, 0
	s_waitcnt vmcnt(0)
	v_ffbh_u32_e32 v3, v13
	v_min_u32_e32 v3, 32, v3
	v_lshlrev_b64 v[12:13], v3, v[12:13]
	v_sub_nc_u32_e32 v3, 32, v3
	v_min_u32_e32 v5, 1, v12
	v_or_b32_e32 v5, v13, v5
	v_cvt_f32_u32_e32 v5, v5
	v_ldexp_f32 v3, v5, v3
	v_cvt_f16_f32_e32 v3, v3
	s_branch .LBB23_1299
.LBB23_1297:
	s_mov_b32 s4, -1
                                        ; implicit-def: $vgpr3
.LBB23_1298:
	s_mov_b32 s7, 0
.LBB23_1299:
	s_and_b32 vcc_lo, exec_lo, s7
	s_cbranch_vccz .LBB23_1317
; %bb.1300:
	s_cmp_lt_i32 s3, 27
	s_cbranch_scc1 .LBB23_1303
; %bb.1301:
	s_cmp_gt_i32 s3, 27
	s_cbranch_scc0 .LBB23_1304
; %bb.1302:
	global_load_dword v3, v[10:11], off
	s_mov_b32 s6, 0
	s_waitcnt vmcnt(0)
	v_cvt_f32_u32_e32 v3, v3
	v_cvt_f16_f32_e32 v3, v3
	s_branch .LBB23_1305
.LBB23_1303:
	s_mov_b32 s6, -1
                                        ; implicit-def: $vgpr3
	s_branch .LBB23_1308
.LBB23_1304:
	s_mov_b32 s6, -1
                                        ; implicit-def: $vgpr3
.LBB23_1305:
	s_andn2_b32 vcc_lo, exec_lo, s6
	s_cbranch_vccnz .LBB23_1307
; %bb.1306:
	global_load_ushort v3, v[10:11], off
	s_waitcnt vmcnt(0)
	v_cvt_f16_u16_e32 v3, v3
.LBB23_1307:
	s_mov_b32 s6, 0
.LBB23_1308:
	s_andn2_b32 vcc_lo, exec_lo, s6
	s_cbranch_vccnz .LBB23_1316
; %bb.1309:
	global_load_ubyte v5, v[10:11], off
	s_mov_b32 s6, 0
	s_mov_b32 s7, exec_lo
	s_waitcnt vmcnt(0)
	v_cmpx_lt_i16_e32 0x7f, v5
	s_xor_b32 s7, exec_lo, s7
	s_cbranch_execz .LBB23_1329
; %bb.1310:
	s_mov_b32 s6, -1
	s_mov_b32 s14, exec_lo
	v_cmpx_eq_u16_e32 0x80, v5
; %bb.1311:
	s_xor_b32 s6, exec_lo, -1
; %bb.1312:
	s_or_b32 exec_lo, exec_lo, s14
	s_and_b32 s6, s6, exec_lo
	s_or_saveexec_b32 s7, s7
	v_mov_b32_e32 v3, 0x7e00
	s_xor_b32 exec_lo, exec_lo, s7
	s_cbranch_execnz .LBB23_1330
.LBB23_1313:
	s_or_b32 exec_lo, exec_lo, s7
	s_and_saveexec_b32 s7, s6
	s_cbranch_execz .LBB23_1315
.LBB23_1314:
	v_and_b32_e32 v3, 0xffff, v5
	v_lshlrev_b32_e32 v5, 24, v5
	v_and_b32_e32 v8, 7, v3
	v_bfe_u32 v14, v3, 3, 4
	v_and_b32_e32 v5, 0x80000000, v5
	v_ffbh_u32_e32 v12, v8
	v_cmp_eq_u32_e32 vcc_lo, 0, v14
	v_min_u32_e32 v12, 32, v12
	v_subrev_nc_u32_e32 v13, 28, v12
	v_sub_nc_u32_e32 v12, 29, v12
	v_lshlrev_b32_e32 v3, v13, v3
	v_cndmask_b32_e32 v12, v14, v12, vcc_lo
	v_and_b32_e32 v3, 7, v3
	v_cndmask_b32_e32 v3, v8, v3, vcc_lo
	v_lshl_add_u32 v8, v12, 23, 0x3b800000
	v_lshlrev_b32_e32 v3, 20, v3
	v_or3_b32 v3, v5, v8, v3
	v_cvt_f16_f32_e32 v3, v3
.LBB23_1315:
	s_or_b32 exec_lo, exec_lo, s7
.LBB23_1316:
	s_mov_b32 s6, -1
.LBB23_1317:
	s_branch .LBB23_1350
.LBB23_1318:
	s_cmp_gt_i32 s3, 22
	s_cbranch_scc0 .LBB23_1328
; %bb.1319:
	s_cmp_lt_i32 s3, 24
	s_cbranch_scc1 .LBB23_1331
; %bb.1320:
	s_cmp_gt_i32 s3, 24
	s_cbranch_scc0 .LBB23_1332
; %bb.1321:
	global_load_ubyte v5, v[10:11], off
	s_mov_b32 s6, exec_lo
	s_waitcnt vmcnt(0)
	v_cmpx_lt_i16_e32 0x7f, v5
	s_xor_b32 s6, exec_lo, s6
	s_cbranch_execz .LBB23_1344
; %bb.1322:
	s_mov_b32 s5, -1
	s_mov_b32 s7, exec_lo
	v_cmpx_eq_u16_e32 0x80, v5
; %bb.1323:
	s_xor_b32 s5, exec_lo, -1
; %bb.1324:
	s_or_b32 exec_lo, exec_lo, s7
	s_and_b32 s5, s5, exec_lo
	s_or_saveexec_b32 s6, s6
	v_mov_b32_e32 v3, 0x7e00
	s_xor_b32 exec_lo, exec_lo, s6
	s_cbranch_execnz .LBB23_1345
.LBB23_1325:
	s_or_b32 exec_lo, exec_lo, s6
	s_and_saveexec_b32 s6, s5
	s_cbranch_execz .LBB23_1327
.LBB23_1326:
	v_and_b32_e32 v3, 0xffff, v5
	v_lshlrev_b32_e32 v5, 24, v5
	v_and_b32_e32 v8, 3, v3
	v_bfe_u32 v14, v3, 2, 5
	v_and_b32_e32 v5, 0x80000000, v5
	v_ffbh_u32_e32 v12, v8
	v_cmp_eq_u32_e32 vcc_lo, 0, v14
	v_min_u32_e32 v12, 32, v12
	v_subrev_nc_u32_e32 v13, 29, v12
	v_sub_nc_u32_e32 v12, 30, v12
	v_lshlrev_b32_e32 v3, v13, v3
	v_cndmask_b32_e32 v12, v14, v12, vcc_lo
	v_and_b32_e32 v3, 3, v3
	v_cndmask_b32_e32 v3, v8, v3, vcc_lo
	v_lshl_add_u32 v8, v12, 23, 0x37800000
	v_lshlrev_b32_e32 v3, 21, v3
	v_or3_b32 v3, v5, v8, v3
	v_cvt_f16_f32_e32 v3, v3
.LBB23_1327:
	s_or_b32 exec_lo, exec_lo, s6
	s_mov_b32 s5, 0
	s_branch .LBB23_1333
.LBB23_1328:
	s_mov_b32 s5, -1
                                        ; implicit-def: $vgpr3
	s_branch .LBB23_1339
.LBB23_1329:
	s_or_saveexec_b32 s7, s7
	v_mov_b32_e32 v3, 0x7e00
	s_xor_b32 exec_lo, exec_lo, s7
	s_cbranch_execz .LBB23_1313
.LBB23_1330:
	v_cmp_ne_u16_e32 vcc_lo, 0, v5
	v_mov_b32_e32 v3, v5
	s_andn2_b32 s6, s6, exec_lo
	s_and_b32 s14, vcc_lo, exec_lo
	s_or_b32 s6, s6, s14
	s_or_b32 exec_lo, exec_lo, s7
	s_and_saveexec_b32 s7, s6
	s_cbranch_execnz .LBB23_1314
	s_branch .LBB23_1315
.LBB23_1331:
	s_mov_b32 s5, -1
                                        ; implicit-def: $vgpr3
	s_branch .LBB23_1336
.LBB23_1332:
	s_mov_b32 s5, -1
                                        ; implicit-def: $vgpr3
.LBB23_1333:
	s_and_b32 vcc_lo, exec_lo, s5
	s_cbranch_vccz .LBB23_1335
; %bb.1334:
	global_load_ubyte v3, v[10:11], off
	s_waitcnt vmcnt(0)
	v_lshlrev_b32_e32 v3, 24, v3
	v_and_b32_e32 v5, 0x7f000000, v3
	v_ffbh_u32_e32 v8, v5
	v_add_nc_u32_e32 v13, 0x1000000, v5
	v_cmp_ne_u32_e32 vcc_lo, 0, v5
	v_min_u32_e32 v8, 32, v8
	v_sub_nc_u32_e64 v8, v8, 4 clamp
	v_lshlrev_b32_e32 v12, v8, v5
	v_lshlrev_b32_e32 v8, 23, v8
	v_lshrrev_b32_e32 v12, 4, v12
	v_sub_nc_u32_e32 v8, v12, v8
	v_ashrrev_i32_e32 v12, 8, v13
	v_add_nc_u32_e32 v8, 0x3c000000, v8
	v_and_or_b32 v8, 0x7f800000, v12, v8
	v_cndmask_b32_e32 v5, 0, v8, vcc_lo
	v_and_or_b32 v3, 0x80000000, v3, v5
	v_cvt_f16_f32_e32 v3, v3
.LBB23_1335:
	s_mov_b32 s5, 0
.LBB23_1336:
	s_andn2_b32 vcc_lo, exec_lo, s5
	s_cbranch_vccnz .LBB23_1338
; %bb.1337:
	global_load_ubyte v3, v[10:11], off
	s_waitcnt vmcnt(0)
	v_lshlrev_b32_e32 v5, 25, v3
	v_lshlrev_b16 v3, 8, v3
	v_lshrrev_b32_e32 v8, 4, v5
	v_and_or_b32 v12, 0x7f00, v3, 0.5
	v_cmp_gt_u32_e32 vcc_lo, 0x8000000, v5
	v_bfe_i32 v3, v3, 0, 16
	v_or_b32_e32 v8, 0x70000000, v8
	v_add_f32_e32 v12, -0.5, v12
	v_mul_f32_e32 v8, 0x7800000, v8
	v_cndmask_b32_e32 v5, v8, v12, vcc_lo
	v_and_or_b32 v3, 0x80000000, v3, v5
	v_cvt_f16_f32_e32 v3, v3
.LBB23_1338:
	s_mov_b32 s5, 0
	s_mov_b32 s6, -1
.LBB23_1339:
	s_andn2_b32 vcc_lo, exec_lo, s5
	s_mov_b32 s5, 0
	s_cbranch_vccnz .LBB23_1350
; %bb.1340:
	s_cmp_gt_i32 s3, 14
	s_cbranch_scc0 .LBB23_1343
; %bb.1341:
	s_cmp_eq_u32 s3, 15
	s_cbranch_scc0 .LBB23_1346
; %bb.1342:
	global_load_ushort v3, v[10:11], off
	s_mov_b32 s4, 0
	s_mov_b32 s6, -1
	s_waitcnt vmcnt(0)
	v_lshlrev_b32_e32 v3, 16, v3
	v_cvt_f16_f32_e32 v3, v3
	s_branch .LBB23_1348
.LBB23_1343:
	s_mov_b32 s5, -1
	s_branch .LBB23_1347
.LBB23_1344:
	s_or_saveexec_b32 s6, s6
	v_mov_b32_e32 v3, 0x7e00
	s_xor_b32 exec_lo, exec_lo, s6
	s_cbranch_execz .LBB23_1325
.LBB23_1345:
	v_cmp_ne_u16_e32 vcc_lo, 0, v5
	v_mov_b32_e32 v3, v5
	s_andn2_b32 s5, s5, exec_lo
	s_and_b32 s7, vcc_lo, exec_lo
	s_or_b32 s5, s5, s7
	s_or_b32 exec_lo, exec_lo, s6
	s_and_saveexec_b32 s6, s5
	s_cbranch_execnz .LBB23_1326
	s_branch .LBB23_1327
.LBB23_1346:
	s_mov_b32 s4, -1
.LBB23_1347:
                                        ; implicit-def: $vgpr3
.LBB23_1348:
	s_and_b32 vcc_lo, exec_lo, s5
	s_mov_b32 s5, 0
	s_cbranch_vccz .LBB23_1350
; %bb.1349:
	s_cmp_lg_u32 s3, 11
	s_mov_b32 s5, -1
	s_cselect_b32 s4, -1, 0
.LBB23_1350:
	s_and_b32 vcc_lo, exec_lo, s4
	s_cbranch_vccnz .LBB23_1413
; %bb.1351:
	s_andn2_b32 vcc_lo, exec_lo, s5
	s_cbranch_vccnz .LBB23_1353
.LBB23_1352:
	global_load_ubyte v3, v[10:11], off
	s_mov_b32 s6, -1
	s_waitcnt vmcnt(0)
	v_cmp_ne_u16_e32 vcc_lo, 0, v3
	v_cndmask_b32_e64 v3, 0, 0x3c00, vcc_lo
.LBB23_1353:
	s_branch .LBB23_1279
.LBB23_1354:
	s_and_b32 s3, 0xffff, s0
	s_cmp_lt_i32 s3, 5
	s_cbranch_scc1 .LBB23_1359
; %bb.1355:
	s_cmp_lt_i32 s3, 8
	s_cbranch_scc1 .LBB23_1360
; %bb.1356:
	;; [unrolled: 3-line block ×3, first 2 shown]
	s_cmp_gt_i32 s3, 9
	s_cbranch_scc0 .LBB23_1362
; %bb.1358:
	global_load_dwordx2 v[12:13], v[10:11], off
	s_mov_b32 s4, 0
	s_waitcnt vmcnt(0)
	v_and_or_b32 v3, 0x1ff, v13, v12
	v_lshrrev_b32_e32 v5, 8, v13
	v_bfe_u32 v8, v13, 20, 11
	v_cmp_ne_u32_e32 vcc_lo, 0, v3
	v_sub_nc_u32_e32 v12, 0x3f1, v8
	v_add_nc_u32_e32 v8, 0xfffffc10, v8
	v_cndmask_b32_e64 v3, 0, 1, vcc_lo
	v_and_or_b32 v3, 0xffe, v5, v3
	v_med3_i32 v5, v12, 0, 13
	v_or_b32_e32 v12, 0x1000, v3
	v_lshrrev_b32_e32 v14, v5, v12
	v_lshlrev_b32_e32 v5, v5, v14
	v_cmp_ne_u32_e32 vcc_lo, v5, v12
	v_lshl_or_b32 v12, v8, 12, v3
	v_cndmask_b32_e64 v5, 0, 1, vcc_lo
	v_cmp_gt_i32_e32 vcc_lo, 1, v8
	v_or_b32_e32 v5, v14, v5
	v_cndmask_b32_e32 v5, v12, v5, vcc_lo
	v_and_b32_e32 v12, 7, v5
	v_lshrrev_b32_e32 v5, 2, v5
	v_cmp_lt_i32_e32 vcc_lo, 5, v12
	v_cndmask_b32_e64 v14, 0, 1, vcc_lo
	v_cmp_eq_u32_e32 vcc_lo, 3, v12
	v_cndmask_b32_e64 v12, 0, 1, vcc_lo
	v_cmp_ne_u32_e32 vcc_lo, 0, v3
	v_or_b32_e32 v12, v12, v14
	v_mov_b32_e32 v14, 0x7e00
	v_add_nc_u32_e32 v5, v5, v12
	v_cndmask_b32_e32 v3, 0x7c00, v14, vcc_lo
	v_cmp_gt_i32_e32 vcc_lo, 31, v8
	v_cndmask_b32_e32 v5, 0x7c00, v5, vcc_lo
	v_cmp_eq_u32_e32 vcc_lo, 0x40f, v8
	v_cndmask_b32_e32 v3, v5, v3, vcc_lo
	v_lshrrev_b32_e32 v5, 16, v13
	v_and_or_b32 v3, 0x8000, v5, v3
	s_branch .LBB23_1363
.LBB23_1359:
                                        ; implicit-def: $vgpr3
	s_branch .LBB23_1381
.LBB23_1360:
	s_mov_b32 s4, -1
                                        ; implicit-def: $vgpr3
	s_branch .LBB23_1369
.LBB23_1361:
	s_mov_b32 s4, -1
                                        ; implicit-def: $vgpr3
	s_branch .LBB23_1366
.LBB23_1362:
	s_mov_b32 s4, -1
                                        ; implicit-def: $vgpr3
.LBB23_1363:
	s_andn2_b32 vcc_lo, exec_lo, s4
	s_cbranch_vccnz .LBB23_1365
; %bb.1364:
	global_load_dword v3, v[10:11], off
	s_waitcnt vmcnt(0)
	v_cvt_f16_f32_e32 v3, v3
.LBB23_1365:
	s_mov_b32 s4, 0
.LBB23_1366:
	s_andn2_b32 vcc_lo, exec_lo, s4
	s_cbranch_vccnz .LBB23_1368
; %bb.1367:
	global_load_dword v3, v[10:11], off
.LBB23_1368:
	s_mov_b32 s4, 0
.LBB23_1369:
	s_andn2_b32 vcc_lo, exec_lo, s4
	s_cbranch_vccnz .LBB23_1380
; %bb.1370:
	s_cmp_lt_i32 s3, 6
	s_cbranch_scc1 .LBB23_1373
; %bb.1371:
	s_cmp_gt_i32 s3, 6
	s_cbranch_scc0 .LBB23_1374
; %bb.1372:
	global_load_dwordx2 v[12:13], v[10:11], off
	s_mov_b32 s4, 0
	s_waitcnt vmcnt(0)
	v_and_or_b32 v3, 0x1ff, v13, v12
	v_lshrrev_b32_e32 v5, 8, v13
	v_bfe_u32 v8, v13, 20, 11
	v_cmp_ne_u32_e32 vcc_lo, 0, v3
	v_sub_nc_u32_e32 v12, 0x3f1, v8
	v_add_nc_u32_e32 v8, 0xfffffc10, v8
	v_cndmask_b32_e64 v3, 0, 1, vcc_lo
	v_and_or_b32 v3, 0xffe, v5, v3
	v_med3_i32 v5, v12, 0, 13
	v_or_b32_e32 v12, 0x1000, v3
	v_lshrrev_b32_e32 v14, v5, v12
	v_lshlrev_b32_e32 v5, v5, v14
	v_cmp_ne_u32_e32 vcc_lo, v5, v12
	v_lshl_or_b32 v12, v8, 12, v3
	v_cndmask_b32_e64 v5, 0, 1, vcc_lo
	v_cmp_gt_i32_e32 vcc_lo, 1, v8
	v_or_b32_e32 v5, v14, v5
	v_cndmask_b32_e32 v5, v12, v5, vcc_lo
	v_and_b32_e32 v12, 7, v5
	v_lshrrev_b32_e32 v5, 2, v5
	v_cmp_lt_i32_e32 vcc_lo, 5, v12
	v_cndmask_b32_e64 v14, 0, 1, vcc_lo
	v_cmp_eq_u32_e32 vcc_lo, 3, v12
	v_cndmask_b32_e64 v12, 0, 1, vcc_lo
	v_cmp_ne_u32_e32 vcc_lo, 0, v3
	v_or_b32_e32 v12, v12, v14
	v_mov_b32_e32 v14, 0x7e00
	v_add_nc_u32_e32 v5, v5, v12
	v_cndmask_b32_e32 v3, 0x7c00, v14, vcc_lo
	v_cmp_gt_i32_e32 vcc_lo, 31, v8
	v_cndmask_b32_e32 v5, 0x7c00, v5, vcc_lo
	v_cmp_eq_u32_e32 vcc_lo, 0x40f, v8
	v_cndmask_b32_e32 v3, v5, v3, vcc_lo
	v_lshrrev_b32_e32 v5, 16, v13
	v_and_or_b32 v3, 0x8000, v5, v3
	s_branch .LBB23_1375
.LBB23_1373:
	s_mov_b32 s4, -1
                                        ; implicit-def: $vgpr3
	s_branch .LBB23_1378
.LBB23_1374:
	s_mov_b32 s4, -1
                                        ; implicit-def: $vgpr3
.LBB23_1375:
	s_andn2_b32 vcc_lo, exec_lo, s4
	s_cbranch_vccnz .LBB23_1377
; %bb.1376:
	global_load_dword v3, v[10:11], off
	s_waitcnt vmcnt(0)
	v_cvt_f16_f32_e32 v3, v3
.LBB23_1377:
	s_mov_b32 s4, 0
.LBB23_1378:
	s_andn2_b32 vcc_lo, exec_lo, s4
	s_cbranch_vccnz .LBB23_1380
; %bb.1379:
	global_load_ushort v3, v[10:11], off
.LBB23_1380:
	s_cbranch_execnz .LBB23_1400
.LBB23_1381:
	s_cmp_lt_i32 s3, 2
	s_cbranch_scc1 .LBB23_1385
; %bb.1382:
	s_cmp_lt_i32 s3, 3
	s_cbranch_scc1 .LBB23_1386
; %bb.1383:
	s_cmp_gt_i32 s3, 3
	s_cbranch_scc0 .LBB23_1387
; %bb.1384:
	global_load_dwordx2 v[12:13], v[10:11], off
	s_mov_b32 s4, 0
	s_waitcnt vmcnt(0)
	v_xor_b32_e32 v3, v12, v13
	v_ffbh_i32_e32 v5, v13
	v_ashrrev_i32_e32 v3, 31, v3
	v_add_nc_u32_e32 v5, -1, v5
	v_add_nc_u32_e32 v3, 32, v3
	v_min_u32_e32 v3, v5, v3
	v_lshlrev_b64 v[12:13], v3, v[12:13]
	v_sub_nc_u32_e32 v3, 32, v3
	v_min_u32_e32 v5, 1, v12
	v_or_b32_e32 v5, v13, v5
	v_cvt_f32_i32_e32 v5, v5
	v_ldexp_f32 v3, v5, v3
	v_cvt_f16_f32_e32 v3, v3
	s_branch .LBB23_1388
.LBB23_1385:
	s_mov_b32 s4, -1
                                        ; implicit-def: $vgpr3
	s_branch .LBB23_1394
.LBB23_1386:
	s_mov_b32 s4, -1
                                        ; implicit-def: $vgpr3
	s_branch .LBB23_1391
.LBB23_1387:
	s_mov_b32 s4, -1
                                        ; implicit-def: $vgpr3
.LBB23_1388:
	s_andn2_b32 vcc_lo, exec_lo, s4
	s_cbranch_vccnz .LBB23_1390
; %bb.1389:
	global_load_dword v3, v[10:11], off
	s_waitcnt vmcnt(0)
	v_cvt_f32_i32_e32 v3, v3
	v_cvt_f16_f32_e32 v3, v3
.LBB23_1390:
	s_mov_b32 s4, 0
.LBB23_1391:
	s_andn2_b32 vcc_lo, exec_lo, s4
	s_cbranch_vccnz .LBB23_1393
; %bb.1392:
	global_load_ushort v3, v[10:11], off
	s_waitcnt vmcnt(0)
	v_cvt_f16_i16_e32 v3, v3
.LBB23_1393:
	s_mov_b32 s4, 0
.LBB23_1394:
	s_andn2_b32 vcc_lo, exec_lo, s4
	s_cbranch_vccnz .LBB23_1400
; %bb.1395:
	s_cmp_gt_i32 s3, 0
	s_mov_b32 s3, 0
	s_cbranch_scc0 .LBB23_1397
; %bb.1396:
	global_load_sbyte v3, v[10:11], off
	s_waitcnt vmcnt(0)
	v_cvt_f16_i16_e32 v3, v3
	s_branch .LBB23_1398
.LBB23_1397:
	s_mov_b32 s3, -1
                                        ; implicit-def: $vgpr3
.LBB23_1398:
	s_andn2_b32 vcc_lo, exec_lo, s3
	s_cbranch_vccnz .LBB23_1400
; %bb.1399:
	global_load_ubyte v3, v[10:11], off
	s_waitcnt vmcnt(0)
	v_cvt_f16_u16_e32 v3, v3
.LBB23_1400:
.LBB23_1401:
	v_add_co_u32 v8, s3, s10, v9
	v_add_co_ci_u32_e64 v9, null, s11, 0, s3
	s_cmp_lt_i32 s0, 11
	s_cbranch_scc1 .LBB23_1408
; %bb.1402:
	s_and_b32 s3, 0xffff, s0
	s_mov_b32 s5, 0
	s_cmp_gt_i32 s3, 25
	s_cbranch_scc0 .LBB23_1410
; %bb.1403:
	s_cmp_gt_i32 s3, 28
	s_cbranch_scc0 .LBB23_1411
; %bb.1404:
	;; [unrolled: 3-line block ×4, first 2 shown]
	s_cmp_eq_u32 s3, 46
	s_mov_b32 s7, 0
	s_cbranch_scc0 .LBB23_1415
; %bb.1407:
	global_load_dword v5, v[8:9], off
	s_mov_b32 s4, 0
	s_mov_b32 s6, -1
	s_waitcnt vmcnt(0)
	v_lshlrev_b32_e32 v5, 16, v5
	v_cvt_f16_f32_e32 v10, v5
	s_branch .LBB23_1417
.LBB23_1408:
	s_mov_b32 s6, 0
                                        ; implicit-def: $vgpr10
	s_cbranch_execnz .LBB23_1483
.LBB23_1409:
	s_andn2_b32 vcc_lo, exec_lo, s6
	s_cbranch_vccnz .LBB23_2095
	s_branch .LBB23_1531
.LBB23_1410:
	s_mov_b32 s7, -1
	s_mov_b32 s6, 0
	s_mov_b32 s4, 0
                                        ; implicit-def: $vgpr10
	s_branch .LBB23_1446
.LBB23_1411:
	s_mov_b32 s7, -1
	s_mov_b32 s6, 0
	s_mov_b32 s4, 0
                                        ; implicit-def: $vgpr10
	s_branch .LBB23_1427
.LBB23_1412:
	s_mov_b32 s7, -1
	s_mov_b32 s6, 0
	s_mov_b32 s4, 0
                                        ; implicit-def: $vgpr10
	s_branch .LBB23_1422
.LBB23_1413:
	s_or_b32 s1, s1, exec_lo
	s_trap 2
	s_cbranch_execz .LBB23_1352
	s_branch .LBB23_1353
.LBB23_1414:
	s_mov_b32 s7, -1
	s_mov_b32 s6, 0
	s_mov_b32 s4, 0
	s_branch .LBB23_1416
.LBB23_1415:
	s_mov_b32 s4, -1
	s_mov_b32 s6, 0
.LBB23_1416:
                                        ; implicit-def: $vgpr10
.LBB23_1417:
	s_and_b32 vcc_lo, exec_lo, s7
	s_cbranch_vccz .LBB23_1421
; %bb.1418:
	s_cmp_eq_u32 s3, 44
	s_cbranch_scc0 .LBB23_1420
; %bb.1419:
	global_load_ubyte v5, v[8:9], off
	s_mov_b32 s4, 0
	s_mov_b32 s6, -1
	s_waitcnt vmcnt(0)
	v_lshlrev_b32_e32 v10, 23, v5
	v_cmp_ne_u32_e32 vcc_lo, 0xff, v5
	v_cvt_f16_f32_e32 v10, v10
	v_cndmask_b32_e32 v10, 0x7e00, v10, vcc_lo
	v_cmp_ne_u32_e32 vcc_lo, 0, v5
	v_cndmask_b32_e32 v10, 0, v10, vcc_lo
	s_branch .LBB23_1421
.LBB23_1420:
	s_mov_b32 s4, -1
                                        ; implicit-def: $vgpr10
.LBB23_1421:
	s_mov_b32 s7, 0
.LBB23_1422:
	s_and_b32 vcc_lo, exec_lo, s7
	s_cbranch_vccz .LBB23_1426
; %bb.1423:
	s_cmp_eq_u32 s3, 29
	s_cbranch_scc0 .LBB23_1425
; %bb.1424:
	global_load_dwordx2 v[10:11], v[8:9], off
	s_mov_b32 s4, 0
	s_mov_b32 s6, -1
	s_mov_b32 s7, 0
	s_waitcnt vmcnt(0)
	v_ffbh_u32_e32 v5, v11
	v_min_u32_e32 v5, 32, v5
	v_lshlrev_b64 v[10:11], v5, v[10:11]
	v_sub_nc_u32_e32 v5, 32, v5
	v_min_u32_e32 v10, 1, v10
	v_or_b32_e32 v10, v11, v10
	v_cvt_f32_u32_e32 v10, v10
	v_ldexp_f32 v5, v10, v5
	v_cvt_f16_f32_e32 v10, v5
	s_branch .LBB23_1427
.LBB23_1425:
	s_mov_b32 s4, -1
                                        ; implicit-def: $vgpr10
.LBB23_1426:
	s_mov_b32 s7, 0
.LBB23_1427:
	s_and_b32 vcc_lo, exec_lo, s7
	s_cbranch_vccz .LBB23_1445
; %bb.1428:
	s_cmp_lt_i32 s3, 27
	s_cbranch_scc1 .LBB23_1431
; %bb.1429:
	s_cmp_gt_i32 s3, 27
	s_cbranch_scc0 .LBB23_1432
; %bb.1430:
	global_load_dword v5, v[8:9], off
	s_mov_b32 s6, 0
	s_waitcnt vmcnt(0)
	v_cvt_f32_u32_e32 v5, v5
	v_cvt_f16_f32_e32 v10, v5
	s_branch .LBB23_1433
.LBB23_1431:
	s_mov_b32 s6, -1
                                        ; implicit-def: $vgpr10
	s_branch .LBB23_1436
.LBB23_1432:
	s_mov_b32 s6, -1
                                        ; implicit-def: $vgpr10
.LBB23_1433:
	s_andn2_b32 vcc_lo, exec_lo, s6
	s_cbranch_vccnz .LBB23_1435
; %bb.1434:
	global_load_ushort v5, v[8:9], off
	s_waitcnt vmcnt(0)
	v_cvt_f16_u16_e32 v10, v5
.LBB23_1435:
	s_mov_b32 s6, 0
.LBB23_1436:
	s_andn2_b32 vcc_lo, exec_lo, s6
	s_cbranch_vccnz .LBB23_1444
; %bb.1437:
	global_load_ubyte v5, v[8:9], off
	s_mov_b32 s6, 0
	s_mov_b32 s7, exec_lo
	s_waitcnt vmcnt(0)
	v_cmpx_lt_i16_e32 0x7f, v5
	s_xor_b32 s7, exec_lo, s7
	s_cbranch_execz .LBB23_1458
; %bb.1438:
	s_mov_b32 s6, -1
	s_mov_b32 s14, exec_lo
	v_cmpx_eq_u16_e32 0x80, v5
; %bb.1439:
	s_xor_b32 s6, exec_lo, -1
; %bb.1440:
	s_or_b32 exec_lo, exec_lo, s14
	s_and_b32 s6, s6, exec_lo
	s_or_saveexec_b32 s7, s7
	v_mov_b32_e32 v10, 0x7e00
	s_xor_b32 exec_lo, exec_lo, s7
	s_cbranch_execnz .LBB23_1459
.LBB23_1441:
	s_or_b32 exec_lo, exec_lo, s7
	s_and_saveexec_b32 s7, s6
	s_cbranch_execz .LBB23_1443
.LBB23_1442:
	v_and_b32_e32 v10, 0xffff, v5
	v_lshlrev_b32_e32 v5, 24, v5
	v_and_b32_e32 v11, 7, v10
	v_bfe_u32 v14, v10, 3, 4
	v_and_b32_e32 v5, 0x80000000, v5
	v_ffbh_u32_e32 v12, v11
	v_cmp_eq_u32_e32 vcc_lo, 0, v14
	v_min_u32_e32 v12, 32, v12
	v_subrev_nc_u32_e32 v13, 28, v12
	v_sub_nc_u32_e32 v12, 29, v12
	v_lshlrev_b32_e32 v10, v13, v10
	v_cndmask_b32_e32 v12, v14, v12, vcc_lo
	v_and_b32_e32 v10, 7, v10
	v_cndmask_b32_e32 v10, v11, v10, vcc_lo
	v_lshl_add_u32 v11, v12, 23, 0x3b800000
	v_lshlrev_b32_e32 v10, 20, v10
	v_or3_b32 v5, v5, v11, v10
	v_cvt_f16_f32_e32 v10, v5
.LBB23_1443:
	s_or_b32 exec_lo, exec_lo, s7
.LBB23_1444:
	s_mov_b32 s6, -1
.LBB23_1445:
	s_mov_b32 s7, 0
.LBB23_1446:
	s_and_b32 vcc_lo, exec_lo, s7
	s_cbranch_vccz .LBB23_1479
; %bb.1447:
	s_cmp_gt_i32 s3, 22
	s_cbranch_scc0 .LBB23_1457
; %bb.1448:
	s_cmp_lt_i32 s3, 24
	s_cbranch_scc1 .LBB23_1460
; %bb.1449:
	s_cmp_gt_i32 s3, 24
	s_cbranch_scc0 .LBB23_1461
; %bb.1450:
	global_load_ubyte v5, v[8:9], off
	s_mov_b32 s6, exec_lo
	s_waitcnt vmcnt(0)
	v_cmpx_lt_i16_e32 0x7f, v5
	s_xor_b32 s6, exec_lo, s6
	s_cbranch_execz .LBB23_1473
; %bb.1451:
	s_mov_b32 s5, -1
	s_mov_b32 s7, exec_lo
	v_cmpx_eq_u16_e32 0x80, v5
; %bb.1452:
	s_xor_b32 s5, exec_lo, -1
; %bb.1453:
	s_or_b32 exec_lo, exec_lo, s7
	s_and_b32 s5, s5, exec_lo
	s_or_saveexec_b32 s6, s6
	v_mov_b32_e32 v10, 0x7e00
	s_xor_b32 exec_lo, exec_lo, s6
	s_cbranch_execnz .LBB23_1474
.LBB23_1454:
	s_or_b32 exec_lo, exec_lo, s6
	s_and_saveexec_b32 s6, s5
	s_cbranch_execz .LBB23_1456
.LBB23_1455:
	v_and_b32_e32 v10, 0xffff, v5
	v_lshlrev_b32_e32 v5, 24, v5
	v_and_b32_e32 v11, 3, v10
	v_bfe_u32 v14, v10, 2, 5
	v_and_b32_e32 v5, 0x80000000, v5
	v_ffbh_u32_e32 v12, v11
	v_cmp_eq_u32_e32 vcc_lo, 0, v14
	v_min_u32_e32 v12, 32, v12
	v_subrev_nc_u32_e32 v13, 29, v12
	v_sub_nc_u32_e32 v12, 30, v12
	v_lshlrev_b32_e32 v10, v13, v10
	v_cndmask_b32_e32 v12, v14, v12, vcc_lo
	v_and_b32_e32 v10, 3, v10
	v_cndmask_b32_e32 v10, v11, v10, vcc_lo
	v_lshl_add_u32 v11, v12, 23, 0x37800000
	v_lshlrev_b32_e32 v10, 21, v10
	v_or3_b32 v5, v5, v11, v10
	v_cvt_f16_f32_e32 v10, v5
.LBB23_1456:
	s_or_b32 exec_lo, exec_lo, s6
	s_mov_b32 s5, 0
	s_branch .LBB23_1462
.LBB23_1457:
	s_mov_b32 s5, -1
                                        ; implicit-def: $vgpr10
	s_branch .LBB23_1468
.LBB23_1458:
	s_or_saveexec_b32 s7, s7
	v_mov_b32_e32 v10, 0x7e00
	s_xor_b32 exec_lo, exec_lo, s7
	s_cbranch_execz .LBB23_1441
.LBB23_1459:
	v_cmp_ne_u16_e32 vcc_lo, 0, v5
	v_mov_b32_e32 v10, v5
	s_andn2_b32 s6, s6, exec_lo
	s_and_b32 s14, vcc_lo, exec_lo
	s_or_b32 s6, s6, s14
	s_or_b32 exec_lo, exec_lo, s7
	s_and_saveexec_b32 s7, s6
	s_cbranch_execnz .LBB23_1442
	s_branch .LBB23_1443
.LBB23_1460:
	s_mov_b32 s5, -1
                                        ; implicit-def: $vgpr10
	s_branch .LBB23_1465
.LBB23_1461:
	s_mov_b32 s5, -1
                                        ; implicit-def: $vgpr10
.LBB23_1462:
	s_and_b32 vcc_lo, exec_lo, s5
	s_cbranch_vccz .LBB23_1464
; %bb.1463:
	global_load_ubyte v5, v[8:9], off
	s_waitcnt vmcnt(0)
	v_lshlrev_b32_e32 v5, 24, v5
	v_and_b32_e32 v10, 0x7f000000, v5
	v_ffbh_u32_e32 v11, v10
	v_add_nc_u32_e32 v13, 0x1000000, v10
	v_cmp_ne_u32_e32 vcc_lo, 0, v10
	v_min_u32_e32 v11, 32, v11
	v_sub_nc_u32_e64 v11, v11, 4 clamp
	v_lshlrev_b32_e32 v12, v11, v10
	v_lshlrev_b32_e32 v11, 23, v11
	v_lshrrev_b32_e32 v12, 4, v12
	v_sub_nc_u32_e32 v11, v12, v11
	v_ashrrev_i32_e32 v12, 8, v13
	v_add_nc_u32_e32 v11, 0x3c000000, v11
	v_and_or_b32 v11, 0x7f800000, v12, v11
	v_cndmask_b32_e32 v10, 0, v11, vcc_lo
	v_and_or_b32 v5, 0x80000000, v5, v10
	v_cvt_f16_f32_e32 v10, v5
.LBB23_1464:
	s_mov_b32 s5, 0
.LBB23_1465:
	s_andn2_b32 vcc_lo, exec_lo, s5
	s_cbranch_vccnz .LBB23_1467
; %bb.1466:
	global_load_ubyte v5, v[8:9], off
	s_waitcnt vmcnt(0)
	v_lshlrev_b32_e32 v10, 25, v5
	v_lshlrev_b16 v5, 8, v5
	v_lshrrev_b32_e32 v11, 4, v10
	v_and_or_b32 v12, 0x7f00, v5, 0.5
	v_cmp_gt_u32_e32 vcc_lo, 0x8000000, v10
	v_bfe_i32 v5, v5, 0, 16
	v_or_b32_e32 v11, 0x70000000, v11
	v_add_f32_e32 v12, -0.5, v12
	v_mul_f32_e32 v11, 0x7800000, v11
	v_cndmask_b32_e32 v10, v11, v12, vcc_lo
	v_and_or_b32 v5, 0x80000000, v5, v10
	v_cvt_f16_f32_e32 v10, v5
.LBB23_1467:
	s_mov_b32 s5, 0
	s_mov_b32 s6, -1
.LBB23_1468:
	s_andn2_b32 vcc_lo, exec_lo, s5
	s_mov_b32 s5, 0
	s_cbranch_vccnz .LBB23_1479
; %bb.1469:
	s_cmp_gt_i32 s3, 14
	s_cbranch_scc0 .LBB23_1472
; %bb.1470:
	s_cmp_eq_u32 s3, 15
	s_cbranch_scc0 .LBB23_1475
; %bb.1471:
	global_load_ushort v5, v[8:9], off
	s_mov_b32 s4, 0
	s_mov_b32 s6, -1
	s_waitcnt vmcnt(0)
	v_lshlrev_b32_e32 v5, 16, v5
	v_cvt_f16_f32_e32 v10, v5
	s_branch .LBB23_1477
.LBB23_1472:
	s_mov_b32 s5, -1
	s_branch .LBB23_1476
.LBB23_1473:
	s_or_saveexec_b32 s6, s6
	v_mov_b32_e32 v10, 0x7e00
	s_xor_b32 exec_lo, exec_lo, s6
	s_cbranch_execz .LBB23_1454
.LBB23_1474:
	v_cmp_ne_u16_e32 vcc_lo, 0, v5
	v_mov_b32_e32 v10, v5
	s_andn2_b32 s5, s5, exec_lo
	s_and_b32 s7, vcc_lo, exec_lo
	s_or_b32 s5, s5, s7
	s_or_b32 exec_lo, exec_lo, s6
	s_and_saveexec_b32 s6, s5
	s_cbranch_execnz .LBB23_1455
	s_branch .LBB23_1456
.LBB23_1475:
	s_mov_b32 s4, -1
.LBB23_1476:
                                        ; implicit-def: $vgpr10
.LBB23_1477:
	s_and_b32 vcc_lo, exec_lo, s5
	s_mov_b32 s5, 0
	s_cbranch_vccz .LBB23_1479
; %bb.1478:
	s_cmp_lg_u32 s3, 11
	s_mov_b32 s5, -1
	s_cselect_b32 s4, -1, 0
.LBB23_1479:
	s_and_b32 vcc_lo, exec_lo, s4
	s_cbranch_vccnz .LBB23_1542
; %bb.1480:
	s_andn2_b32 vcc_lo, exec_lo, s5
	s_cbranch_vccnz .LBB23_1482
.LBB23_1481:
	global_load_ubyte v5, v[8:9], off
	s_mov_b32 s6, -1
	s_waitcnt vmcnt(0)
	v_cmp_ne_u16_e32 vcc_lo, 0, v5
	v_cndmask_b32_e64 v10, 0, 0x3c00, vcc_lo
.LBB23_1482:
	s_branch .LBB23_1409
.LBB23_1483:
	s_and_b32 s3, 0xffff, s0
	s_cmp_lt_i32 s3, 5
	s_cbranch_scc1 .LBB23_1488
; %bb.1484:
	s_cmp_lt_i32 s3, 8
	s_cbranch_scc1 .LBB23_1489
; %bb.1485:
	;; [unrolled: 3-line block ×3, first 2 shown]
	s_cmp_gt_i32 s3, 9
	s_cbranch_scc0 .LBB23_1491
; %bb.1487:
	global_load_dwordx2 v[10:11], v[8:9], off
	s_mov_b32 s4, 0
	s_waitcnt vmcnt(0)
	v_and_or_b32 v5, 0x1ff, v11, v10
	v_lshrrev_b32_e32 v10, 8, v11
	v_bfe_u32 v12, v11, 20, 11
	v_cmp_ne_u32_e32 vcc_lo, 0, v5
	v_sub_nc_u32_e32 v13, 0x3f1, v12
	v_add_nc_u32_e32 v12, 0xfffffc10, v12
	v_cndmask_b32_e64 v5, 0, 1, vcc_lo
	v_and_or_b32 v5, 0xffe, v10, v5
	v_med3_i32 v10, v13, 0, 13
	v_or_b32_e32 v13, 0x1000, v5
	v_lshrrev_b32_e32 v14, v10, v13
	v_lshlrev_b32_e32 v10, v10, v14
	v_cmp_ne_u32_e32 vcc_lo, v10, v13
	v_lshl_or_b32 v13, v12, 12, v5
	v_cndmask_b32_e64 v10, 0, 1, vcc_lo
	v_cmp_gt_i32_e32 vcc_lo, 1, v12
	v_or_b32_e32 v10, v14, v10
	v_cndmask_b32_e32 v10, v13, v10, vcc_lo
	v_and_b32_e32 v13, 7, v10
	v_lshrrev_b32_e32 v10, 2, v10
	v_cmp_lt_i32_e32 vcc_lo, 5, v13
	v_cndmask_b32_e64 v14, 0, 1, vcc_lo
	v_cmp_eq_u32_e32 vcc_lo, 3, v13
	v_cndmask_b32_e64 v13, 0, 1, vcc_lo
	v_cmp_ne_u32_e32 vcc_lo, 0, v5
	v_or_b32_e32 v13, v13, v14
	v_mov_b32_e32 v14, 0x7e00
	v_add_nc_u32_e32 v10, v10, v13
	v_cndmask_b32_e32 v5, 0x7c00, v14, vcc_lo
	v_cmp_gt_i32_e32 vcc_lo, 31, v12
	v_cndmask_b32_e32 v10, 0x7c00, v10, vcc_lo
	v_cmp_eq_u32_e32 vcc_lo, 0x40f, v12
	v_cndmask_b32_e32 v5, v10, v5, vcc_lo
	v_lshrrev_b32_e32 v10, 16, v11
	v_and_or_b32 v10, 0x8000, v10, v5
	s_branch .LBB23_1492
.LBB23_1488:
	s_mov_b32 s4, -1
                                        ; implicit-def: $vgpr10
	s_branch .LBB23_1510
.LBB23_1489:
	s_mov_b32 s4, -1
                                        ; implicit-def: $vgpr10
	s_branch .LBB23_1498
.LBB23_1490:
	s_mov_b32 s4, -1
                                        ; implicit-def: $vgpr10
	s_branch .LBB23_1495
.LBB23_1491:
	s_mov_b32 s4, -1
                                        ; implicit-def: $vgpr10
.LBB23_1492:
	s_andn2_b32 vcc_lo, exec_lo, s4
	s_cbranch_vccnz .LBB23_1494
; %bb.1493:
	global_load_dword v5, v[8:9], off
	s_waitcnt vmcnt(0)
	v_cvt_f16_f32_e32 v10, v5
.LBB23_1494:
	s_mov_b32 s4, 0
.LBB23_1495:
	s_andn2_b32 vcc_lo, exec_lo, s4
	s_cbranch_vccnz .LBB23_1497
; %bb.1496:
	global_load_dword v10, v[8:9], off
.LBB23_1497:
	s_mov_b32 s4, 0
.LBB23_1498:
	s_andn2_b32 vcc_lo, exec_lo, s4
	s_cbranch_vccnz .LBB23_1509
; %bb.1499:
	s_cmp_lt_i32 s3, 6
	s_cbranch_scc1 .LBB23_1502
; %bb.1500:
	s_cmp_gt_i32 s3, 6
	s_cbranch_scc0 .LBB23_1503
; %bb.1501:
	global_load_dwordx2 v[10:11], v[8:9], off
	s_mov_b32 s4, 0
	s_waitcnt vmcnt(0)
	v_and_or_b32 v5, 0x1ff, v11, v10
	v_lshrrev_b32_e32 v10, 8, v11
	v_bfe_u32 v12, v11, 20, 11
	v_cmp_ne_u32_e32 vcc_lo, 0, v5
	v_sub_nc_u32_e32 v13, 0x3f1, v12
	v_add_nc_u32_e32 v12, 0xfffffc10, v12
	v_cndmask_b32_e64 v5, 0, 1, vcc_lo
	v_and_or_b32 v5, 0xffe, v10, v5
	v_med3_i32 v10, v13, 0, 13
	v_or_b32_e32 v13, 0x1000, v5
	v_lshrrev_b32_e32 v14, v10, v13
	v_lshlrev_b32_e32 v10, v10, v14
	v_cmp_ne_u32_e32 vcc_lo, v10, v13
	v_lshl_or_b32 v13, v12, 12, v5
	v_cndmask_b32_e64 v10, 0, 1, vcc_lo
	v_cmp_gt_i32_e32 vcc_lo, 1, v12
	v_or_b32_e32 v10, v14, v10
	v_cndmask_b32_e32 v10, v13, v10, vcc_lo
	v_and_b32_e32 v13, 7, v10
	v_lshrrev_b32_e32 v10, 2, v10
	v_cmp_lt_i32_e32 vcc_lo, 5, v13
	v_cndmask_b32_e64 v14, 0, 1, vcc_lo
	v_cmp_eq_u32_e32 vcc_lo, 3, v13
	v_cndmask_b32_e64 v13, 0, 1, vcc_lo
	v_cmp_ne_u32_e32 vcc_lo, 0, v5
	v_or_b32_e32 v13, v13, v14
	v_mov_b32_e32 v14, 0x7e00
	v_add_nc_u32_e32 v10, v10, v13
	v_cndmask_b32_e32 v5, 0x7c00, v14, vcc_lo
	v_cmp_gt_i32_e32 vcc_lo, 31, v12
	v_cndmask_b32_e32 v10, 0x7c00, v10, vcc_lo
	v_cmp_eq_u32_e32 vcc_lo, 0x40f, v12
	v_cndmask_b32_e32 v5, v10, v5, vcc_lo
	v_lshrrev_b32_e32 v10, 16, v11
	v_and_or_b32 v10, 0x8000, v10, v5
	s_branch .LBB23_1504
.LBB23_1502:
	s_mov_b32 s4, -1
                                        ; implicit-def: $vgpr10
	s_branch .LBB23_1507
.LBB23_1503:
	s_mov_b32 s4, -1
                                        ; implicit-def: $vgpr10
.LBB23_1504:
	s_andn2_b32 vcc_lo, exec_lo, s4
	s_cbranch_vccnz .LBB23_1506
; %bb.1505:
	global_load_dword v5, v[8:9], off
	s_waitcnt vmcnt(0)
	v_cvt_f16_f32_e32 v10, v5
.LBB23_1506:
	s_mov_b32 s4, 0
.LBB23_1507:
	s_andn2_b32 vcc_lo, exec_lo, s4
	s_cbranch_vccnz .LBB23_1509
; %bb.1508:
	global_load_ushort v10, v[8:9], off
.LBB23_1509:
	s_mov_b32 s4, 0
.LBB23_1510:
	s_andn2_b32 vcc_lo, exec_lo, s4
	s_cbranch_vccnz .LBB23_1530
; %bb.1511:
	s_cmp_lt_i32 s3, 2
	s_cbranch_scc1 .LBB23_1515
; %bb.1512:
	s_cmp_lt_i32 s3, 3
	s_cbranch_scc1 .LBB23_1516
; %bb.1513:
	s_cmp_gt_i32 s3, 3
	s_cbranch_scc0 .LBB23_1517
; %bb.1514:
	global_load_dwordx2 v[10:11], v[8:9], off
	s_mov_b32 s4, 0
	s_waitcnt vmcnt(0)
	v_xor_b32_e32 v5, v10, v11
	v_ffbh_i32_e32 v12, v11
	v_ashrrev_i32_e32 v5, 31, v5
	v_add_nc_u32_e32 v12, -1, v12
	v_add_nc_u32_e32 v5, 32, v5
	v_min_u32_e32 v5, v12, v5
	v_lshlrev_b64 v[10:11], v5, v[10:11]
	v_sub_nc_u32_e32 v5, 32, v5
	v_min_u32_e32 v10, 1, v10
	v_or_b32_e32 v10, v11, v10
	v_cvt_f32_i32_e32 v10, v10
	v_ldexp_f32 v5, v10, v5
	v_cvt_f16_f32_e32 v10, v5
	s_branch .LBB23_1518
.LBB23_1515:
	s_mov_b32 s4, -1
                                        ; implicit-def: $vgpr10
	s_branch .LBB23_1524
.LBB23_1516:
	s_mov_b32 s4, -1
                                        ; implicit-def: $vgpr10
	s_branch .LBB23_1521
.LBB23_1517:
	s_mov_b32 s4, -1
                                        ; implicit-def: $vgpr10
.LBB23_1518:
	s_andn2_b32 vcc_lo, exec_lo, s4
	s_cbranch_vccnz .LBB23_1520
; %bb.1519:
	global_load_dword v5, v[8:9], off
	s_waitcnt vmcnt(0)
	v_cvt_f32_i32_e32 v5, v5
	v_cvt_f16_f32_e32 v10, v5
.LBB23_1520:
	s_mov_b32 s4, 0
.LBB23_1521:
	s_andn2_b32 vcc_lo, exec_lo, s4
	s_cbranch_vccnz .LBB23_1523
; %bb.1522:
	global_load_ushort v5, v[8:9], off
	s_waitcnt vmcnt(0)
	v_cvt_f16_i16_e32 v10, v5
.LBB23_1523:
	s_mov_b32 s4, 0
.LBB23_1524:
	s_andn2_b32 vcc_lo, exec_lo, s4
	s_cbranch_vccnz .LBB23_1530
; %bb.1525:
	s_cmp_gt_i32 s3, 0
	s_mov_b32 s3, 0
	s_cbranch_scc0 .LBB23_1527
; %bb.1526:
	global_load_sbyte v5, v[8:9], off
	s_waitcnt vmcnt(0)
	v_cvt_f16_i16_e32 v10, v5
	s_branch .LBB23_1528
.LBB23_1527:
	s_mov_b32 s3, -1
                                        ; implicit-def: $vgpr10
.LBB23_1528:
	s_andn2_b32 vcc_lo, exec_lo, s3
	s_cbranch_vccnz .LBB23_1530
; %bb.1529:
	global_load_ubyte v5, v[8:9], off
	s_waitcnt vmcnt(0)
	v_cvt_f16_u16_e32 v10, v5
.LBB23_1530:
.LBB23_1531:
	v_add_co_u32 v7, s3, s10, v7
	v_add_co_ci_u32_e64 v8, null, s11, 0, s3
	s_cmp_lt_i32 s0, 11
	s_cbranch_scc1 .LBB23_1538
; %bb.1532:
	s_and_b32 s3, 0xffff, s0
	s_mov_b32 s5, 0
	s_cmp_gt_i32 s3, 25
	s_cbranch_scc0 .LBB23_1539
; %bb.1533:
	s_cmp_gt_i32 s3, 28
	s_cbranch_scc0 .LBB23_1540
; %bb.1534:
	;; [unrolled: 3-line block ×4, first 2 shown]
	s_cmp_eq_u32 s3, 46
	s_mov_b32 s7, 0
	s_cbranch_scc0 .LBB23_1544
; %bb.1537:
	global_load_dword v5, v[7:8], off
	s_mov_b32 s4, 0
	s_mov_b32 s6, -1
	s_waitcnt vmcnt(0)
	v_lshlrev_b32_e32 v5, 16, v5
	v_cvt_f16_f32_e32 v9, v5
	s_branch .LBB23_1546
.LBB23_1538:
	s_mov_b32 s3, -1
	s_mov_b32 s6, 0
                                        ; implicit-def: $vgpr9
	s_branch .LBB23_1612
.LBB23_1539:
	s_mov_b32 s7, -1
	s_mov_b32 s6, 0
	s_mov_b32 s4, 0
                                        ; implicit-def: $vgpr9
	s_branch .LBB23_1575
.LBB23_1540:
	s_mov_b32 s7, -1
	s_mov_b32 s6, 0
	s_mov_b32 s4, 0
                                        ; implicit-def: $vgpr9
	s_branch .LBB23_1556
.LBB23_1541:
	s_mov_b32 s7, -1
	s_mov_b32 s6, 0
	s_mov_b32 s4, 0
                                        ; implicit-def: $vgpr9
	s_branch .LBB23_1551
.LBB23_1542:
	s_or_b32 s1, s1, exec_lo
	s_trap 2
	s_cbranch_execz .LBB23_1481
	s_branch .LBB23_1482
.LBB23_1543:
	s_mov_b32 s7, -1
	s_mov_b32 s6, 0
	s_mov_b32 s4, 0
	s_branch .LBB23_1545
.LBB23_1544:
	s_mov_b32 s4, -1
	s_mov_b32 s6, 0
.LBB23_1545:
                                        ; implicit-def: $vgpr9
.LBB23_1546:
	s_and_b32 vcc_lo, exec_lo, s7
	s_cbranch_vccz .LBB23_1550
; %bb.1547:
	s_cmp_eq_u32 s3, 44
	s_cbranch_scc0 .LBB23_1549
; %bb.1548:
	global_load_ubyte v5, v[7:8], off
	s_mov_b32 s4, 0
	s_mov_b32 s6, -1
	s_waitcnt vmcnt(0)
	v_lshlrev_b32_e32 v9, 23, v5
	v_cmp_ne_u32_e32 vcc_lo, 0xff, v5
	v_cvt_f16_f32_e32 v9, v9
	v_cndmask_b32_e32 v9, 0x7e00, v9, vcc_lo
	v_cmp_ne_u32_e32 vcc_lo, 0, v5
	v_cndmask_b32_e32 v9, 0, v9, vcc_lo
	s_branch .LBB23_1550
.LBB23_1549:
	s_mov_b32 s4, -1
                                        ; implicit-def: $vgpr9
.LBB23_1550:
	s_mov_b32 s7, 0
.LBB23_1551:
	s_and_b32 vcc_lo, exec_lo, s7
	s_cbranch_vccz .LBB23_1555
; %bb.1552:
	s_cmp_eq_u32 s3, 29
	s_cbranch_scc0 .LBB23_1554
; %bb.1553:
	global_load_dwordx2 v[11:12], v[7:8], off
	s_mov_b32 s4, 0
	s_mov_b32 s6, -1
	s_mov_b32 s7, 0
	s_waitcnt vmcnt(0)
	v_ffbh_u32_e32 v5, v12
	v_min_u32_e32 v5, 32, v5
	v_lshlrev_b64 v[11:12], v5, v[11:12]
	v_sub_nc_u32_e32 v5, 32, v5
	v_min_u32_e32 v9, 1, v11
	v_or_b32_e32 v9, v12, v9
	v_cvt_f32_u32_e32 v9, v9
	v_ldexp_f32 v5, v9, v5
	v_cvt_f16_f32_e32 v9, v5
	s_branch .LBB23_1556
.LBB23_1554:
	s_mov_b32 s4, -1
                                        ; implicit-def: $vgpr9
.LBB23_1555:
	s_mov_b32 s7, 0
.LBB23_1556:
	s_and_b32 vcc_lo, exec_lo, s7
	s_cbranch_vccz .LBB23_1574
; %bb.1557:
	s_cmp_lt_i32 s3, 27
	s_cbranch_scc1 .LBB23_1560
; %bb.1558:
	s_cmp_gt_i32 s3, 27
	s_cbranch_scc0 .LBB23_1561
; %bb.1559:
	global_load_dword v5, v[7:8], off
	s_mov_b32 s6, 0
	s_waitcnt vmcnt(0)
	v_cvt_f32_u32_e32 v5, v5
	v_cvt_f16_f32_e32 v9, v5
	s_branch .LBB23_1562
.LBB23_1560:
	s_mov_b32 s6, -1
                                        ; implicit-def: $vgpr9
	s_branch .LBB23_1565
.LBB23_1561:
	s_mov_b32 s6, -1
                                        ; implicit-def: $vgpr9
.LBB23_1562:
	s_andn2_b32 vcc_lo, exec_lo, s6
	s_cbranch_vccnz .LBB23_1564
; %bb.1563:
	global_load_ushort v5, v[7:8], off
	s_waitcnt vmcnt(0)
	v_cvt_f16_u16_e32 v9, v5
.LBB23_1564:
	s_mov_b32 s6, 0
.LBB23_1565:
	s_andn2_b32 vcc_lo, exec_lo, s6
	s_cbranch_vccnz .LBB23_1573
; %bb.1566:
	global_load_ubyte v5, v[7:8], off
	s_mov_b32 s6, 0
	s_mov_b32 s7, exec_lo
	s_waitcnt vmcnt(0)
	v_cmpx_lt_i16_e32 0x7f, v5
	s_xor_b32 s7, exec_lo, s7
	s_cbranch_execz .LBB23_1587
; %bb.1567:
	s_mov_b32 s6, -1
	s_mov_b32 s10, exec_lo
	v_cmpx_eq_u16_e32 0x80, v5
; %bb.1568:
	s_xor_b32 s6, exec_lo, -1
; %bb.1569:
	s_or_b32 exec_lo, exec_lo, s10
	s_and_b32 s6, s6, exec_lo
	s_or_saveexec_b32 s7, s7
	v_mov_b32_e32 v9, 0x7e00
	s_xor_b32 exec_lo, exec_lo, s7
	s_cbranch_execnz .LBB23_1588
.LBB23_1570:
	s_or_b32 exec_lo, exec_lo, s7
	s_and_saveexec_b32 s7, s6
	s_cbranch_execz .LBB23_1572
.LBB23_1571:
	v_and_b32_e32 v9, 0xffff, v5
	v_lshlrev_b32_e32 v5, 24, v5
	v_and_b32_e32 v11, 7, v9
	v_bfe_u32 v14, v9, 3, 4
	v_and_b32_e32 v5, 0x80000000, v5
	v_ffbh_u32_e32 v12, v11
	v_cmp_eq_u32_e32 vcc_lo, 0, v14
	v_min_u32_e32 v12, 32, v12
	v_subrev_nc_u32_e32 v13, 28, v12
	v_sub_nc_u32_e32 v12, 29, v12
	v_lshlrev_b32_e32 v9, v13, v9
	v_cndmask_b32_e32 v12, v14, v12, vcc_lo
	v_and_b32_e32 v9, 7, v9
	v_cndmask_b32_e32 v9, v11, v9, vcc_lo
	v_lshl_add_u32 v11, v12, 23, 0x3b800000
	v_lshlrev_b32_e32 v9, 20, v9
	v_or3_b32 v5, v5, v11, v9
	v_cvt_f16_f32_e32 v9, v5
.LBB23_1572:
	s_or_b32 exec_lo, exec_lo, s7
.LBB23_1573:
	s_mov_b32 s6, -1
.LBB23_1574:
	s_mov_b32 s7, 0
.LBB23_1575:
	s_and_b32 vcc_lo, exec_lo, s7
	s_cbranch_vccz .LBB23_1608
; %bb.1576:
	s_cmp_gt_i32 s3, 22
	s_cbranch_scc0 .LBB23_1586
; %bb.1577:
	s_cmp_lt_i32 s3, 24
	s_cbranch_scc1 .LBB23_1589
; %bb.1578:
	s_cmp_gt_i32 s3, 24
	s_cbranch_scc0 .LBB23_1590
; %bb.1579:
	global_load_ubyte v5, v[7:8], off
	s_mov_b32 s6, exec_lo
	s_waitcnt vmcnt(0)
	v_cmpx_lt_i16_e32 0x7f, v5
	s_xor_b32 s6, exec_lo, s6
	s_cbranch_execz .LBB23_1602
; %bb.1580:
	s_mov_b32 s5, -1
	s_mov_b32 s7, exec_lo
	v_cmpx_eq_u16_e32 0x80, v5
; %bb.1581:
	s_xor_b32 s5, exec_lo, -1
; %bb.1582:
	s_or_b32 exec_lo, exec_lo, s7
	s_and_b32 s5, s5, exec_lo
	s_or_saveexec_b32 s6, s6
	v_mov_b32_e32 v9, 0x7e00
	s_xor_b32 exec_lo, exec_lo, s6
	s_cbranch_execnz .LBB23_1603
.LBB23_1583:
	s_or_b32 exec_lo, exec_lo, s6
	s_and_saveexec_b32 s6, s5
	s_cbranch_execz .LBB23_1585
.LBB23_1584:
	v_and_b32_e32 v9, 0xffff, v5
	v_lshlrev_b32_e32 v5, 24, v5
	v_and_b32_e32 v11, 3, v9
	v_bfe_u32 v14, v9, 2, 5
	v_and_b32_e32 v5, 0x80000000, v5
	v_ffbh_u32_e32 v12, v11
	v_cmp_eq_u32_e32 vcc_lo, 0, v14
	v_min_u32_e32 v12, 32, v12
	v_subrev_nc_u32_e32 v13, 29, v12
	v_sub_nc_u32_e32 v12, 30, v12
	v_lshlrev_b32_e32 v9, v13, v9
	v_cndmask_b32_e32 v12, v14, v12, vcc_lo
	v_and_b32_e32 v9, 3, v9
	v_cndmask_b32_e32 v9, v11, v9, vcc_lo
	v_lshl_add_u32 v11, v12, 23, 0x37800000
	v_lshlrev_b32_e32 v9, 21, v9
	v_or3_b32 v5, v5, v11, v9
	v_cvt_f16_f32_e32 v9, v5
.LBB23_1585:
	s_or_b32 exec_lo, exec_lo, s6
	s_mov_b32 s5, 0
	s_branch .LBB23_1591
.LBB23_1586:
	s_mov_b32 s5, -1
                                        ; implicit-def: $vgpr9
	s_branch .LBB23_1597
.LBB23_1587:
	s_or_saveexec_b32 s7, s7
	v_mov_b32_e32 v9, 0x7e00
	s_xor_b32 exec_lo, exec_lo, s7
	s_cbranch_execz .LBB23_1570
.LBB23_1588:
	v_cmp_ne_u16_e32 vcc_lo, 0, v5
	v_mov_b32_e32 v9, v5
	s_andn2_b32 s6, s6, exec_lo
	s_and_b32 s10, vcc_lo, exec_lo
	s_or_b32 s6, s6, s10
	s_or_b32 exec_lo, exec_lo, s7
	s_and_saveexec_b32 s7, s6
	s_cbranch_execnz .LBB23_1571
	s_branch .LBB23_1572
.LBB23_1589:
	s_mov_b32 s5, -1
                                        ; implicit-def: $vgpr9
	s_branch .LBB23_1594
.LBB23_1590:
	s_mov_b32 s5, -1
                                        ; implicit-def: $vgpr9
.LBB23_1591:
	s_and_b32 vcc_lo, exec_lo, s5
	s_cbranch_vccz .LBB23_1593
; %bb.1592:
	global_load_ubyte v5, v[7:8], off
	s_waitcnt vmcnt(0)
	v_lshlrev_b32_e32 v5, 24, v5
	v_and_b32_e32 v9, 0x7f000000, v5
	v_ffbh_u32_e32 v11, v9
	v_add_nc_u32_e32 v13, 0x1000000, v9
	v_cmp_ne_u32_e32 vcc_lo, 0, v9
	v_min_u32_e32 v11, 32, v11
	v_sub_nc_u32_e64 v11, v11, 4 clamp
	v_lshlrev_b32_e32 v12, v11, v9
	v_lshlrev_b32_e32 v11, 23, v11
	v_lshrrev_b32_e32 v12, 4, v12
	v_sub_nc_u32_e32 v11, v12, v11
	v_ashrrev_i32_e32 v12, 8, v13
	v_add_nc_u32_e32 v11, 0x3c000000, v11
	v_and_or_b32 v11, 0x7f800000, v12, v11
	v_cndmask_b32_e32 v9, 0, v11, vcc_lo
	v_and_or_b32 v5, 0x80000000, v5, v9
	v_cvt_f16_f32_e32 v9, v5
.LBB23_1593:
	s_mov_b32 s5, 0
.LBB23_1594:
	s_andn2_b32 vcc_lo, exec_lo, s5
	s_cbranch_vccnz .LBB23_1596
; %bb.1595:
	global_load_ubyte v5, v[7:8], off
	s_waitcnt vmcnt(0)
	v_lshlrev_b32_e32 v9, 25, v5
	v_lshlrev_b16 v5, 8, v5
	v_lshrrev_b32_e32 v11, 4, v9
	v_and_or_b32 v12, 0x7f00, v5, 0.5
	v_cmp_gt_u32_e32 vcc_lo, 0x8000000, v9
	v_bfe_i32 v5, v5, 0, 16
	v_or_b32_e32 v11, 0x70000000, v11
	v_add_f32_e32 v12, -0.5, v12
	v_mul_f32_e32 v11, 0x7800000, v11
	v_cndmask_b32_e32 v9, v11, v12, vcc_lo
	v_and_or_b32 v5, 0x80000000, v5, v9
	v_cvt_f16_f32_e32 v9, v5
.LBB23_1596:
	s_mov_b32 s5, 0
	s_mov_b32 s6, -1
.LBB23_1597:
	s_andn2_b32 vcc_lo, exec_lo, s5
	s_mov_b32 s5, 0
	s_cbranch_vccnz .LBB23_1608
; %bb.1598:
	s_cmp_gt_i32 s3, 14
	s_cbranch_scc0 .LBB23_1601
; %bb.1599:
	s_cmp_eq_u32 s3, 15
	s_cbranch_scc0 .LBB23_1604
; %bb.1600:
	global_load_ushort v5, v[7:8], off
	s_mov_b32 s4, 0
	s_mov_b32 s6, -1
	s_waitcnt vmcnt(0)
	v_lshlrev_b32_e32 v5, 16, v5
	v_cvt_f16_f32_e32 v9, v5
	s_branch .LBB23_1606
.LBB23_1601:
	s_mov_b32 s5, -1
	s_branch .LBB23_1605
.LBB23_1602:
	s_or_saveexec_b32 s6, s6
	v_mov_b32_e32 v9, 0x7e00
	s_xor_b32 exec_lo, exec_lo, s6
	s_cbranch_execz .LBB23_1583
.LBB23_1603:
	v_cmp_ne_u16_e32 vcc_lo, 0, v5
	v_mov_b32_e32 v9, v5
	s_andn2_b32 s5, s5, exec_lo
	s_and_b32 s7, vcc_lo, exec_lo
	s_or_b32 s5, s5, s7
	s_or_b32 exec_lo, exec_lo, s6
	s_and_saveexec_b32 s6, s5
	s_cbranch_execnz .LBB23_1584
	s_branch .LBB23_1585
.LBB23_1604:
	s_mov_b32 s4, -1
.LBB23_1605:
                                        ; implicit-def: $vgpr9
.LBB23_1606:
	s_and_b32 vcc_lo, exec_lo, s5
	s_mov_b32 s5, 0
	s_cbranch_vccz .LBB23_1608
; %bb.1607:
	s_cmp_lg_u32 s3, 11
	s_mov_b32 s5, -1
	s_cselect_b32 s4, -1, 0
.LBB23_1608:
	s_and_b32 vcc_lo, exec_lo, s4
	s_cbranch_vccnz .LBB23_2141
; %bb.1609:
	s_andn2_b32 vcc_lo, exec_lo, s5
	s_cbranch_vccnz .LBB23_1611
.LBB23_1610:
	global_load_ubyte v5, v[7:8], off
	s_mov_b32 s6, -1
	s_waitcnt vmcnt(0)
	v_cmp_ne_u16_e32 vcc_lo, 0, v5
	v_cndmask_b32_e64 v9, 0, 0x3c00, vcc_lo
.LBB23_1611:
	s_mov_b32 s3, 0
.LBB23_1612:
	s_and_b32 vcc_lo, exec_lo, s3
	s_cbranch_vccz .LBB23_1661
; %bb.1613:
	s_and_b32 s0, 0xffff, s0
	s_cmp_lt_i32 s0, 5
	s_cbranch_scc1 .LBB23_1618
; %bb.1614:
	s_cmp_lt_i32 s0, 8
	s_cbranch_scc1 .LBB23_1619
; %bb.1615:
	;; [unrolled: 3-line block ×3, first 2 shown]
	s_cmp_gt_i32 s0, 9
	s_cbranch_scc0 .LBB23_1621
; %bb.1617:
	global_load_dwordx2 v[11:12], v[7:8], off
	s_mov_b32 s3, 0
	s_waitcnt vmcnt(0)
	v_and_or_b32 v5, 0x1ff, v12, v11
	v_lshrrev_b32_e32 v9, 8, v12
	v_bfe_u32 v11, v12, 20, 11
	v_cmp_ne_u32_e32 vcc_lo, 0, v5
	v_sub_nc_u32_e32 v13, 0x3f1, v11
	v_add_nc_u32_e32 v11, 0xfffffc10, v11
	v_cndmask_b32_e64 v5, 0, 1, vcc_lo
	v_and_or_b32 v5, 0xffe, v9, v5
	v_med3_i32 v9, v13, 0, 13
	v_or_b32_e32 v13, 0x1000, v5
	v_lshrrev_b32_e32 v14, v9, v13
	v_lshlrev_b32_e32 v9, v9, v14
	v_cmp_ne_u32_e32 vcc_lo, v9, v13
	v_lshl_or_b32 v13, v11, 12, v5
	v_cndmask_b32_e64 v9, 0, 1, vcc_lo
	v_cmp_gt_i32_e32 vcc_lo, 1, v11
	v_or_b32_e32 v9, v14, v9
	v_cndmask_b32_e32 v9, v13, v9, vcc_lo
	v_and_b32_e32 v13, 7, v9
	v_lshrrev_b32_e32 v9, 2, v9
	v_cmp_lt_i32_e32 vcc_lo, 5, v13
	v_cndmask_b32_e64 v14, 0, 1, vcc_lo
	v_cmp_eq_u32_e32 vcc_lo, 3, v13
	v_cndmask_b32_e64 v13, 0, 1, vcc_lo
	v_cmp_ne_u32_e32 vcc_lo, 0, v5
	v_or_b32_e32 v13, v13, v14
	v_mov_b32_e32 v14, 0x7e00
	v_add_nc_u32_e32 v9, v9, v13
	v_cndmask_b32_e32 v5, 0x7c00, v14, vcc_lo
	v_cmp_gt_i32_e32 vcc_lo, 31, v11
	v_cndmask_b32_e32 v9, 0x7c00, v9, vcc_lo
	v_cmp_eq_u32_e32 vcc_lo, 0x40f, v11
	v_cndmask_b32_e32 v5, v9, v5, vcc_lo
	v_lshrrev_b32_e32 v9, 16, v12
	v_and_or_b32 v9, 0x8000, v9, v5
	s_branch .LBB23_1622
.LBB23_1618:
	s_mov_b32 s3, -1
                                        ; implicit-def: $vgpr9
	s_branch .LBB23_1640
.LBB23_1619:
	s_mov_b32 s3, -1
                                        ; implicit-def: $vgpr9
	s_branch .LBB23_1628
.LBB23_1620:
	s_mov_b32 s3, -1
                                        ; implicit-def: $vgpr9
	s_branch .LBB23_1625
.LBB23_1621:
	s_mov_b32 s3, -1
                                        ; implicit-def: $vgpr9
.LBB23_1622:
	s_andn2_b32 vcc_lo, exec_lo, s3
	s_cbranch_vccnz .LBB23_1624
; %bb.1623:
	global_load_dword v5, v[7:8], off
	s_waitcnt vmcnt(0)
	v_cvt_f16_f32_e32 v9, v5
.LBB23_1624:
	s_mov_b32 s3, 0
.LBB23_1625:
	s_andn2_b32 vcc_lo, exec_lo, s3
	s_cbranch_vccnz .LBB23_1627
; %bb.1626:
	global_load_dword v9, v[7:8], off
.LBB23_1627:
	s_mov_b32 s3, 0
.LBB23_1628:
	s_andn2_b32 vcc_lo, exec_lo, s3
	s_cbranch_vccnz .LBB23_1639
; %bb.1629:
	s_cmp_lt_i32 s0, 6
	s_cbranch_scc1 .LBB23_1632
; %bb.1630:
	s_cmp_gt_i32 s0, 6
	s_cbranch_scc0 .LBB23_1633
; %bb.1631:
	global_load_dwordx2 v[11:12], v[7:8], off
	s_mov_b32 s3, 0
	s_waitcnt vmcnt(0)
	v_and_or_b32 v5, 0x1ff, v12, v11
	v_lshrrev_b32_e32 v9, 8, v12
	v_bfe_u32 v11, v12, 20, 11
	v_cmp_ne_u32_e32 vcc_lo, 0, v5
	v_sub_nc_u32_e32 v13, 0x3f1, v11
	v_add_nc_u32_e32 v11, 0xfffffc10, v11
	v_cndmask_b32_e64 v5, 0, 1, vcc_lo
	v_and_or_b32 v5, 0xffe, v9, v5
	v_med3_i32 v9, v13, 0, 13
	v_or_b32_e32 v13, 0x1000, v5
	v_lshrrev_b32_e32 v14, v9, v13
	v_lshlrev_b32_e32 v9, v9, v14
	v_cmp_ne_u32_e32 vcc_lo, v9, v13
	v_lshl_or_b32 v13, v11, 12, v5
	v_cndmask_b32_e64 v9, 0, 1, vcc_lo
	v_cmp_gt_i32_e32 vcc_lo, 1, v11
	v_or_b32_e32 v9, v14, v9
	v_cndmask_b32_e32 v9, v13, v9, vcc_lo
	v_and_b32_e32 v13, 7, v9
	v_lshrrev_b32_e32 v9, 2, v9
	v_cmp_lt_i32_e32 vcc_lo, 5, v13
	v_cndmask_b32_e64 v14, 0, 1, vcc_lo
	v_cmp_eq_u32_e32 vcc_lo, 3, v13
	v_cndmask_b32_e64 v13, 0, 1, vcc_lo
	v_cmp_ne_u32_e32 vcc_lo, 0, v5
	v_or_b32_e32 v13, v13, v14
	v_mov_b32_e32 v14, 0x7e00
	v_add_nc_u32_e32 v9, v9, v13
	v_cndmask_b32_e32 v5, 0x7c00, v14, vcc_lo
	v_cmp_gt_i32_e32 vcc_lo, 31, v11
	v_cndmask_b32_e32 v9, 0x7c00, v9, vcc_lo
	v_cmp_eq_u32_e32 vcc_lo, 0x40f, v11
	v_cndmask_b32_e32 v5, v9, v5, vcc_lo
	v_lshrrev_b32_e32 v9, 16, v12
	v_and_or_b32 v9, 0x8000, v9, v5
	s_branch .LBB23_1634
.LBB23_1632:
	s_mov_b32 s3, -1
                                        ; implicit-def: $vgpr9
	s_branch .LBB23_1637
.LBB23_1633:
	s_mov_b32 s3, -1
                                        ; implicit-def: $vgpr9
.LBB23_1634:
	s_andn2_b32 vcc_lo, exec_lo, s3
	s_cbranch_vccnz .LBB23_1636
; %bb.1635:
	global_load_dword v5, v[7:8], off
	s_waitcnt vmcnt(0)
	v_cvt_f16_f32_e32 v9, v5
.LBB23_1636:
	s_mov_b32 s3, 0
.LBB23_1637:
	s_andn2_b32 vcc_lo, exec_lo, s3
	s_cbranch_vccnz .LBB23_1639
; %bb.1638:
	global_load_ushort v9, v[7:8], off
.LBB23_1639:
	s_mov_b32 s3, 0
.LBB23_1640:
	s_andn2_b32 vcc_lo, exec_lo, s3
	s_cbranch_vccnz .LBB23_1660
; %bb.1641:
	s_cmp_lt_i32 s0, 2
	s_cbranch_scc1 .LBB23_1645
; %bb.1642:
	s_cmp_lt_i32 s0, 3
	s_cbranch_scc1 .LBB23_1646
; %bb.1643:
	s_cmp_gt_i32 s0, 3
	s_cbranch_scc0 .LBB23_1647
; %bb.1644:
	global_load_dwordx2 v[11:12], v[7:8], off
	s_mov_b32 s3, 0
	s_waitcnt vmcnt(0)
	v_xor_b32_e32 v5, v11, v12
	v_ffbh_i32_e32 v9, v12
	v_ashrrev_i32_e32 v5, 31, v5
	v_add_nc_u32_e32 v9, -1, v9
	v_add_nc_u32_e32 v5, 32, v5
	v_min_u32_e32 v5, v9, v5
	v_lshlrev_b64 v[11:12], v5, v[11:12]
	v_sub_nc_u32_e32 v5, 32, v5
	v_min_u32_e32 v9, 1, v11
	v_or_b32_e32 v9, v12, v9
	v_cvt_f32_i32_e32 v9, v9
	v_ldexp_f32 v5, v9, v5
	v_cvt_f16_f32_e32 v9, v5
	s_branch .LBB23_1648
.LBB23_1645:
	s_mov_b32 s3, -1
                                        ; implicit-def: $vgpr9
	s_branch .LBB23_1654
.LBB23_1646:
	s_mov_b32 s3, -1
                                        ; implicit-def: $vgpr9
	s_branch .LBB23_1651
.LBB23_1647:
	s_mov_b32 s3, -1
                                        ; implicit-def: $vgpr9
.LBB23_1648:
	s_andn2_b32 vcc_lo, exec_lo, s3
	s_cbranch_vccnz .LBB23_1650
; %bb.1649:
	global_load_dword v5, v[7:8], off
	s_waitcnt vmcnt(0)
	v_cvt_f32_i32_e32 v5, v5
	v_cvt_f16_f32_e32 v9, v5
.LBB23_1650:
	s_mov_b32 s3, 0
.LBB23_1651:
	s_andn2_b32 vcc_lo, exec_lo, s3
	s_cbranch_vccnz .LBB23_1653
; %bb.1652:
	global_load_ushort v5, v[7:8], off
	s_waitcnt vmcnt(0)
	v_cvt_f16_i16_e32 v9, v5
.LBB23_1653:
	s_mov_b32 s3, 0
.LBB23_1654:
	s_andn2_b32 vcc_lo, exec_lo, s3
	s_cbranch_vccnz .LBB23_1660
; %bb.1655:
	s_cmp_gt_i32 s0, 0
	s_mov_b32 s0, 0
	s_cbranch_scc0 .LBB23_1657
; %bb.1656:
	global_load_sbyte v5, v[7:8], off
	s_waitcnt vmcnt(0)
	v_cvt_f16_i16_e32 v9, v5
	s_branch .LBB23_1658
.LBB23_1657:
	s_mov_b32 s0, -1
                                        ; implicit-def: $vgpr9
.LBB23_1658:
	s_andn2_b32 vcc_lo, exec_lo, s0
	s_cbranch_vccnz .LBB23_1660
; %bb.1659:
	global_load_ubyte v5, v[7:8], off
	s_waitcnt vmcnt(0)
	v_cvt_f16_u16_e32 v9, v5
.LBB23_1660:
	s_mov_b32 s6, -1
.LBB23_1661:
	s_andn2_b32 vcc_lo, exec_lo, s6
	s_cbranch_vccnz .LBB23_2095
; %bb.1662:
	s_waitcnt vmcnt(0)
	v_cvt_f32_f16_e32 v5, v1
	s_mov_b32 s0, 0x3b2d2a58
	s_bfe_u32 s3, s2, 0x80008
	s_cmp_lt_i32 s3, 11
	v_rcp_f32_e64 v7, |v5|
	v_cmp_gt_f32_e64 vcc_lo, |v5|, 1.0
	v_cndmask_b32_e64 v5, |v5|, v7, vcc_lo
	v_mul_f32_e32 v7, v5, v5
	v_fmaak_f32 v8, s0, v7, 0xbc7a590c
	v_fmaak_f32 v8, v7, v8, 0x3d29fb3f
	;; [unrolled: 1-line block ×7, first 2 shown]
	v_mul_f32_e32 v7, v7, v8
	v_fmac_f32_e32 v5, v5, v7
	v_sub_f32_e32 v7, 0x3fc90fdb, v5
	v_cndmask_b32_e32 v5, v5, v7, vcc_lo
	v_cvt_f16_f32_e32 v5, v5
	v_bfi_b32 v1, 0x7fff, v5, v1
	v_add_co_u32 v5, s0, s8, v6
	v_add_co_ci_u32_e64 v6, null, s9, 0, s0
	s_cbranch_scc1 .LBB23_1740
; %bb.1663:
	s_and_b32 s4, 0xffff, s3
	s_mov_b32 s7, -1
	s_mov_b32 s5, 0
	s_cmp_gt_i32 s4, 25
	s_mov_b32 s6, 0
	s_mov_b32 s0, 0
	s_cbranch_scc0 .LBB23_1696
; %bb.1664:
	s_cmp_gt_i32 s4, 28
	s_cbranch_scc0 .LBB23_1679
; %bb.1665:
	s_cmp_gt_i32 s4, 43
	;; [unrolled: 3-line block ×3, first 2 shown]
	s_cbranch_scc0 .LBB23_1669
; %bb.1667:
	s_mov_b32 s0, -1
	s_mov_b32 s7, 0
	s_cmp_eq_u32 s4, 46
	s_cbranch_scc0 .LBB23_1669
; %bb.1668:
	v_cvt_f32_f16_e32 v7, v1
	v_cmp_o_f16_e32 vcc_lo, v1, v1
	s_mov_b32 s0, 0
	s_mov_b32 s6, -1
	v_bfe_u32 v8, v7, 16, 1
	v_add3_u32 v7, v7, v8, 0x7fff
	v_mov_b32_e32 v8, 0x7fc0
	v_cndmask_b32_sdwa v7, v8, v7, vcc_lo dst_sel:DWORD dst_unused:UNUSED_PAD src0_sel:DWORD src1_sel:WORD_1
	global_store_dword v[5:6], v7, off
.LBB23_1669:
	s_and_b32 vcc_lo, exec_lo, s7
	s_cbranch_vccz .LBB23_1674
; %bb.1670:
	s_cmp_eq_u32 s4, 44
	s_mov_b32 s0, -1
	s_cbranch_scc0 .LBB23_1674
; %bb.1671:
	v_cvt_f32_f16_e32 v7, v1
	v_mov_b32_e32 v8, 0xff
	s_mov_b32 s6, exec_lo
	v_bfe_u32 v11, v7, 23, 8
	v_cmpx_ne_u32_e32 0xff, v11
	s_cbranch_execz .LBB23_1673
; %bb.1672:
	v_and_b32_e32 v8, 0x400000, v7
	v_and_or_b32 v11, 0x3fffff, v7, v11
	v_lshrrev_b32_e32 v7, 23, v7
	v_cmp_ne_u32_e32 vcc_lo, 0, v8
	v_cmp_ne_u32_e64 s0, 0, v11
	s_and_b32 s0, vcc_lo, s0
	v_cndmask_b32_e64 v8, 0, 1, s0
	v_add_nc_u32_e32 v8, v7, v8
.LBB23_1673:
	s_or_b32 exec_lo, exec_lo, s6
	s_mov_b32 s0, 0
	s_mov_b32 s6, -1
	global_store_byte v[5:6], v8, off
.LBB23_1674:
	s_mov_b32 s7, 0
.LBB23_1675:
	s_and_b32 vcc_lo, exec_lo, s7
	s_cbranch_vccz .LBB23_1678
; %bb.1676:
	s_cmp_eq_u32 s4, 29
	s_mov_b32 s0, -1
	s_cbranch_scc0 .LBB23_1678
; %bb.1677:
	v_cvt_f32_f16_e32 v7, v1
	v_mov_b32_e32 v8, 0
	s_mov_b32 s0, 0
	s_mov_b32 s6, -1
	v_cvt_u32_f32_e32 v7, v7
	global_store_dwordx2 v[5:6], v[7:8], off
.LBB23_1678:
	s_mov_b32 s7, 0
.LBB23_1679:
	s_and_b32 vcc_lo, exec_lo, s7
	s_cbranch_vccz .LBB23_1695
; %bb.1680:
	s_cmp_lt_i32 s4, 27
	s_mov_b32 s6, -1
	s_cbranch_scc1 .LBB23_1686
; %bb.1681:
	s_cmp_gt_i32 s4, 27
	s_cbranch_scc0 .LBB23_1683
; %bb.1682:
	v_cvt_f32_f16_e32 v7, v1
	s_mov_b32 s6, 0
	v_cvt_u32_f32_e32 v7, v7
	global_store_dword v[5:6], v7, off
.LBB23_1683:
	s_andn2_b32 vcc_lo, exec_lo, s6
	s_cbranch_vccnz .LBB23_1685
; %bb.1684:
	v_cvt_u16_f16_e32 v7, v1
	global_store_short v[5:6], v7, off
.LBB23_1685:
	s_mov_b32 s6, 0
.LBB23_1686:
	s_andn2_b32 vcc_lo, exec_lo, s6
	s_cbranch_vccnz .LBB23_1694
; %bb.1687:
	v_cvt_f32_f16_e32 v7, v1
	v_mov_b32_e32 v11, 0x80
	s_mov_b32 s6, exec_lo
	v_and_b32_e32 v8, 0x7fffffff, v7
	v_cmpx_gt_u32_e32 0x43800000, v8
	s_cbranch_execz .LBB23_1693
; %bb.1688:
	v_cmp_lt_u32_e32 vcc_lo, 0x3bffffff, v8
	s_mov_b32 s7, 0
                                        ; implicit-def: $vgpr8
	s_and_saveexec_b32 s10, vcc_lo
	s_xor_b32 s10, exec_lo, s10
	s_cbranch_execz .LBB23_2142
; %bb.1689:
	v_bfe_u32 v8, v7, 20, 1
	s_mov_b32 s7, exec_lo
	v_add3_u32 v8, v7, v8, 0x487ffff
	v_lshrrev_b32_e32 v8, 20, v8
	s_andn2_saveexec_b32 s10, s10
	s_cbranch_execnz .LBB23_2143
.LBB23_1690:
	s_or_b32 exec_lo, exec_lo, s10
	v_mov_b32_e32 v11, 0
	s_and_saveexec_b32 s10, s7
.LBB23_1691:
	v_lshrrev_b32_e32 v7, 24, v7
	v_and_or_b32 v11, 0x80, v7, v8
.LBB23_1692:
	s_or_b32 exec_lo, exec_lo, s10
.LBB23_1693:
	s_or_b32 exec_lo, exec_lo, s6
	global_store_byte v[5:6], v11, off
.LBB23_1694:
	s_mov_b32 s6, -1
.LBB23_1695:
	s_mov_b32 s7, 0
.LBB23_1696:
	s_and_b32 vcc_lo, exec_lo, s7
	s_cbranch_vccz .LBB23_1736
; %bb.1697:
	s_cmp_gt_i32 s4, 22
	s_mov_b32 s5, -1
	s_cbranch_scc0 .LBB23_1729
; %bb.1698:
	s_cmp_lt_i32 s4, 24
	s_cbranch_scc1 .LBB23_1718
; %bb.1699:
	s_cmp_gt_i32 s4, 24
	s_cbranch_scc0 .LBB23_1707
; %bb.1700:
	v_cvt_f32_f16_e32 v7, v1
	v_mov_b32_e32 v11, 0x80
	s_mov_b32 s5, exec_lo
	v_and_b32_e32 v8, 0x7fffffff, v7
	v_cmpx_gt_u32_e32 0x47800000, v8
	s_cbranch_execz .LBB23_1706
; %bb.1701:
	v_cmp_lt_u32_e32 vcc_lo, 0x37ffffff, v8
	s_mov_b32 s6, 0
                                        ; implicit-def: $vgpr8
	s_and_saveexec_b32 s7, vcc_lo
	s_xor_b32 s7, exec_lo, s7
	s_cbranch_execz .LBB23_2145
; %bb.1702:
	v_bfe_u32 v8, v7, 21, 1
	s_mov_b32 s6, exec_lo
	v_add3_u32 v8, v7, v8, 0x88fffff
	v_lshrrev_b32_e32 v8, 21, v8
	s_andn2_saveexec_b32 s7, s7
	s_cbranch_execnz .LBB23_2146
.LBB23_1703:
	s_or_b32 exec_lo, exec_lo, s7
	v_mov_b32_e32 v11, 0
	s_and_saveexec_b32 s7, s6
.LBB23_1704:
	v_lshrrev_b32_e32 v7, 24, v7
	v_and_or_b32 v11, 0x80, v7, v8
.LBB23_1705:
	s_or_b32 exec_lo, exec_lo, s7
.LBB23_1706:
	s_or_b32 exec_lo, exec_lo, s5
	s_mov_b32 s5, 0
	global_store_byte v[5:6], v11, off
.LBB23_1707:
	s_and_b32 vcc_lo, exec_lo, s5
	s_cbranch_vccz .LBB23_1717
; %bb.1708:
	v_cvt_f32_f16_e32 v7, v1
	s_mov_b32 s5, exec_lo
                                        ; implicit-def: $vgpr8
	v_and_b32_e32 v11, 0x7fffffff, v7
	v_cmpx_gt_u32_e32 0x43f00000, v11
	s_xor_b32 s5, exec_lo, s5
	s_cbranch_execz .LBB23_1714
; %bb.1709:
	s_mov_b32 s6, exec_lo
                                        ; implicit-def: $vgpr8
	v_cmpx_lt_u32_e32 0x3c7fffff, v11
	s_xor_b32 s6, exec_lo, s6
; %bb.1710:
	v_bfe_u32 v8, v7, 20, 1
	v_add3_u32 v8, v7, v8, 0x407ffff
	v_and_b32_e32 v11, 0xff00000, v8
	v_lshrrev_b32_e32 v8, 20, v8
	v_cmp_ne_u32_e32 vcc_lo, 0x7f00000, v11
	v_cndmask_b32_e32 v8, 0x7e, v8, vcc_lo
; %bb.1711:
	s_andn2_saveexec_b32 s6, s6
; %bb.1712:
	v_add_f32_e64 v8, 0x46800000, |v7|
; %bb.1713:
	s_or_b32 exec_lo, exec_lo, s6
                                        ; implicit-def: $vgpr11
.LBB23_1714:
	s_andn2_saveexec_b32 s5, s5
; %bb.1715:
	v_mov_b32_e32 v8, 0x7f
	v_cmp_lt_u32_e32 vcc_lo, 0x7f800000, v11
	v_cndmask_b32_e32 v8, 0x7e, v8, vcc_lo
; %bb.1716:
	s_or_b32 exec_lo, exec_lo, s5
	v_lshrrev_b32_e32 v7, 24, v7
	v_and_or_b32 v7, 0x80, v7, v8
	global_store_byte v[5:6], v7, off
.LBB23_1717:
	s_mov_b32 s5, 0
.LBB23_1718:
	s_andn2_b32 vcc_lo, exec_lo, s5
	s_cbranch_vccnz .LBB23_1728
; %bb.1719:
	v_cvt_f32_f16_e32 v7, v1
	s_mov_b32 s5, exec_lo
                                        ; implicit-def: $vgpr8
	v_and_b32_e32 v11, 0x7fffffff, v7
	v_cmpx_gt_u32_e32 0x47800000, v11
	s_xor_b32 s5, exec_lo, s5
	s_cbranch_execz .LBB23_1725
; %bb.1720:
	s_mov_b32 s6, exec_lo
                                        ; implicit-def: $vgpr8
	v_cmpx_lt_u32_e32 0x387fffff, v11
	s_xor_b32 s6, exec_lo, s6
; %bb.1721:
	v_bfe_u32 v8, v7, 21, 1
	v_add3_u32 v8, v7, v8, 0x80fffff
	v_lshrrev_b32_e32 v8, 21, v8
; %bb.1722:
	s_andn2_saveexec_b32 s6, s6
; %bb.1723:
	v_add_f32_e64 v8, 0x43000000, |v7|
; %bb.1724:
	s_or_b32 exec_lo, exec_lo, s6
                                        ; implicit-def: $vgpr11
.LBB23_1725:
	s_andn2_saveexec_b32 s5, s5
; %bb.1726:
	v_mov_b32_e32 v8, 0x7f
	v_cmp_lt_u32_e32 vcc_lo, 0x7f800000, v11
	v_cndmask_b32_e32 v8, 0x7c, v8, vcc_lo
; %bb.1727:
	s_or_b32 exec_lo, exec_lo, s5
	v_lshrrev_b32_e32 v7, 24, v7
	v_and_or_b32 v7, 0x80, v7, v8
	global_store_byte v[5:6], v7, off
.LBB23_1728:
	s_mov_b32 s5, 0
	s_mov_b32 s6, -1
.LBB23_1729:
	s_andn2_b32 vcc_lo, exec_lo, s5
	s_mov_b32 s5, 0
	s_cbranch_vccnz .LBB23_1736
; %bb.1730:
	s_cmp_gt_i32 s4, 14
	s_mov_b32 s5, -1
	s_cbranch_scc0 .LBB23_1734
; %bb.1731:
	s_cmp_eq_u32 s4, 15
	s_mov_b32 s0, -1
	s_cbranch_scc0 .LBB23_1733
; %bb.1732:
	v_cvt_f32_f16_e32 v7, v1
	v_cmp_o_f16_e32 vcc_lo, v1, v1
	s_mov_b32 s0, 0
	s_mov_b32 s6, -1
	v_bfe_u32 v8, v7, 16, 1
	v_add3_u32 v7, v7, v8, 0x7fff
	v_mov_b32_e32 v8, 0x7fc0
	v_cndmask_b32_sdwa v7, v8, v7, vcc_lo dst_sel:DWORD dst_unused:UNUSED_PAD src0_sel:DWORD src1_sel:WORD_1
	global_store_short v[5:6], v7, off
.LBB23_1733:
	s_mov_b32 s5, 0
.LBB23_1734:
	s_and_b32 vcc_lo, exec_lo, s5
	s_mov_b32 s5, 0
	s_cbranch_vccz .LBB23_1736
; %bb.1735:
	s_cmp_lg_u32 s4, 11
	s_mov_b32 s5, -1
	s_cselect_b32 s0, -1, 0
.LBB23_1736:
	s_and_b32 vcc_lo, exec_lo, s0
	s_cbranch_vccnz .LBB23_2144
; %bb.1737:
	s_andn2_b32 vcc_lo, exec_lo, s5
	s_cbranch_vccnz .LBB23_1739
.LBB23_1738:
	v_cmp_neq_f16_e32 vcc_lo, 0, v1
	s_mov_b32 s6, -1
	v_cndmask_b32_e64 v7, 0, 1, vcc_lo
	global_store_byte v[5:6], v7, off
.LBB23_1739:
	s_mov_b32 s0, 0
	s_branch .LBB23_1741
.LBB23_1740:
	s_mov_b32 s0, -1
	s_mov_b32 s6, 0
.LBB23_1741:
	s_and_b32 vcc_lo, exec_lo, s0
	s_cbranch_vccz .LBB23_1780
; %bb.1742:
	s_and_b32 s0, 0xffff, s3
	s_mov_b32 s3, -1
	s_cmp_lt_i32 s0, 5
	s_cbranch_scc1 .LBB23_1763
; %bb.1743:
	s_cmp_lt_i32 s0, 8
	s_cbranch_scc1 .LBB23_1753
; %bb.1744:
	;; [unrolled: 3-line block ×3, first 2 shown]
	s_cmp_gt_i32 s0, 9
	s_cbranch_scc0 .LBB23_1747
; %bb.1746:
	v_cvt_f32_f16_e32 v7, v1
	v_mov_b32_e32 v13, 0
	s_mov_b32 s3, 0
	v_cvt_f64_f32_e32 v[11:12], v7
	v_mov_b32_e32 v14, v13
	global_store_dwordx4 v[5:6], v[11:14], off
.LBB23_1747:
	s_andn2_b32 vcc_lo, exec_lo, s3
	s_cbranch_vccnz .LBB23_1749
; %bb.1748:
	v_cvt_f32_f16_e32 v7, v1
	v_mov_b32_e32 v8, 0
	global_store_dwordx2 v[5:6], v[7:8], off
.LBB23_1749:
	s_mov_b32 s3, 0
.LBB23_1750:
	s_andn2_b32 vcc_lo, exec_lo, s3
	s_cbranch_vccnz .LBB23_1752
; %bb.1751:
	v_and_b32_e32 v7, 0xffff, v1
	global_store_dword v[5:6], v7, off
.LBB23_1752:
	s_mov_b32 s3, 0
.LBB23_1753:
	s_andn2_b32 vcc_lo, exec_lo, s3
	s_cbranch_vccnz .LBB23_1762
; %bb.1754:
	s_cmp_lt_i32 s0, 6
	s_mov_b32 s3, -1
	s_cbranch_scc1 .LBB23_1760
; %bb.1755:
	s_cmp_gt_i32 s0, 6
	s_cbranch_scc0 .LBB23_1757
; %bb.1756:
	v_cvt_f32_f16_e32 v7, v1
	s_mov_b32 s3, 0
	v_cvt_f64_f32_e32 v[7:8], v7
	global_store_dwordx2 v[5:6], v[7:8], off
.LBB23_1757:
	s_andn2_b32 vcc_lo, exec_lo, s3
	s_cbranch_vccnz .LBB23_1759
; %bb.1758:
	v_cvt_f32_f16_e32 v7, v1
	global_store_dword v[5:6], v7, off
.LBB23_1759:
	s_mov_b32 s3, 0
.LBB23_1760:
	s_andn2_b32 vcc_lo, exec_lo, s3
	s_cbranch_vccnz .LBB23_1762
; %bb.1761:
	global_store_short v[5:6], v1, off
.LBB23_1762:
	s_mov_b32 s3, 0
.LBB23_1763:
	s_andn2_b32 vcc_lo, exec_lo, s3
	s_cbranch_vccnz .LBB23_1779
; %bb.1764:
	s_cmp_lt_i32 s0, 2
	s_mov_b32 s3, -1
	s_cbranch_scc1 .LBB23_1774
; %bb.1765:
	s_cmp_lt_i32 s0, 3
	s_cbranch_scc1 .LBB23_1771
; %bb.1766:
	s_cmp_gt_i32 s0, 3
	s_cbranch_scc0 .LBB23_1768
; %bb.1767:
	v_cvt_f32_f16_e32 v7, v1
	s_mov_b32 s3, 0
	v_cvt_i32_f32_e32 v7, v7
	v_ashrrev_i32_e32 v8, 31, v7
	global_store_dwordx2 v[5:6], v[7:8], off
.LBB23_1768:
	s_andn2_b32 vcc_lo, exec_lo, s3
	s_cbranch_vccnz .LBB23_1770
; %bb.1769:
	v_cvt_f32_f16_e32 v7, v1
	v_cvt_i32_f32_e32 v7, v7
	global_store_dword v[5:6], v7, off
.LBB23_1770:
	s_mov_b32 s3, 0
.LBB23_1771:
	s_andn2_b32 vcc_lo, exec_lo, s3
	s_cbranch_vccnz .LBB23_1773
; %bb.1772:
	v_cvt_i16_f16_e32 v7, v1
	global_store_short v[5:6], v7, off
.LBB23_1773:
	s_mov_b32 s3, 0
.LBB23_1774:
	s_andn2_b32 vcc_lo, exec_lo, s3
	s_cbranch_vccnz .LBB23_1779
; %bb.1775:
	s_cmp_gt_i32 s0, 0
	s_mov_b32 s0, -1
	s_cbranch_scc0 .LBB23_1777
; %bb.1776:
	v_cvt_i16_f16_e32 v7, v1
	s_mov_b32 s0, 0
	global_store_byte v[5:6], v7, off
.LBB23_1777:
	s_andn2_b32 vcc_lo, exec_lo, s0
	s_cbranch_vccnz .LBB23_1779
; %bb.1778:
	v_cvt_f32_f16_e32 v1, v1
	v_cvt_i32_f32_e32 v1, v1
	global_store_byte v[5:6], v1, off
.LBB23_1779:
	s_mov_b32 s6, -1
.LBB23_1780:
	s_andn2_b32 vcc_lo, exec_lo, s6
	s_cbranch_vccnz .LBB23_2095
; %bb.1781:
	v_cvt_f32_f16_e32 v1, v3
	s_mov_b32 s0, 0x3b2d2a58
	v_rcp_f32_e64 v5, |v1|
	v_cmp_gt_f32_e64 vcc_lo, |v1|, 1.0
	v_cndmask_b32_e64 v1, |v1|, v5, vcc_lo
	v_mul_f32_e32 v5, v1, v1
	v_fmaak_f32 v6, s0, v5, 0xbc7a590c
	s_lshr_b32 s0, s2, 8
	s_and_b32 s6, s0, 0xff
	s_cmp_lt_i32 s6, 11
	v_fmaak_f32 v6, v5, v6, 0x3d29fb3f
	v_fmaak_f32 v6, v5, v6, 0xbd97d4d7
	;; [unrolled: 1-line block ×6, first 2 shown]
	v_mul_f32_e32 v5, v5, v6
	v_fmac_f32_e32 v1, v1, v5
	v_sub_f32_e32 v5, 0x3fc90fdb, v1
	v_cndmask_b32_e32 v1, v1, v5, vcc_lo
	v_cvt_f16_f32_e32 v1, v1
	v_bfi_b32 v1, 0x7fff, v1, v3
	v_add_co_u32 v3, s0, s8, v4
	v_add_co_ci_u32_e64 v4, null, s9, 0, s0
	s_cbranch_scc1 .LBB23_1859
; %bb.1782:
	s_and_b32 s2, 0xffff, s6
	s_mov_b32 s5, -1
	s_mov_b32 s3, 0
	s_cmp_gt_i32 s2, 25
	s_mov_b32 s4, 0
	s_mov_b32 s0, 0
	s_cbranch_scc0 .LBB23_1815
; %bb.1783:
	s_cmp_gt_i32 s2, 28
	s_cbranch_scc0 .LBB23_1798
; %bb.1784:
	s_cmp_gt_i32 s2, 43
	;; [unrolled: 3-line block ×3, first 2 shown]
	s_cbranch_scc0 .LBB23_1788
; %bb.1786:
	s_mov_b32 s0, -1
	s_mov_b32 s5, 0
	s_cmp_eq_u32 s2, 46
	s_cbranch_scc0 .LBB23_1788
; %bb.1787:
	v_cvt_f32_f16_e32 v5, v1
	v_cmp_o_f16_e32 vcc_lo, v1, v1
	s_mov_b32 s0, 0
	s_mov_b32 s4, -1
	v_bfe_u32 v6, v5, 16, 1
	v_add3_u32 v5, v5, v6, 0x7fff
	v_mov_b32_e32 v6, 0x7fc0
	v_cndmask_b32_sdwa v5, v6, v5, vcc_lo dst_sel:DWORD dst_unused:UNUSED_PAD src0_sel:DWORD src1_sel:WORD_1
	global_store_dword v[3:4], v5, off
.LBB23_1788:
	s_and_b32 vcc_lo, exec_lo, s5
	s_cbranch_vccz .LBB23_1793
; %bb.1789:
	s_cmp_eq_u32 s2, 44
	s_mov_b32 s0, -1
	s_cbranch_scc0 .LBB23_1793
; %bb.1790:
	v_cvt_f32_f16_e32 v5, v1
	v_mov_b32_e32 v6, 0xff
	s_mov_b32 s4, exec_lo
	v_bfe_u32 v7, v5, 23, 8
	v_cmpx_ne_u32_e32 0xff, v7
	s_cbranch_execz .LBB23_1792
; %bb.1791:
	v_and_b32_e32 v6, 0x400000, v5
	v_and_or_b32 v7, 0x3fffff, v5, v7
	v_lshrrev_b32_e32 v5, 23, v5
	v_cmp_ne_u32_e32 vcc_lo, 0, v6
	v_cmp_ne_u32_e64 s0, 0, v7
	s_and_b32 s0, vcc_lo, s0
	v_cndmask_b32_e64 v6, 0, 1, s0
	v_add_nc_u32_e32 v6, v5, v6
.LBB23_1792:
	s_or_b32 exec_lo, exec_lo, s4
	s_mov_b32 s0, 0
	s_mov_b32 s4, -1
	global_store_byte v[3:4], v6, off
.LBB23_1793:
	s_mov_b32 s5, 0
.LBB23_1794:
	s_and_b32 vcc_lo, exec_lo, s5
	s_cbranch_vccz .LBB23_1797
; %bb.1795:
	s_cmp_eq_u32 s2, 29
	s_mov_b32 s0, -1
	s_cbranch_scc0 .LBB23_1797
; %bb.1796:
	v_cvt_f32_f16_e32 v5, v1
	v_mov_b32_e32 v6, 0
	s_mov_b32 s0, 0
	s_mov_b32 s4, -1
	v_cvt_u32_f32_e32 v5, v5
	global_store_dwordx2 v[3:4], v[5:6], off
.LBB23_1797:
	s_mov_b32 s5, 0
.LBB23_1798:
	s_and_b32 vcc_lo, exec_lo, s5
	s_cbranch_vccz .LBB23_1814
; %bb.1799:
	s_cmp_lt_i32 s2, 27
	s_mov_b32 s4, -1
	s_cbranch_scc1 .LBB23_1805
; %bb.1800:
	s_cmp_gt_i32 s2, 27
	s_cbranch_scc0 .LBB23_1802
; %bb.1801:
	v_cvt_f32_f16_e32 v5, v1
	s_mov_b32 s4, 0
	v_cvt_u32_f32_e32 v5, v5
	global_store_dword v[3:4], v5, off
.LBB23_1802:
	s_andn2_b32 vcc_lo, exec_lo, s4
	s_cbranch_vccnz .LBB23_1804
; %bb.1803:
	v_cvt_u16_f16_e32 v5, v1
	global_store_short v[3:4], v5, off
.LBB23_1804:
	s_mov_b32 s4, 0
.LBB23_1805:
	s_andn2_b32 vcc_lo, exec_lo, s4
	s_cbranch_vccnz .LBB23_1813
; %bb.1806:
	v_cvt_f32_f16_e32 v5, v1
	v_mov_b32_e32 v7, 0x80
	s_mov_b32 s4, exec_lo
	v_and_b32_e32 v6, 0x7fffffff, v5
	v_cmpx_gt_u32_e32 0x43800000, v6
	s_cbranch_execz .LBB23_1812
; %bb.1807:
	v_cmp_lt_u32_e32 vcc_lo, 0x3bffffff, v6
	s_mov_b32 s5, 0
                                        ; implicit-def: $vgpr6
	s_and_saveexec_b32 s7, vcc_lo
	s_xor_b32 s7, exec_lo, s7
	s_cbranch_execz .LBB23_2147
; %bb.1808:
	v_bfe_u32 v6, v5, 20, 1
	s_mov_b32 s5, exec_lo
	v_add3_u32 v6, v5, v6, 0x487ffff
	v_lshrrev_b32_e32 v6, 20, v6
	s_andn2_saveexec_b32 s7, s7
	s_cbranch_execnz .LBB23_2148
.LBB23_1809:
	s_or_b32 exec_lo, exec_lo, s7
	v_mov_b32_e32 v7, 0
	s_and_saveexec_b32 s7, s5
.LBB23_1810:
	v_lshrrev_b32_e32 v5, 24, v5
	v_and_or_b32 v7, 0x80, v5, v6
.LBB23_1811:
	s_or_b32 exec_lo, exec_lo, s7
.LBB23_1812:
	s_or_b32 exec_lo, exec_lo, s4
	global_store_byte v[3:4], v7, off
.LBB23_1813:
	s_mov_b32 s4, -1
.LBB23_1814:
	s_mov_b32 s5, 0
.LBB23_1815:
	s_and_b32 vcc_lo, exec_lo, s5
	s_cbranch_vccz .LBB23_1855
; %bb.1816:
	s_cmp_gt_i32 s2, 22
	s_mov_b32 s3, -1
	s_cbranch_scc0 .LBB23_1848
; %bb.1817:
	s_cmp_lt_i32 s2, 24
	s_cbranch_scc1 .LBB23_1837
; %bb.1818:
	s_cmp_gt_i32 s2, 24
	s_cbranch_scc0 .LBB23_1826
; %bb.1819:
	v_cvt_f32_f16_e32 v5, v1
	v_mov_b32_e32 v7, 0x80
	s_mov_b32 s3, exec_lo
	v_and_b32_e32 v6, 0x7fffffff, v5
	v_cmpx_gt_u32_e32 0x47800000, v6
	s_cbranch_execz .LBB23_1825
; %bb.1820:
	v_cmp_lt_u32_e32 vcc_lo, 0x37ffffff, v6
	s_mov_b32 s4, 0
                                        ; implicit-def: $vgpr6
	s_and_saveexec_b32 s5, vcc_lo
	s_xor_b32 s5, exec_lo, s5
	s_cbranch_execz .LBB23_2150
; %bb.1821:
	v_bfe_u32 v6, v5, 21, 1
	s_mov_b32 s4, exec_lo
	v_add3_u32 v6, v5, v6, 0x88fffff
	v_lshrrev_b32_e32 v6, 21, v6
	s_andn2_saveexec_b32 s5, s5
	s_cbranch_execnz .LBB23_2151
.LBB23_1822:
	s_or_b32 exec_lo, exec_lo, s5
	v_mov_b32_e32 v7, 0
	s_and_saveexec_b32 s5, s4
.LBB23_1823:
	v_lshrrev_b32_e32 v5, 24, v5
	v_and_or_b32 v7, 0x80, v5, v6
.LBB23_1824:
	s_or_b32 exec_lo, exec_lo, s5
.LBB23_1825:
	s_or_b32 exec_lo, exec_lo, s3
	s_mov_b32 s3, 0
	global_store_byte v[3:4], v7, off
.LBB23_1826:
	s_and_b32 vcc_lo, exec_lo, s3
	s_cbranch_vccz .LBB23_1836
; %bb.1827:
	v_cvt_f32_f16_e32 v5, v1
	s_mov_b32 s3, exec_lo
                                        ; implicit-def: $vgpr6
	v_and_b32_e32 v7, 0x7fffffff, v5
	v_cmpx_gt_u32_e32 0x43f00000, v7
	s_xor_b32 s3, exec_lo, s3
	s_cbranch_execz .LBB23_1833
; %bb.1828:
	s_mov_b32 s4, exec_lo
                                        ; implicit-def: $vgpr6
	v_cmpx_lt_u32_e32 0x3c7fffff, v7
	s_xor_b32 s4, exec_lo, s4
; %bb.1829:
	v_bfe_u32 v6, v5, 20, 1
	v_add3_u32 v6, v5, v6, 0x407ffff
	v_and_b32_e32 v7, 0xff00000, v6
	v_lshrrev_b32_e32 v6, 20, v6
	v_cmp_ne_u32_e32 vcc_lo, 0x7f00000, v7
	v_cndmask_b32_e32 v6, 0x7e, v6, vcc_lo
; %bb.1830:
	s_andn2_saveexec_b32 s4, s4
; %bb.1831:
	v_add_f32_e64 v6, 0x46800000, |v5|
; %bb.1832:
	s_or_b32 exec_lo, exec_lo, s4
                                        ; implicit-def: $vgpr7
.LBB23_1833:
	s_andn2_saveexec_b32 s3, s3
; %bb.1834:
	v_mov_b32_e32 v6, 0x7f
	v_cmp_lt_u32_e32 vcc_lo, 0x7f800000, v7
	v_cndmask_b32_e32 v6, 0x7e, v6, vcc_lo
; %bb.1835:
	s_or_b32 exec_lo, exec_lo, s3
	v_lshrrev_b32_e32 v5, 24, v5
	v_and_or_b32 v5, 0x80, v5, v6
	global_store_byte v[3:4], v5, off
.LBB23_1836:
	s_mov_b32 s3, 0
.LBB23_1837:
	s_andn2_b32 vcc_lo, exec_lo, s3
	s_cbranch_vccnz .LBB23_1847
; %bb.1838:
	v_cvt_f32_f16_e32 v5, v1
	s_mov_b32 s3, exec_lo
                                        ; implicit-def: $vgpr6
	v_and_b32_e32 v7, 0x7fffffff, v5
	v_cmpx_gt_u32_e32 0x47800000, v7
	s_xor_b32 s3, exec_lo, s3
	s_cbranch_execz .LBB23_1844
; %bb.1839:
	s_mov_b32 s4, exec_lo
                                        ; implicit-def: $vgpr6
	v_cmpx_lt_u32_e32 0x387fffff, v7
	s_xor_b32 s4, exec_lo, s4
; %bb.1840:
	v_bfe_u32 v6, v5, 21, 1
	v_add3_u32 v6, v5, v6, 0x80fffff
	v_lshrrev_b32_e32 v6, 21, v6
; %bb.1841:
	s_andn2_saveexec_b32 s4, s4
; %bb.1842:
	v_add_f32_e64 v6, 0x43000000, |v5|
; %bb.1843:
	s_or_b32 exec_lo, exec_lo, s4
                                        ; implicit-def: $vgpr7
.LBB23_1844:
	s_andn2_saveexec_b32 s3, s3
; %bb.1845:
	v_mov_b32_e32 v6, 0x7f
	v_cmp_lt_u32_e32 vcc_lo, 0x7f800000, v7
	v_cndmask_b32_e32 v6, 0x7c, v6, vcc_lo
; %bb.1846:
	s_or_b32 exec_lo, exec_lo, s3
	v_lshrrev_b32_e32 v5, 24, v5
	v_and_or_b32 v5, 0x80, v5, v6
	global_store_byte v[3:4], v5, off
.LBB23_1847:
	s_mov_b32 s3, 0
	s_mov_b32 s4, -1
.LBB23_1848:
	s_andn2_b32 vcc_lo, exec_lo, s3
	s_mov_b32 s3, 0
	s_cbranch_vccnz .LBB23_1855
; %bb.1849:
	s_cmp_gt_i32 s2, 14
	s_mov_b32 s3, -1
	s_cbranch_scc0 .LBB23_1853
; %bb.1850:
	s_cmp_eq_u32 s2, 15
	s_mov_b32 s0, -1
	s_cbranch_scc0 .LBB23_1852
; %bb.1851:
	v_cvt_f32_f16_e32 v5, v1
	v_cmp_o_f16_e32 vcc_lo, v1, v1
	s_mov_b32 s0, 0
	s_mov_b32 s4, -1
	v_bfe_u32 v6, v5, 16, 1
	v_add3_u32 v5, v5, v6, 0x7fff
	v_mov_b32_e32 v6, 0x7fc0
	v_cndmask_b32_sdwa v5, v6, v5, vcc_lo dst_sel:DWORD dst_unused:UNUSED_PAD src0_sel:DWORD src1_sel:WORD_1
	global_store_short v[3:4], v5, off
.LBB23_1852:
	s_mov_b32 s3, 0
.LBB23_1853:
	s_and_b32 vcc_lo, exec_lo, s3
	s_mov_b32 s3, 0
	s_cbranch_vccz .LBB23_1855
; %bb.1854:
	s_cmp_lg_u32 s2, 11
	s_mov_b32 s3, -1
	s_cselect_b32 s0, -1, 0
.LBB23_1855:
	s_and_b32 vcc_lo, exec_lo, s0
	s_cbranch_vccnz .LBB23_2149
; %bb.1856:
	s_andn2_b32 vcc_lo, exec_lo, s3
	s_cbranch_vccnz .LBB23_1858
.LBB23_1857:
	v_cmp_neq_f16_e32 vcc_lo, 0, v1
	s_mov_b32 s4, -1
	v_cndmask_b32_e64 v5, 0, 1, vcc_lo
	global_store_byte v[3:4], v5, off
.LBB23_1858:
	s_mov_b32 s0, 0
	s_branch .LBB23_1860
.LBB23_1859:
	s_mov_b32 s0, -1
	s_mov_b32 s4, 0
.LBB23_1860:
	s_and_b32 vcc_lo, exec_lo, s0
	s_cbranch_vccz .LBB23_1899
; %bb.1861:
	s_and_b32 s0, 0xffff, s6
	s_mov_b32 s2, -1
	s_cmp_lt_i32 s0, 5
	s_cbranch_scc1 .LBB23_1882
; %bb.1862:
	s_cmp_lt_i32 s0, 8
	s_cbranch_scc1 .LBB23_1872
; %bb.1863:
	;; [unrolled: 3-line block ×3, first 2 shown]
	s_cmp_gt_i32 s0, 9
	s_cbranch_scc0 .LBB23_1866
; %bb.1865:
	v_cvt_f32_f16_e32 v5, v1
	v_mov_b32_e32 v7, 0
	s_mov_b32 s2, 0
	v_cvt_f64_f32_e32 v[5:6], v5
	v_mov_b32_e32 v8, v7
	global_store_dwordx4 v[3:4], v[5:8], off
.LBB23_1866:
	s_andn2_b32 vcc_lo, exec_lo, s2
	s_cbranch_vccnz .LBB23_1868
; %bb.1867:
	v_cvt_f32_f16_e32 v5, v1
	v_mov_b32_e32 v6, 0
	global_store_dwordx2 v[3:4], v[5:6], off
.LBB23_1868:
	s_mov_b32 s2, 0
.LBB23_1869:
	s_andn2_b32 vcc_lo, exec_lo, s2
	s_cbranch_vccnz .LBB23_1871
; %bb.1870:
	v_and_b32_e32 v5, 0xffff, v1
	global_store_dword v[3:4], v5, off
.LBB23_1871:
	s_mov_b32 s2, 0
.LBB23_1872:
	s_andn2_b32 vcc_lo, exec_lo, s2
	s_cbranch_vccnz .LBB23_1881
; %bb.1873:
	s_cmp_lt_i32 s0, 6
	s_mov_b32 s2, -1
	s_cbranch_scc1 .LBB23_1879
; %bb.1874:
	s_cmp_gt_i32 s0, 6
	s_cbranch_scc0 .LBB23_1876
; %bb.1875:
	v_cvt_f32_f16_e32 v5, v1
	s_mov_b32 s2, 0
	v_cvt_f64_f32_e32 v[5:6], v5
	global_store_dwordx2 v[3:4], v[5:6], off
.LBB23_1876:
	s_andn2_b32 vcc_lo, exec_lo, s2
	s_cbranch_vccnz .LBB23_1878
; %bb.1877:
	v_cvt_f32_f16_e32 v5, v1
	global_store_dword v[3:4], v5, off
.LBB23_1878:
	s_mov_b32 s2, 0
.LBB23_1879:
	s_andn2_b32 vcc_lo, exec_lo, s2
	s_cbranch_vccnz .LBB23_1881
; %bb.1880:
	global_store_short v[3:4], v1, off
.LBB23_1881:
	s_mov_b32 s2, 0
.LBB23_1882:
	s_andn2_b32 vcc_lo, exec_lo, s2
	s_cbranch_vccnz .LBB23_1898
; %bb.1883:
	s_cmp_lt_i32 s0, 2
	s_mov_b32 s2, -1
	s_cbranch_scc1 .LBB23_1893
; %bb.1884:
	s_cmp_lt_i32 s0, 3
	s_cbranch_scc1 .LBB23_1890
; %bb.1885:
	s_cmp_gt_i32 s0, 3
	s_cbranch_scc0 .LBB23_1887
; %bb.1886:
	v_cvt_f32_f16_e32 v5, v1
	s_mov_b32 s2, 0
	v_cvt_i32_f32_e32 v5, v5
	v_ashrrev_i32_e32 v6, 31, v5
	global_store_dwordx2 v[3:4], v[5:6], off
.LBB23_1887:
	s_andn2_b32 vcc_lo, exec_lo, s2
	s_cbranch_vccnz .LBB23_1889
; %bb.1888:
	v_cvt_f32_f16_e32 v5, v1
	v_cvt_i32_f32_e32 v5, v5
	global_store_dword v[3:4], v5, off
.LBB23_1889:
	s_mov_b32 s2, 0
.LBB23_1890:
	s_andn2_b32 vcc_lo, exec_lo, s2
	s_cbranch_vccnz .LBB23_1892
; %bb.1891:
	v_cvt_i16_f16_e32 v5, v1
	global_store_short v[3:4], v5, off
.LBB23_1892:
	s_mov_b32 s2, 0
.LBB23_1893:
	s_andn2_b32 vcc_lo, exec_lo, s2
	s_cbranch_vccnz .LBB23_1898
; %bb.1894:
	s_cmp_gt_i32 s0, 0
	s_mov_b32 s0, -1
	s_cbranch_scc0 .LBB23_1896
; %bb.1895:
	v_cvt_i16_f16_e32 v5, v1
	s_mov_b32 s0, 0
	global_store_byte v[3:4], v5, off
.LBB23_1896:
	s_andn2_b32 vcc_lo, exec_lo, s0
	s_cbranch_vccnz .LBB23_1898
; %bb.1897:
	v_cvt_f32_f16_e32 v1, v1
	v_cvt_i32_f32_e32 v1, v1
	global_store_byte v[3:4], v1, off
.LBB23_1898:
	s_mov_b32 s4, -1
.LBB23_1899:
	s_andn2_b32 vcc_lo, exec_lo, s4
	s_cbranch_vccnz .LBB23_2095
; %bb.1900:
	v_cvt_f32_f16_e32 v1, v10
	s_mov_b32 s0, 0x3b2d2a58
	s_cmp_lt_i32 s6, 11
	v_rcp_f32_e64 v3, |v1|
	v_cmp_gt_f32_e64 vcc_lo, |v1|, 1.0
	v_cndmask_b32_e64 v1, |v1|, v3, vcc_lo
	v_mul_f32_e32 v3, v1, v1
	v_fmaak_f32 v4, s0, v3, 0xbc7a590c
	v_fmaak_f32 v4, v3, v4, 0x3d29fb3f
	;; [unrolled: 1-line block ×7, first 2 shown]
	v_mul_f32_e32 v3, v3, v4
	v_fmac_f32_e32 v1, v1, v3
	v_sub_f32_e32 v3, 0x3fc90fdb, v1
	v_cndmask_b32_e32 v1, v1, v3, vcc_lo
	v_cvt_f16_f32_e32 v1, v1
	v_bfi_b32 v3, 0x7fff, v1, v10
	v_add_co_u32 v1, s0, s8, v2
	v_add_co_ci_u32_e64 v2, null, s9, 0, s0
	s_cbranch_scc1 .LBB23_1978
; %bb.1901:
	s_and_b32 s2, 0xffff, s6
	s_mov_b32 s5, -1
	s_mov_b32 s3, 0
	s_cmp_gt_i32 s2, 25
	s_mov_b32 s4, 0
	s_mov_b32 s0, 0
	s_cbranch_scc0 .LBB23_1934
; %bb.1902:
	s_cmp_gt_i32 s2, 28
	s_cbranch_scc0 .LBB23_1917
; %bb.1903:
	s_cmp_gt_i32 s2, 43
	;; [unrolled: 3-line block ×3, first 2 shown]
	s_cbranch_scc0 .LBB23_1907
; %bb.1905:
	s_mov_b32 s0, -1
	s_mov_b32 s5, 0
	s_cmp_eq_u32 s2, 46
	s_cbranch_scc0 .LBB23_1907
; %bb.1906:
	v_cvt_f32_f16_e32 v4, v3
	v_cmp_o_f16_e32 vcc_lo, v3, v3
	s_mov_b32 s0, 0
	s_mov_b32 s4, -1
	v_bfe_u32 v5, v4, 16, 1
	v_add3_u32 v4, v4, v5, 0x7fff
	v_mov_b32_e32 v5, 0x7fc0
	v_cndmask_b32_sdwa v4, v5, v4, vcc_lo dst_sel:DWORD dst_unused:UNUSED_PAD src0_sel:DWORD src1_sel:WORD_1
	global_store_dword v[1:2], v4, off
.LBB23_1907:
	s_and_b32 vcc_lo, exec_lo, s5
	s_cbranch_vccz .LBB23_1912
; %bb.1908:
	s_cmp_eq_u32 s2, 44
	s_mov_b32 s0, -1
	s_cbranch_scc0 .LBB23_1912
; %bb.1909:
	v_cvt_f32_f16_e32 v4, v3
	v_mov_b32_e32 v5, 0xff
	s_mov_b32 s4, exec_lo
	v_bfe_u32 v6, v4, 23, 8
	v_cmpx_ne_u32_e32 0xff, v6
	s_cbranch_execz .LBB23_1911
; %bb.1910:
	v_and_b32_e32 v5, 0x400000, v4
	v_and_or_b32 v6, 0x3fffff, v4, v6
	v_lshrrev_b32_e32 v4, 23, v4
	v_cmp_ne_u32_e32 vcc_lo, 0, v5
	v_cmp_ne_u32_e64 s0, 0, v6
	s_and_b32 s0, vcc_lo, s0
	v_cndmask_b32_e64 v5, 0, 1, s0
	v_add_nc_u32_e32 v5, v4, v5
.LBB23_1911:
	s_or_b32 exec_lo, exec_lo, s4
	s_mov_b32 s0, 0
	s_mov_b32 s4, -1
	global_store_byte v[1:2], v5, off
.LBB23_1912:
	s_mov_b32 s5, 0
.LBB23_1913:
	s_and_b32 vcc_lo, exec_lo, s5
	s_cbranch_vccz .LBB23_1916
; %bb.1914:
	s_cmp_eq_u32 s2, 29
	s_mov_b32 s0, -1
	s_cbranch_scc0 .LBB23_1916
; %bb.1915:
	v_cvt_f32_f16_e32 v4, v3
	v_mov_b32_e32 v5, 0
	s_mov_b32 s0, 0
	s_mov_b32 s4, -1
	v_cvt_u32_f32_e32 v4, v4
	global_store_dwordx2 v[1:2], v[4:5], off
.LBB23_1916:
	s_mov_b32 s5, 0
.LBB23_1917:
	s_and_b32 vcc_lo, exec_lo, s5
	s_cbranch_vccz .LBB23_1933
; %bb.1918:
	s_cmp_lt_i32 s2, 27
	s_mov_b32 s4, -1
	s_cbranch_scc1 .LBB23_1924
; %bb.1919:
	s_cmp_gt_i32 s2, 27
	s_cbranch_scc0 .LBB23_1921
; %bb.1920:
	v_cvt_f32_f16_e32 v4, v3
	s_mov_b32 s4, 0
	v_cvt_u32_f32_e32 v4, v4
	global_store_dword v[1:2], v4, off
.LBB23_1921:
	s_andn2_b32 vcc_lo, exec_lo, s4
	s_cbranch_vccnz .LBB23_1923
; %bb.1922:
	v_cvt_u16_f16_e32 v4, v3
	global_store_short v[1:2], v4, off
.LBB23_1923:
	s_mov_b32 s4, 0
.LBB23_1924:
	s_andn2_b32 vcc_lo, exec_lo, s4
	s_cbranch_vccnz .LBB23_1932
; %bb.1925:
	v_cvt_f32_f16_e32 v4, v3
	v_mov_b32_e32 v6, 0x80
	s_mov_b32 s4, exec_lo
	v_and_b32_e32 v5, 0x7fffffff, v4
	v_cmpx_gt_u32_e32 0x43800000, v5
	s_cbranch_execz .LBB23_1931
; %bb.1926:
	v_cmp_lt_u32_e32 vcc_lo, 0x3bffffff, v5
	s_mov_b32 s5, 0
                                        ; implicit-def: $vgpr5
	s_and_saveexec_b32 s7, vcc_lo
	s_xor_b32 s7, exec_lo, s7
	s_cbranch_execz .LBB23_2152
; %bb.1927:
	v_bfe_u32 v5, v4, 20, 1
	s_mov_b32 s5, exec_lo
	v_add3_u32 v5, v4, v5, 0x487ffff
	v_lshrrev_b32_e32 v5, 20, v5
	s_andn2_saveexec_b32 s7, s7
	s_cbranch_execnz .LBB23_2153
.LBB23_1928:
	s_or_b32 exec_lo, exec_lo, s7
	v_mov_b32_e32 v6, 0
	s_and_saveexec_b32 s7, s5
.LBB23_1929:
	v_lshrrev_b32_e32 v4, 24, v4
	v_and_or_b32 v6, 0x80, v4, v5
.LBB23_1930:
	s_or_b32 exec_lo, exec_lo, s7
.LBB23_1931:
	s_or_b32 exec_lo, exec_lo, s4
	global_store_byte v[1:2], v6, off
.LBB23_1932:
	s_mov_b32 s4, -1
.LBB23_1933:
	s_mov_b32 s5, 0
.LBB23_1934:
	s_and_b32 vcc_lo, exec_lo, s5
	s_cbranch_vccz .LBB23_1974
; %bb.1935:
	s_cmp_gt_i32 s2, 22
	s_mov_b32 s3, -1
	s_cbranch_scc0 .LBB23_1967
; %bb.1936:
	s_cmp_lt_i32 s2, 24
	s_cbranch_scc1 .LBB23_1956
; %bb.1937:
	s_cmp_gt_i32 s2, 24
	s_cbranch_scc0 .LBB23_1945
; %bb.1938:
	v_cvt_f32_f16_e32 v4, v3
	v_mov_b32_e32 v6, 0x80
	s_mov_b32 s3, exec_lo
	v_and_b32_e32 v5, 0x7fffffff, v4
	v_cmpx_gt_u32_e32 0x47800000, v5
	s_cbranch_execz .LBB23_1944
; %bb.1939:
	v_cmp_lt_u32_e32 vcc_lo, 0x37ffffff, v5
	s_mov_b32 s4, 0
                                        ; implicit-def: $vgpr5
	s_and_saveexec_b32 s5, vcc_lo
	s_xor_b32 s5, exec_lo, s5
	s_cbranch_execz .LBB23_2155
; %bb.1940:
	v_bfe_u32 v5, v4, 21, 1
	s_mov_b32 s4, exec_lo
	v_add3_u32 v5, v4, v5, 0x88fffff
	v_lshrrev_b32_e32 v5, 21, v5
	s_andn2_saveexec_b32 s5, s5
	s_cbranch_execnz .LBB23_2156
.LBB23_1941:
	s_or_b32 exec_lo, exec_lo, s5
	v_mov_b32_e32 v6, 0
	s_and_saveexec_b32 s5, s4
.LBB23_1942:
	v_lshrrev_b32_e32 v4, 24, v4
	v_and_or_b32 v6, 0x80, v4, v5
.LBB23_1943:
	s_or_b32 exec_lo, exec_lo, s5
.LBB23_1944:
	s_or_b32 exec_lo, exec_lo, s3
	s_mov_b32 s3, 0
	global_store_byte v[1:2], v6, off
.LBB23_1945:
	s_and_b32 vcc_lo, exec_lo, s3
	s_cbranch_vccz .LBB23_1955
; %bb.1946:
	v_cvt_f32_f16_e32 v4, v3
	s_mov_b32 s3, exec_lo
                                        ; implicit-def: $vgpr5
	v_and_b32_e32 v6, 0x7fffffff, v4
	v_cmpx_gt_u32_e32 0x43f00000, v6
	s_xor_b32 s3, exec_lo, s3
	s_cbranch_execz .LBB23_1952
; %bb.1947:
	s_mov_b32 s4, exec_lo
                                        ; implicit-def: $vgpr5
	v_cmpx_lt_u32_e32 0x3c7fffff, v6
	s_xor_b32 s4, exec_lo, s4
; %bb.1948:
	v_bfe_u32 v5, v4, 20, 1
	v_add3_u32 v5, v4, v5, 0x407ffff
	v_and_b32_e32 v6, 0xff00000, v5
	v_lshrrev_b32_e32 v5, 20, v5
	v_cmp_ne_u32_e32 vcc_lo, 0x7f00000, v6
	v_cndmask_b32_e32 v5, 0x7e, v5, vcc_lo
; %bb.1949:
	s_andn2_saveexec_b32 s4, s4
; %bb.1950:
	v_add_f32_e64 v5, 0x46800000, |v4|
; %bb.1951:
	s_or_b32 exec_lo, exec_lo, s4
                                        ; implicit-def: $vgpr6
.LBB23_1952:
	s_andn2_saveexec_b32 s3, s3
; %bb.1953:
	v_mov_b32_e32 v5, 0x7f
	v_cmp_lt_u32_e32 vcc_lo, 0x7f800000, v6
	v_cndmask_b32_e32 v5, 0x7e, v5, vcc_lo
; %bb.1954:
	s_or_b32 exec_lo, exec_lo, s3
	v_lshrrev_b32_e32 v4, 24, v4
	v_and_or_b32 v4, 0x80, v4, v5
	global_store_byte v[1:2], v4, off
.LBB23_1955:
	s_mov_b32 s3, 0
.LBB23_1956:
	s_andn2_b32 vcc_lo, exec_lo, s3
	s_cbranch_vccnz .LBB23_1966
; %bb.1957:
	v_cvt_f32_f16_e32 v4, v3
	s_mov_b32 s3, exec_lo
                                        ; implicit-def: $vgpr5
	v_and_b32_e32 v6, 0x7fffffff, v4
	v_cmpx_gt_u32_e32 0x47800000, v6
	s_xor_b32 s3, exec_lo, s3
	s_cbranch_execz .LBB23_1963
; %bb.1958:
	s_mov_b32 s4, exec_lo
                                        ; implicit-def: $vgpr5
	v_cmpx_lt_u32_e32 0x387fffff, v6
	s_xor_b32 s4, exec_lo, s4
; %bb.1959:
	v_bfe_u32 v5, v4, 21, 1
	v_add3_u32 v5, v4, v5, 0x80fffff
	v_lshrrev_b32_e32 v5, 21, v5
; %bb.1960:
	s_andn2_saveexec_b32 s4, s4
; %bb.1961:
	v_add_f32_e64 v5, 0x43000000, |v4|
; %bb.1962:
	s_or_b32 exec_lo, exec_lo, s4
                                        ; implicit-def: $vgpr6
.LBB23_1963:
	s_andn2_saveexec_b32 s3, s3
; %bb.1964:
	v_mov_b32_e32 v5, 0x7f
	v_cmp_lt_u32_e32 vcc_lo, 0x7f800000, v6
	v_cndmask_b32_e32 v5, 0x7c, v5, vcc_lo
; %bb.1965:
	s_or_b32 exec_lo, exec_lo, s3
	v_lshrrev_b32_e32 v4, 24, v4
	v_and_or_b32 v4, 0x80, v4, v5
	global_store_byte v[1:2], v4, off
.LBB23_1966:
	s_mov_b32 s3, 0
	s_mov_b32 s4, -1
.LBB23_1967:
	s_andn2_b32 vcc_lo, exec_lo, s3
	s_mov_b32 s3, 0
	s_cbranch_vccnz .LBB23_1974
; %bb.1968:
	s_cmp_gt_i32 s2, 14
	s_mov_b32 s3, -1
	s_cbranch_scc0 .LBB23_1972
; %bb.1969:
	s_cmp_eq_u32 s2, 15
	s_mov_b32 s0, -1
	s_cbranch_scc0 .LBB23_1971
; %bb.1970:
	v_cvt_f32_f16_e32 v4, v3
	v_cmp_o_f16_e32 vcc_lo, v3, v3
	s_mov_b32 s0, 0
	s_mov_b32 s4, -1
	v_bfe_u32 v5, v4, 16, 1
	v_add3_u32 v4, v4, v5, 0x7fff
	v_mov_b32_e32 v5, 0x7fc0
	v_cndmask_b32_sdwa v4, v5, v4, vcc_lo dst_sel:DWORD dst_unused:UNUSED_PAD src0_sel:DWORD src1_sel:WORD_1
	global_store_short v[1:2], v4, off
.LBB23_1971:
	s_mov_b32 s3, 0
.LBB23_1972:
	s_and_b32 vcc_lo, exec_lo, s3
	s_mov_b32 s3, 0
	s_cbranch_vccz .LBB23_1974
; %bb.1973:
	s_cmp_lg_u32 s2, 11
	s_mov_b32 s3, -1
	s_cselect_b32 s0, -1, 0
.LBB23_1974:
	s_and_b32 vcc_lo, exec_lo, s0
	s_cbranch_vccnz .LBB23_2154
; %bb.1975:
	s_andn2_b32 vcc_lo, exec_lo, s3
	s_cbranch_vccnz .LBB23_1977
.LBB23_1976:
	v_cmp_neq_f16_e32 vcc_lo, 0, v3
	s_mov_b32 s4, -1
	v_cndmask_b32_e64 v4, 0, 1, vcc_lo
	global_store_byte v[1:2], v4, off
.LBB23_1977:
	s_mov_b32 s0, 0
	s_branch .LBB23_1979
.LBB23_1978:
	s_mov_b32 s0, -1
	s_mov_b32 s4, 0
.LBB23_1979:
	s_and_b32 vcc_lo, exec_lo, s0
	s_cbranch_vccz .LBB23_2018
; %bb.1980:
	s_and_b32 s0, 0xffff, s6
	s_mov_b32 s2, -1
	s_cmp_lt_i32 s0, 5
	s_cbranch_scc1 .LBB23_2001
; %bb.1981:
	s_cmp_lt_i32 s0, 8
	s_cbranch_scc1 .LBB23_1991
; %bb.1982:
	;; [unrolled: 3-line block ×3, first 2 shown]
	s_cmp_gt_i32 s0, 9
	s_cbranch_scc0 .LBB23_1985
; %bb.1984:
	v_cvt_f32_f16_e32 v4, v3
	v_mov_b32_e32 v6, 0
	s_mov_b32 s2, 0
	v_cvt_f64_f32_e32 v[4:5], v4
	v_mov_b32_e32 v7, v6
	global_store_dwordx4 v[1:2], v[4:7], off
.LBB23_1985:
	s_andn2_b32 vcc_lo, exec_lo, s2
	s_cbranch_vccnz .LBB23_1987
; %bb.1986:
	v_cvt_f32_f16_e32 v4, v3
	v_mov_b32_e32 v5, 0
	global_store_dwordx2 v[1:2], v[4:5], off
.LBB23_1987:
	s_mov_b32 s2, 0
.LBB23_1988:
	s_andn2_b32 vcc_lo, exec_lo, s2
	s_cbranch_vccnz .LBB23_1990
; %bb.1989:
	v_and_b32_e32 v4, 0xffff, v3
	global_store_dword v[1:2], v4, off
.LBB23_1990:
	s_mov_b32 s2, 0
.LBB23_1991:
	s_andn2_b32 vcc_lo, exec_lo, s2
	s_cbranch_vccnz .LBB23_2000
; %bb.1992:
	s_cmp_lt_i32 s0, 6
	s_mov_b32 s2, -1
	s_cbranch_scc1 .LBB23_1998
; %bb.1993:
	s_cmp_gt_i32 s0, 6
	s_cbranch_scc0 .LBB23_1995
; %bb.1994:
	v_cvt_f32_f16_e32 v4, v3
	s_mov_b32 s2, 0
	v_cvt_f64_f32_e32 v[4:5], v4
	global_store_dwordx2 v[1:2], v[4:5], off
.LBB23_1995:
	s_andn2_b32 vcc_lo, exec_lo, s2
	s_cbranch_vccnz .LBB23_1997
; %bb.1996:
	v_cvt_f32_f16_e32 v4, v3
	global_store_dword v[1:2], v4, off
.LBB23_1997:
	s_mov_b32 s2, 0
.LBB23_1998:
	s_andn2_b32 vcc_lo, exec_lo, s2
	s_cbranch_vccnz .LBB23_2000
; %bb.1999:
	global_store_short v[1:2], v3, off
.LBB23_2000:
	s_mov_b32 s2, 0
.LBB23_2001:
	s_andn2_b32 vcc_lo, exec_lo, s2
	s_cbranch_vccnz .LBB23_2017
; %bb.2002:
	s_cmp_lt_i32 s0, 2
	s_mov_b32 s2, -1
	s_cbranch_scc1 .LBB23_2012
; %bb.2003:
	s_cmp_lt_i32 s0, 3
	s_cbranch_scc1 .LBB23_2009
; %bb.2004:
	s_cmp_gt_i32 s0, 3
	s_cbranch_scc0 .LBB23_2006
; %bb.2005:
	v_cvt_f32_f16_e32 v4, v3
	s_mov_b32 s2, 0
	v_cvt_i32_f32_e32 v4, v4
	v_ashrrev_i32_e32 v5, 31, v4
	global_store_dwordx2 v[1:2], v[4:5], off
.LBB23_2006:
	s_andn2_b32 vcc_lo, exec_lo, s2
	s_cbranch_vccnz .LBB23_2008
; %bb.2007:
	v_cvt_f32_f16_e32 v4, v3
	v_cvt_i32_f32_e32 v4, v4
	global_store_dword v[1:2], v4, off
.LBB23_2008:
	s_mov_b32 s2, 0
.LBB23_2009:
	s_andn2_b32 vcc_lo, exec_lo, s2
	s_cbranch_vccnz .LBB23_2011
; %bb.2010:
	v_cvt_i16_f16_e32 v4, v3
	global_store_short v[1:2], v4, off
.LBB23_2011:
	s_mov_b32 s2, 0
.LBB23_2012:
	s_andn2_b32 vcc_lo, exec_lo, s2
	s_cbranch_vccnz .LBB23_2017
; %bb.2013:
	s_cmp_gt_i32 s0, 0
	s_mov_b32 s0, -1
	s_cbranch_scc0 .LBB23_2015
; %bb.2014:
	v_cvt_i16_f16_e32 v4, v3
	s_mov_b32 s0, 0
	global_store_byte v[1:2], v4, off
.LBB23_2015:
	s_andn2_b32 vcc_lo, exec_lo, s0
	s_cbranch_vccnz .LBB23_2017
; %bb.2016:
	v_cvt_f32_f16_e32 v3, v3
	v_cvt_i32_f32_e32 v3, v3
	global_store_byte v[1:2], v3, off
.LBB23_2017:
	s_mov_b32 s4, -1
.LBB23_2018:
	s_andn2_b32 vcc_lo, exec_lo, s4
	s_cbranch_vccnz .LBB23_2095
; %bb.2019:
	v_cvt_f32_f16_e32 v1, v9
	s_mov_b32 s0, 0x3b2d2a58
	s_cmp_lt_i32 s6, 11
	v_rcp_f32_e64 v2, |v1|
	v_cmp_gt_f32_e64 vcc_lo, |v1|, 1.0
	v_cndmask_b32_e64 v1, |v1|, v2, vcc_lo
	v_mul_f32_e32 v2, v1, v1
	v_fmaak_f32 v3, s0, v2, 0xbc7a590c
	v_add_co_u32 v0, s0, s8, v0
	v_fmaak_f32 v3, v2, v3, 0x3d29fb3f
	v_fmaak_f32 v3, v2, v3, 0xbd97d4d7
	;; [unrolled: 1-line block ×6, first 2 shown]
	v_mul_f32_e32 v2, v2, v3
	v_fmac_f32_e32 v1, v1, v2
	v_sub_f32_e32 v2, 0x3fc90fdb, v1
	v_cndmask_b32_e32 v1, v1, v2, vcc_lo
	v_cvt_f16_f32_e32 v1, v1
	v_bfi_b32 v2, 0x7fff, v1, v9
	v_add_co_ci_u32_e64 v1, null, s9, 0, s0
	s_cbranch_scc1 .LBB23_2140
; %bb.2020:
	s_and_b32 s2, 0xffff, s6
	s_mov_b32 s4, -1
	s_mov_b32 s3, 0
	s_cmp_gt_i32 s2, 25
	s_mov_b32 s0, 0
	s_cbranch_scc0 .LBB23_2053
; %bb.2021:
	s_cmp_gt_i32 s2, 28
	s_cbranch_scc0 .LBB23_2037
; %bb.2022:
	s_cmp_gt_i32 s2, 43
	;; [unrolled: 3-line block ×3, first 2 shown]
	s_cbranch_scc0 .LBB23_2027
; %bb.2024:
	s_cmp_eq_u32 s2, 46
	s_mov_b32 s0, -1
	s_cbranch_scc0 .LBB23_2026
; %bb.2025:
	v_cvt_f32_f16_e32 v3, v2
	v_cmp_o_f16_e32 vcc_lo, v2, v2
	s_mov_b32 s0, 0
	v_bfe_u32 v4, v3, 16, 1
	v_add3_u32 v3, v3, v4, 0x7fff
	v_mov_b32_e32 v4, 0x7fc0
	v_cndmask_b32_sdwa v3, v4, v3, vcc_lo dst_sel:DWORD dst_unused:UNUSED_PAD src0_sel:DWORD src1_sel:WORD_1
	global_store_dword v[0:1], v3, off
.LBB23_2026:
	s_mov_b32 s4, 0
.LBB23_2027:
	s_and_b32 vcc_lo, exec_lo, s4
	s_cbranch_vccz .LBB23_2032
; %bb.2028:
	s_cmp_eq_u32 s2, 44
	s_mov_b32 s0, -1
	s_cbranch_scc0 .LBB23_2032
; %bb.2029:
	v_cvt_f32_f16_e32 v3, v2
	v_mov_b32_e32 v4, 0xff
	s_mov_b32 s4, exec_lo
	v_bfe_u32 v5, v3, 23, 8
	v_cmpx_ne_u32_e32 0xff, v5
	s_cbranch_execz .LBB23_2031
; %bb.2030:
	v_and_b32_e32 v4, 0x400000, v3
	v_and_or_b32 v5, 0x3fffff, v3, v5
	v_lshrrev_b32_e32 v3, 23, v3
	v_cmp_ne_u32_e32 vcc_lo, 0, v4
	v_cmp_ne_u32_e64 s0, 0, v5
	s_and_b32 s0, vcc_lo, s0
	v_cndmask_b32_e64 v4, 0, 1, s0
	v_add_nc_u32_e32 v4, v3, v4
.LBB23_2031:
	s_or_b32 exec_lo, exec_lo, s4
	s_mov_b32 s0, 0
	global_store_byte v[0:1], v4, off
.LBB23_2032:
	s_mov_b32 s4, 0
.LBB23_2033:
	s_and_b32 vcc_lo, exec_lo, s4
	s_cbranch_vccz .LBB23_2036
; %bb.2034:
	s_cmp_eq_u32 s2, 29
	s_mov_b32 s0, -1
	s_cbranch_scc0 .LBB23_2036
; %bb.2035:
	v_cvt_f32_f16_e32 v3, v2
	v_mov_b32_e32 v4, 0
	s_mov_b32 s0, 0
	v_cvt_u32_f32_e32 v3, v3
	global_store_dwordx2 v[0:1], v[3:4], off
.LBB23_2036:
	s_mov_b32 s4, 0
.LBB23_2037:
	s_and_b32 vcc_lo, exec_lo, s4
	s_cbranch_vccz .LBB23_2052
; %bb.2038:
	s_cmp_lt_i32 s2, 27
	s_mov_b32 s4, -1
	s_cbranch_scc1 .LBB23_2044
; %bb.2039:
	s_cmp_gt_i32 s2, 27
	s_cbranch_scc0 .LBB23_2041
; %bb.2040:
	v_cvt_f32_f16_e32 v3, v2
	s_mov_b32 s4, 0
	v_cvt_u32_f32_e32 v3, v3
	global_store_dword v[0:1], v3, off
.LBB23_2041:
	s_andn2_b32 vcc_lo, exec_lo, s4
	s_cbranch_vccnz .LBB23_2043
; %bb.2042:
	v_cvt_u16_f16_e32 v3, v2
	global_store_short v[0:1], v3, off
.LBB23_2043:
	s_mov_b32 s4, 0
.LBB23_2044:
	s_andn2_b32 vcc_lo, exec_lo, s4
	s_cbranch_vccnz .LBB23_2052
; %bb.2045:
	v_cvt_f32_f16_e32 v3, v2
	v_mov_b32_e32 v5, 0x80
	s_mov_b32 s4, exec_lo
	v_and_b32_e32 v4, 0x7fffffff, v3
	v_cmpx_gt_u32_e32 0x43800000, v4
	s_cbranch_execz .LBB23_2051
; %bb.2046:
	v_cmp_lt_u32_e32 vcc_lo, 0x3bffffff, v4
	s_mov_b32 s5, 0
                                        ; implicit-def: $vgpr4
	s_and_saveexec_b32 s7, vcc_lo
	s_xor_b32 s7, exec_lo, s7
	s_cbranch_execz .LBB23_2157
; %bb.2047:
	v_bfe_u32 v4, v3, 20, 1
	s_mov_b32 s5, exec_lo
	v_add3_u32 v4, v3, v4, 0x487ffff
	v_lshrrev_b32_e32 v4, 20, v4
	s_andn2_saveexec_b32 s7, s7
	s_cbranch_execnz .LBB23_2158
.LBB23_2048:
	s_or_b32 exec_lo, exec_lo, s7
	v_mov_b32_e32 v5, 0
	s_and_saveexec_b32 s7, s5
.LBB23_2049:
	v_lshrrev_b32_e32 v3, 24, v3
	v_and_or_b32 v5, 0x80, v3, v4
.LBB23_2050:
	s_or_b32 exec_lo, exec_lo, s7
.LBB23_2051:
	s_or_b32 exec_lo, exec_lo, s4
	global_store_byte v[0:1], v5, off
.LBB23_2052:
	s_mov_b32 s4, 0
.LBB23_2053:
	s_and_b32 vcc_lo, exec_lo, s4
	s_cbranch_vccz .LBB23_2093
; %bb.2054:
	s_cmp_gt_i32 s2, 22
	s_mov_b32 s3, -1
	s_cbranch_scc0 .LBB23_2086
; %bb.2055:
	s_cmp_lt_i32 s2, 24
	s_cbranch_scc1 .LBB23_2075
; %bb.2056:
	s_cmp_gt_i32 s2, 24
	s_cbranch_scc0 .LBB23_2064
; %bb.2057:
	v_cvt_f32_f16_e32 v3, v2
	v_mov_b32_e32 v5, 0x80
	s_mov_b32 s3, exec_lo
	v_and_b32_e32 v4, 0x7fffffff, v3
	v_cmpx_gt_u32_e32 0x47800000, v4
	s_cbranch_execz .LBB23_2063
; %bb.2058:
	v_cmp_lt_u32_e32 vcc_lo, 0x37ffffff, v4
	s_mov_b32 s4, 0
                                        ; implicit-def: $vgpr4
	s_and_saveexec_b32 s5, vcc_lo
	s_xor_b32 s5, exec_lo, s5
	s_cbranch_execz .LBB23_2160
; %bb.2059:
	v_bfe_u32 v4, v3, 21, 1
	s_mov_b32 s4, exec_lo
	v_add3_u32 v4, v3, v4, 0x88fffff
	v_lshrrev_b32_e32 v4, 21, v4
	s_andn2_saveexec_b32 s5, s5
	s_cbranch_execnz .LBB23_2161
.LBB23_2060:
	s_or_b32 exec_lo, exec_lo, s5
	v_mov_b32_e32 v5, 0
	s_and_saveexec_b32 s5, s4
.LBB23_2061:
	v_lshrrev_b32_e32 v3, 24, v3
	v_and_or_b32 v5, 0x80, v3, v4
.LBB23_2062:
	s_or_b32 exec_lo, exec_lo, s5
.LBB23_2063:
	s_or_b32 exec_lo, exec_lo, s3
	s_mov_b32 s3, 0
	global_store_byte v[0:1], v5, off
.LBB23_2064:
	s_and_b32 vcc_lo, exec_lo, s3
	s_cbranch_vccz .LBB23_2074
; %bb.2065:
	v_cvt_f32_f16_e32 v3, v2
	s_mov_b32 s3, exec_lo
                                        ; implicit-def: $vgpr4
	v_and_b32_e32 v5, 0x7fffffff, v3
	v_cmpx_gt_u32_e32 0x43f00000, v5
	s_xor_b32 s3, exec_lo, s3
	s_cbranch_execz .LBB23_2071
; %bb.2066:
	s_mov_b32 s4, exec_lo
                                        ; implicit-def: $vgpr4
	v_cmpx_lt_u32_e32 0x3c7fffff, v5
	s_xor_b32 s4, exec_lo, s4
; %bb.2067:
	v_bfe_u32 v4, v3, 20, 1
	v_add3_u32 v4, v3, v4, 0x407ffff
	v_and_b32_e32 v5, 0xff00000, v4
	v_lshrrev_b32_e32 v4, 20, v4
	v_cmp_ne_u32_e32 vcc_lo, 0x7f00000, v5
	v_cndmask_b32_e32 v4, 0x7e, v4, vcc_lo
; %bb.2068:
	s_andn2_saveexec_b32 s4, s4
; %bb.2069:
	v_add_f32_e64 v4, 0x46800000, |v3|
; %bb.2070:
	s_or_b32 exec_lo, exec_lo, s4
                                        ; implicit-def: $vgpr5
.LBB23_2071:
	s_andn2_saveexec_b32 s3, s3
; %bb.2072:
	v_mov_b32_e32 v4, 0x7f
	v_cmp_lt_u32_e32 vcc_lo, 0x7f800000, v5
	v_cndmask_b32_e32 v4, 0x7e, v4, vcc_lo
; %bb.2073:
	s_or_b32 exec_lo, exec_lo, s3
	v_lshrrev_b32_e32 v3, 24, v3
	v_and_or_b32 v3, 0x80, v3, v4
	global_store_byte v[0:1], v3, off
.LBB23_2074:
	s_mov_b32 s3, 0
.LBB23_2075:
	s_andn2_b32 vcc_lo, exec_lo, s3
	s_cbranch_vccnz .LBB23_2085
; %bb.2076:
	v_cvt_f32_f16_e32 v3, v2
	s_mov_b32 s3, exec_lo
                                        ; implicit-def: $vgpr4
	v_and_b32_e32 v5, 0x7fffffff, v3
	v_cmpx_gt_u32_e32 0x47800000, v5
	s_xor_b32 s3, exec_lo, s3
	s_cbranch_execz .LBB23_2082
; %bb.2077:
	s_mov_b32 s4, exec_lo
                                        ; implicit-def: $vgpr4
	v_cmpx_lt_u32_e32 0x387fffff, v5
	s_xor_b32 s4, exec_lo, s4
; %bb.2078:
	v_bfe_u32 v4, v3, 21, 1
	v_add3_u32 v4, v3, v4, 0x80fffff
	v_lshrrev_b32_e32 v4, 21, v4
; %bb.2079:
	s_andn2_saveexec_b32 s4, s4
; %bb.2080:
	v_add_f32_e64 v4, 0x43000000, |v3|
; %bb.2081:
	s_or_b32 exec_lo, exec_lo, s4
                                        ; implicit-def: $vgpr5
.LBB23_2082:
	s_andn2_saveexec_b32 s3, s3
; %bb.2083:
	v_mov_b32_e32 v4, 0x7f
	v_cmp_lt_u32_e32 vcc_lo, 0x7f800000, v5
	v_cndmask_b32_e32 v4, 0x7c, v4, vcc_lo
; %bb.2084:
	s_or_b32 exec_lo, exec_lo, s3
	v_lshrrev_b32_e32 v3, 24, v3
	v_and_or_b32 v3, 0x80, v3, v4
	global_store_byte v[0:1], v3, off
.LBB23_2085:
	s_mov_b32 s3, 0
.LBB23_2086:
	s_andn2_b32 vcc_lo, exec_lo, s3
	s_mov_b32 s3, 0
	s_cbranch_vccnz .LBB23_2093
; %bb.2087:
	s_cmp_gt_i32 s2, 14
	s_mov_b32 s3, -1
	s_cbranch_scc0 .LBB23_2091
; %bb.2088:
	s_cmp_eq_u32 s2, 15
	s_mov_b32 s0, -1
	s_cbranch_scc0 .LBB23_2090
; %bb.2089:
	v_cvt_f32_f16_e32 v3, v2
	v_cmp_o_f16_e32 vcc_lo, v2, v2
	s_mov_b32 s0, 0
	v_bfe_u32 v4, v3, 16, 1
	v_add3_u32 v3, v3, v4, 0x7fff
	v_mov_b32_e32 v4, 0x7fc0
	v_cndmask_b32_sdwa v3, v4, v3, vcc_lo dst_sel:DWORD dst_unused:UNUSED_PAD src0_sel:DWORD src1_sel:WORD_1
	global_store_short v[0:1], v3, off
.LBB23_2090:
	s_mov_b32 s3, 0
.LBB23_2091:
	s_and_b32 vcc_lo, exec_lo, s3
	s_mov_b32 s3, 0
	s_cbranch_vccz .LBB23_2093
; %bb.2092:
	s_cmp_lg_u32 s2, 11
	s_mov_b32 s3, -1
	s_cselect_b32 s0, -1, 0
.LBB23_2093:
	s_and_b32 vcc_lo, exec_lo, s0
	s_cbranch_vccnz .LBB23_2159
.LBB23_2094:
	s_mov_b32 s0, 0
	s_branch .LBB23_2096
.LBB23_2095:
	s_mov_b32 s0, 0
	s_mov_b32 s3, 0
                                        ; implicit-def: $vgpr0_vgpr1
                                        ; implicit-def: $sgpr6
                                        ; implicit-def: $vgpr2
.LBB23_2096:
	s_andn2_b32 s2, s12, exec_lo
	s_and_b32 s1, s1, exec_lo
	s_and_b32 s0, s0, exec_lo
	;; [unrolled: 1-line block ×3, first 2 shown]
	s_or_b32 s12, s2, s1
.LBB23_2097:
	s_or_b32 exec_lo, exec_lo, s13
	s_and_saveexec_b32 s1, s12
	s_cbranch_execz .LBB23_2100
; %bb.2098:
	; divergent unreachable
	s_or_b32 exec_lo, exec_lo, s1
	s_and_saveexec_b32 s1, s26
	s_xor_b32 s1, exec_lo, s1
	s_cbranch_execnz .LBB23_2101
.LBB23_2099:
	s_or_b32 exec_lo, exec_lo, s1
	s_and_saveexec_b32 s1, s0
	s_cbranch_execnz .LBB23_2102
	s_branch .LBB23_2139
.LBB23_2100:
	s_or_b32 exec_lo, exec_lo, s1
	s_and_saveexec_b32 s1, s26
	s_xor_b32 s1, exec_lo, s1
	s_cbranch_execz .LBB23_2099
.LBB23_2101:
	v_cmp_neq_f16_e32 vcc_lo, 0, v2
	s_waitcnt vmcnt(0)
	v_cndmask_b32_e64 v3, 0, 1, vcc_lo
	global_store_byte v[0:1], v3, off
	s_or_b32 exec_lo, exec_lo, s1
	s_and_saveexec_b32 s1, s0
	s_cbranch_execz .LBB23_2139
.LBB23_2102:
	s_sext_i32_i16 s1, s6
	s_mov_b32 s0, -1
	s_cmp_lt_i32 s1, 5
	s_cbranch_scc1 .LBB23_2123
; %bb.2103:
	s_cmp_lt_i32 s1, 8
	s_cbranch_scc1 .LBB23_2113
; %bb.2104:
	;; [unrolled: 3-line block ×3, first 2 shown]
	s_cmp_gt_i32 s1, 9
	s_cbranch_scc0 .LBB23_2107
; %bb.2106:
	s_waitcnt vmcnt(0)
	v_cvt_f32_f16_e32 v3, v2
	v_mov_b32_e32 v5, 0
	s_mov_b32 s0, 0
	v_cvt_f64_f32_e32 v[3:4], v3
	v_mov_b32_e32 v6, v5
	global_store_dwordx4 v[0:1], v[3:6], off
.LBB23_2107:
	s_andn2_b32 vcc_lo, exec_lo, s0
	s_cbranch_vccnz .LBB23_2109
; %bb.2108:
	s_waitcnt vmcnt(0)
	v_cvt_f32_f16_e32 v3, v2
	v_mov_b32_e32 v4, 0
	global_store_dwordx2 v[0:1], v[3:4], off
.LBB23_2109:
	s_mov_b32 s0, 0
.LBB23_2110:
	s_andn2_b32 vcc_lo, exec_lo, s0
	s_cbranch_vccnz .LBB23_2112
; %bb.2111:
	s_waitcnt vmcnt(0)
	v_and_b32_e32 v3, 0xffff, v2
	global_store_dword v[0:1], v3, off
.LBB23_2112:
	s_mov_b32 s0, 0
.LBB23_2113:
	s_andn2_b32 vcc_lo, exec_lo, s0
	s_cbranch_vccnz .LBB23_2122
; %bb.2114:
	s_sext_i32_i16 s1, s6
	s_mov_b32 s0, -1
	s_cmp_lt_i32 s1, 6
	s_cbranch_scc1 .LBB23_2120
; %bb.2115:
	s_cmp_gt_i32 s1, 6
	s_cbranch_scc0 .LBB23_2117
; %bb.2116:
	s_waitcnt vmcnt(0)
	v_cvt_f32_f16_e32 v3, v2
	s_mov_b32 s0, 0
	v_cvt_f64_f32_e32 v[3:4], v3
	global_store_dwordx2 v[0:1], v[3:4], off
.LBB23_2117:
	s_andn2_b32 vcc_lo, exec_lo, s0
	s_cbranch_vccnz .LBB23_2119
; %bb.2118:
	s_waitcnt vmcnt(0)
	v_cvt_f32_f16_e32 v3, v2
	global_store_dword v[0:1], v3, off
.LBB23_2119:
	s_mov_b32 s0, 0
.LBB23_2120:
	s_andn2_b32 vcc_lo, exec_lo, s0
	s_cbranch_vccnz .LBB23_2122
; %bb.2121:
	s_waitcnt vmcnt(0)
	global_store_short v[0:1], v2, off
.LBB23_2122:
	s_mov_b32 s0, 0
.LBB23_2123:
	s_andn2_b32 vcc_lo, exec_lo, s0
	s_cbranch_vccnz .LBB23_2139
; %bb.2124:
	s_sext_i32_i16 s1, s6
	s_mov_b32 s0, -1
	s_cmp_lt_i32 s1, 2
	s_cbranch_scc1 .LBB23_2134
; %bb.2125:
	s_cmp_lt_i32 s1, 3
	s_cbranch_scc1 .LBB23_2131
; %bb.2126:
	s_cmp_gt_i32 s1, 3
	s_cbranch_scc0 .LBB23_2128
; %bb.2127:
	s_waitcnt vmcnt(0)
	v_cvt_f32_f16_e32 v3, v2
	s_mov_b32 s0, 0
	v_cvt_i32_f32_e32 v3, v3
	v_ashrrev_i32_e32 v4, 31, v3
	global_store_dwordx2 v[0:1], v[3:4], off
.LBB23_2128:
	s_andn2_b32 vcc_lo, exec_lo, s0
	s_cbranch_vccnz .LBB23_2130
; %bb.2129:
	s_waitcnt vmcnt(0)
	v_cvt_f32_f16_e32 v3, v2
	v_cvt_i32_f32_e32 v3, v3
	global_store_dword v[0:1], v3, off
.LBB23_2130:
	s_mov_b32 s0, 0
.LBB23_2131:
	s_andn2_b32 vcc_lo, exec_lo, s0
	s_cbranch_vccnz .LBB23_2133
; %bb.2132:
	s_waitcnt vmcnt(0)
	v_cvt_i16_f16_e32 v3, v2
	global_store_short v[0:1], v3, off
.LBB23_2133:
	s_mov_b32 s0, 0
.LBB23_2134:
	s_andn2_b32 vcc_lo, exec_lo, s0
	s_cbranch_vccnz .LBB23_2139
; %bb.2135:
	s_sext_i32_i16 s0, s6
	s_cmp_gt_i32 s0, 0
	s_mov_b32 s0, -1
	s_cbranch_scc0 .LBB23_2137
; %bb.2136:
	s_waitcnt vmcnt(0)
	v_cvt_i16_f16_e32 v3, v2
	s_mov_b32 s0, 0
	global_store_byte v[0:1], v3, off
.LBB23_2137:
	s_andn2_b32 vcc_lo, exec_lo, s0
	s_cbranch_vccnz .LBB23_2139
; %bb.2138:
	v_cvt_f32_f16_e32 v2, v2
	v_cvt_i32_f32_e32 v2, v2
	s_waitcnt vmcnt(0)
	global_store_byte v[0:1], v2, off
	s_endpgm
.LBB23_2139:
	s_endpgm
.LBB23_2140:
	s_mov_b32 s3, 0
	s_mov_b32 s0, -1
	s_branch .LBB23_2096
.LBB23_2141:
	s_or_b32 s1, s1, exec_lo
	s_trap 2
	s_cbranch_execz .LBB23_1610
	s_branch .LBB23_1611
.LBB23_2142:
	s_andn2_saveexec_b32 s10, s10
	s_cbranch_execz .LBB23_1690
.LBB23_2143:
	v_add_f32_e64 v8, 0x46000000, |v7|
	s_andn2_b32 s7, s7, exec_lo
	v_and_b32_e32 v8, 0xff, v8
	v_cmp_ne_u32_e32 vcc_lo, 0, v8
	s_and_b32 s11, vcc_lo, exec_lo
	s_or_b32 s7, s7, s11
	s_or_b32 exec_lo, exec_lo, s10
	v_mov_b32_e32 v11, 0
	s_and_saveexec_b32 s10, s7
	s_cbranch_execnz .LBB23_1691
	s_branch .LBB23_1692
.LBB23_2144:
	s_or_b32 s1, s1, exec_lo
	s_trap 2
	s_cbranch_execz .LBB23_1738
	s_branch .LBB23_1739
.LBB23_2145:
	s_andn2_saveexec_b32 s7, s7
	s_cbranch_execz .LBB23_1703
.LBB23_2146:
	v_add_f32_e64 v8, 0x42800000, |v7|
	s_andn2_b32 s6, s6, exec_lo
	v_and_b32_e32 v8, 0xff, v8
	v_cmp_ne_u32_e32 vcc_lo, 0, v8
	s_and_b32 s10, vcc_lo, exec_lo
	s_or_b32 s6, s6, s10
	s_or_b32 exec_lo, exec_lo, s7
	v_mov_b32_e32 v11, 0
	s_and_saveexec_b32 s7, s6
	s_cbranch_execnz .LBB23_1704
	s_branch .LBB23_1705
.LBB23_2147:
	s_andn2_saveexec_b32 s7, s7
	s_cbranch_execz .LBB23_1809
.LBB23_2148:
	v_add_f32_e64 v6, 0x46000000, |v5|
	s_andn2_b32 s5, s5, exec_lo
	v_and_b32_e32 v6, 0xff, v6
	v_cmp_ne_u32_e32 vcc_lo, 0, v6
	s_and_b32 s10, vcc_lo, exec_lo
	s_or_b32 s5, s5, s10
	s_or_b32 exec_lo, exec_lo, s7
	v_mov_b32_e32 v7, 0
	s_and_saveexec_b32 s7, s5
	s_cbranch_execnz .LBB23_1810
	s_branch .LBB23_1811
.LBB23_2149:
	s_or_b32 s1, s1, exec_lo
	s_trap 2
	s_cbranch_execz .LBB23_1857
	s_branch .LBB23_1858
.LBB23_2150:
	s_andn2_saveexec_b32 s5, s5
	s_cbranch_execz .LBB23_1822
.LBB23_2151:
	v_add_f32_e64 v6, 0x42800000, |v5|
	s_andn2_b32 s4, s4, exec_lo
	v_and_b32_e32 v6, 0xff, v6
	v_cmp_ne_u32_e32 vcc_lo, 0, v6
	s_and_b32 s7, vcc_lo, exec_lo
	s_or_b32 s4, s4, s7
	s_or_b32 exec_lo, exec_lo, s5
	v_mov_b32_e32 v7, 0
	s_and_saveexec_b32 s5, s4
	s_cbranch_execnz .LBB23_1823
	s_branch .LBB23_1824
.LBB23_2152:
	s_andn2_saveexec_b32 s7, s7
	s_cbranch_execz .LBB23_1928
.LBB23_2153:
	v_add_f32_e64 v5, 0x46000000, |v4|
	s_andn2_b32 s5, s5, exec_lo
	v_and_b32_e32 v5, 0xff, v5
	v_cmp_ne_u32_e32 vcc_lo, 0, v5
	s_and_b32 s10, vcc_lo, exec_lo
	s_or_b32 s5, s5, s10
	s_or_b32 exec_lo, exec_lo, s7
	v_mov_b32_e32 v6, 0
	s_and_saveexec_b32 s7, s5
	s_cbranch_execnz .LBB23_1929
	s_branch .LBB23_1930
.LBB23_2154:
	s_or_b32 s1, s1, exec_lo
	s_trap 2
	s_cbranch_execz .LBB23_1976
	s_branch .LBB23_1977
.LBB23_2155:
	s_andn2_saveexec_b32 s5, s5
	s_cbranch_execz .LBB23_1941
.LBB23_2156:
	v_add_f32_e64 v5, 0x42800000, |v4|
	s_andn2_b32 s4, s4, exec_lo
	v_and_b32_e32 v5, 0xff, v5
	v_cmp_ne_u32_e32 vcc_lo, 0, v5
	s_and_b32 s7, vcc_lo, exec_lo
	s_or_b32 s4, s4, s7
	s_or_b32 exec_lo, exec_lo, s5
	v_mov_b32_e32 v6, 0
	s_and_saveexec_b32 s5, s4
	s_cbranch_execnz .LBB23_1942
	s_branch .LBB23_1943
.LBB23_2157:
	s_andn2_saveexec_b32 s7, s7
	s_cbranch_execz .LBB23_2048
.LBB23_2158:
	v_add_f32_e64 v4, 0x46000000, |v3|
	s_andn2_b32 s5, s5, exec_lo
	v_and_b32_e32 v4, 0xff, v4
	v_cmp_ne_u32_e32 vcc_lo, 0, v4
	s_and_b32 s8, vcc_lo, exec_lo
	s_or_b32 s5, s5, s8
	s_or_b32 exec_lo, exec_lo, s7
	v_mov_b32_e32 v5, 0
	s_and_saveexec_b32 s7, s5
	s_cbranch_execnz .LBB23_2049
	s_branch .LBB23_2050
.LBB23_2159:
	s_mov_b32 s3, 0
	s_or_b32 s1, s1, exec_lo
	s_trap 2
	s_branch .LBB23_2094
.LBB23_2160:
	s_andn2_saveexec_b32 s5, s5
	s_cbranch_execz .LBB23_2060
.LBB23_2161:
	v_add_f32_e64 v4, 0x42800000, |v3|
	s_andn2_b32 s4, s4, exec_lo
	v_and_b32_e32 v4, 0xff, v4
	v_cmp_ne_u32_e32 vcc_lo, 0, v4
	s_and_b32 s7, vcc_lo, exec_lo
	s_or_b32 s4, s4, s7
	s_or_b32 exec_lo, exec_lo, s5
	v_mov_b32_e32 v5, 0
	s_and_saveexec_b32 s5, s4
	s_cbranch_execnz .LBB23_2061
	s_branch .LBB23_2062
	.section	.rodata,"a",@progbits
	.p2align	6, 0x0
	.amdhsa_kernel _ZN2at6native32elementwise_kernel_manual_unrollILi128ELi4EZNS0_15gpu_kernel_implIZZZNS0_16atan_kernel_cudaERNS_18TensorIteratorBaseEENKUlvE0_clEvENKUlvE1_clEvEUlN3c104HalfEE_EEvS4_RKT_EUlibE0_EEviT1_
		.amdhsa_group_segment_fixed_size 0
		.amdhsa_private_segment_fixed_size 0
		.amdhsa_kernarg_size 360
		.amdhsa_user_sgpr_count 6
		.amdhsa_user_sgpr_private_segment_buffer 1
		.amdhsa_user_sgpr_dispatch_ptr 0
		.amdhsa_user_sgpr_queue_ptr 0
		.amdhsa_user_sgpr_kernarg_segment_ptr 1
		.amdhsa_user_sgpr_dispatch_id 0
		.amdhsa_user_sgpr_flat_scratch_init 0
		.amdhsa_user_sgpr_private_segment_size 0
		.amdhsa_wavefront_size32 1
		.amdhsa_uses_dynamic_stack 0
		.amdhsa_system_sgpr_private_segment_wavefront_offset 0
		.amdhsa_system_sgpr_workgroup_id_x 1
		.amdhsa_system_sgpr_workgroup_id_y 0
		.amdhsa_system_sgpr_workgroup_id_z 0
		.amdhsa_system_sgpr_workgroup_info 0
		.amdhsa_system_vgpr_workitem_id 0
		.amdhsa_next_free_vgpr 18
		.amdhsa_next_free_sgpr 68
		.amdhsa_reserve_vcc 1
		.amdhsa_reserve_flat_scratch 0
		.amdhsa_float_round_mode_32 0
		.amdhsa_float_round_mode_16_64 0
		.amdhsa_float_denorm_mode_32 3
		.amdhsa_float_denorm_mode_16_64 3
		.amdhsa_dx10_clamp 1
		.amdhsa_ieee_mode 1
		.amdhsa_fp16_overflow 0
		.amdhsa_workgroup_processor_mode 1
		.amdhsa_memory_ordered 1
		.amdhsa_forward_progress 1
		.amdhsa_shared_vgpr_count 0
		.amdhsa_exception_fp_ieee_invalid_op 0
		.amdhsa_exception_fp_denorm_src 0
		.amdhsa_exception_fp_ieee_div_zero 0
		.amdhsa_exception_fp_ieee_overflow 0
		.amdhsa_exception_fp_ieee_underflow 0
		.amdhsa_exception_fp_ieee_inexact 0
		.amdhsa_exception_int_div_zero 0
	.end_amdhsa_kernel
	.section	.text._ZN2at6native32elementwise_kernel_manual_unrollILi128ELi4EZNS0_15gpu_kernel_implIZZZNS0_16atan_kernel_cudaERNS_18TensorIteratorBaseEENKUlvE0_clEvENKUlvE1_clEvEUlN3c104HalfEE_EEvS4_RKT_EUlibE0_EEviT1_,"axG",@progbits,_ZN2at6native32elementwise_kernel_manual_unrollILi128ELi4EZNS0_15gpu_kernel_implIZZZNS0_16atan_kernel_cudaERNS_18TensorIteratorBaseEENKUlvE0_clEvENKUlvE1_clEvEUlN3c104HalfEE_EEvS4_RKT_EUlibE0_EEviT1_,comdat
.Lfunc_end23:
	.size	_ZN2at6native32elementwise_kernel_manual_unrollILi128ELi4EZNS0_15gpu_kernel_implIZZZNS0_16atan_kernel_cudaERNS_18TensorIteratorBaseEENKUlvE0_clEvENKUlvE1_clEvEUlN3c104HalfEE_EEvS4_RKT_EUlibE0_EEviT1_, .Lfunc_end23-_ZN2at6native32elementwise_kernel_manual_unrollILi128ELi4EZNS0_15gpu_kernel_implIZZZNS0_16atan_kernel_cudaERNS_18TensorIteratorBaseEENKUlvE0_clEvENKUlvE1_clEvEUlN3c104HalfEE_EEvS4_RKT_EUlibE0_EEviT1_
                                        ; -- End function
	.set _ZN2at6native32elementwise_kernel_manual_unrollILi128ELi4EZNS0_15gpu_kernel_implIZZZNS0_16atan_kernel_cudaERNS_18TensorIteratorBaseEENKUlvE0_clEvENKUlvE1_clEvEUlN3c104HalfEE_EEvS4_RKT_EUlibE0_EEviT1_.num_vgpr, 18
	.set _ZN2at6native32elementwise_kernel_manual_unrollILi128ELi4EZNS0_15gpu_kernel_implIZZZNS0_16atan_kernel_cudaERNS_18TensorIteratorBaseEENKUlvE0_clEvENKUlvE1_clEvEUlN3c104HalfEE_EEvS4_RKT_EUlibE0_EEviT1_.num_agpr, 0
	.set _ZN2at6native32elementwise_kernel_manual_unrollILi128ELi4EZNS0_15gpu_kernel_implIZZZNS0_16atan_kernel_cudaERNS_18TensorIteratorBaseEENKUlvE0_clEvENKUlvE1_clEvEUlN3c104HalfEE_EEvS4_RKT_EUlibE0_EEviT1_.numbered_sgpr, 68
	.set _ZN2at6native32elementwise_kernel_manual_unrollILi128ELi4EZNS0_15gpu_kernel_implIZZZNS0_16atan_kernel_cudaERNS_18TensorIteratorBaseEENKUlvE0_clEvENKUlvE1_clEvEUlN3c104HalfEE_EEvS4_RKT_EUlibE0_EEviT1_.num_named_barrier, 0
	.set _ZN2at6native32elementwise_kernel_manual_unrollILi128ELi4EZNS0_15gpu_kernel_implIZZZNS0_16atan_kernel_cudaERNS_18TensorIteratorBaseEENKUlvE0_clEvENKUlvE1_clEvEUlN3c104HalfEE_EEvS4_RKT_EUlibE0_EEviT1_.private_seg_size, 0
	.set _ZN2at6native32elementwise_kernel_manual_unrollILi128ELi4EZNS0_15gpu_kernel_implIZZZNS0_16atan_kernel_cudaERNS_18TensorIteratorBaseEENKUlvE0_clEvENKUlvE1_clEvEUlN3c104HalfEE_EEvS4_RKT_EUlibE0_EEviT1_.uses_vcc, 1
	.set _ZN2at6native32elementwise_kernel_manual_unrollILi128ELi4EZNS0_15gpu_kernel_implIZZZNS0_16atan_kernel_cudaERNS_18TensorIteratorBaseEENKUlvE0_clEvENKUlvE1_clEvEUlN3c104HalfEE_EEvS4_RKT_EUlibE0_EEviT1_.uses_flat_scratch, 0
	.set _ZN2at6native32elementwise_kernel_manual_unrollILi128ELi4EZNS0_15gpu_kernel_implIZZZNS0_16atan_kernel_cudaERNS_18TensorIteratorBaseEENKUlvE0_clEvENKUlvE1_clEvEUlN3c104HalfEE_EEvS4_RKT_EUlibE0_EEviT1_.has_dyn_sized_stack, 0
	.set _ZN2at6native32elementwise_kernel_manual_unrollILi128ELi4EZNS0_15gpu_kernel_implIZZZNS0_16atan_kernel_cudaERNS_18TensorIteratorBaseEENKUlvE0_clEvENKUlvE1_clEvEUlN3c104HalfEE_EEvS4_RKT_EUlibE0_EEviT1_.has_recursion, 0
	.set _ZN2at6native32elementwise_kernel_manual_unrollILi128ELi4EZNS0_15gpu_kernel_implIZZZNS0_16atan_kernel_cudaERNS_18TensorIteratorBaseEENKUlvE0_clEvENKUlvE1_clEvEUlN3c104HalfEE_EEvS4_RKT_EUlibE0_EEviT1_.has_indirect_call, 0
	.section	.AMDGPU.csdata,"",@progbits
; Kernel info:
; codeLenInByte = 41468
; TotalNumSgprs: 70
; NumVgprs: 18
; ScratchSize: 0
; MemoryBound: 0
; FloatMode: 240
; IeeeMode: 1
; LDSByteSize: 0 bytes/workgroup (compile time only)
; SGPRBlocks: 0
; VGPRBlocks: 2
; NumSGPRsForWavesPerEU: 70
; NumVGPRsForWavesPerEU: 18
; Occupancy: 16
; WaveLimiterHint : 1
; COMPUTE_PGM_RSRC2:SCRATCH_EN: 0
; COMPUTE_PGM_RSRC2:USER_SGPR: 6
; COMPUTE_PGM_RSRC2:TRAP_HANDLER: 0
; COMPUTE_PGM_RSRC2:TGID_X_EN: 1
; COMPUTE_PGM_RSRC2:TGID_Y_EN: 0
; COMPUTE_PGM_RSRC2:TGID_Z_EN: 0
; COMPUTE_PGM_RSRC2:TIDIG_COMP_CNT: 0
	.section	.text._ZN2at6native29vectorized_elementwise_kernelILi16EZZZNS0_16atan_kernel_cudaERNS_18TensorIteratorBaseEENKUlvE0_clEvENKUlvE2_clEvEUlN3c108BFloat16EE_St5arrayIPcLm2EEEEviT0_T1_,"axG",@progbits,_ZN2at6native29vectorized_elementwise_kernelILi16EZZZNS0_16atan_kernel_cudaERNS_18TensorIteratorBaseEENKUlvE0_clEvENKUlvE2_clEvEUlN3c108BFloat16EE_St5arrayIPcLm2EEEEviT0_T1_,comdat
	.globl	_ZN2at6native29vectorized_elementwise_kernelILi16EZZZNS0_16atan_kernel_cudaERNS_18TensorIteratorBaseEENKUlvE0_clEvENKUlvE2_clEvEUlN3c108BFloat16EE_St5arrayIPcLm2EEEEviT0_T1_ ; -- Begin function _ZN2at6native29vectorized_elementwise_kernelILi16EZZZNS0_16atan_kernel_cudaERNS_18TensorIteratorBaseEENKUlvE0_clEvENKUlvE2_clEvEUlN3c108BFloat16EE_St5arrayIPcLm2EEEEviT0_T1_
	.p2align	8
	.type	_ZN2at6native29vectorized_elementwise_kernelILi16EZZZNS0_16atan_kernel_cudaERNS_18TensorIteratorBaseEENKUlvE0_clEvENKUlvE2_clEvEUlN3c108BFloat16EE_St5arrayIPcLm2EEEEviT0_T1_,@function
_ZN2at6native29vectorized_elementwise_kernelILi16EZZZNS0_16atan_kernel_cudaERNS_18TensorIteratorBaseEENKUlvE0_clEvENKUlvE2_clEvEUlN3c108BFloat16EE_St5arrayIPcLm2EEEEviT0_T1_: ; @_ZN2at6native29vectorized_elementwise_kernelILi16EZZZNS0_16atan_kernel_cudaERNS_18TensorIteratorBaseEENKUlvE0_clEvENKUlvE2_clEvEUlN3c108BFloat16EE_St5arrayIPcLm2EEEEviT0_T1_
; %bb.0:
	s_clause 0x1
	s_load_dword s0, s[4:5], 0x0
	s_load_dwordx4 s[8:11], s[4:5], 0x8
	s_lshl_b32 s12, s6, 11
	s_waitcnt lgkmcnt(0)
	s_sub_i32 s7, s0, s12
	s_mov_b32 s0, -1
	s_cmpk_gt_i32 s7, 0x7ff
	s_cbranch_scc0 .LBB24_2
; %bb.1:
	s_ashr_i32 s13, s12, 31
	v_lshlrev_b32_e32 v5, 4, v0
	s_lshl_b64 s[14:15], s[12:13], 1
	s_mov_b32 s13, 0x3b2d2a58
	s_add_u32 s0, s10, s14
	s_addc_u32 s1, s11, s15
	v_mov_b32_e32 v6, 1
	global_load_dwordx4 v[1:4], v5, s[0:1]
	v_mov_b32_e32 v7, 0x7fc0
	s_waitcnt vmcnt(0)
	v_and_b32_e32 v8, 0xffff0000, v1
	v_lshlrev_b32_e32 v1, 16, v1
	v_and_b32_e32 v9, 0xffff0000, v2
	v_lshlrev_b32_e32 v2, 16, v2
	;; [unrolled: 2-line block ×4, first 2 shown]
	v_rcp_f32_e64 v12, |v1|
	v_rcp_f32_e64 v13, |v8|
	;; [unrolled: 1-line block ×8, first 2 shown]
	v_cmp_gt_f32_e64 vcc_lo, |v1|, 1.0
	v_cmp_gt_f32_e64 s0, |v8|, 1.0
	v_cmp_gt_f32_e64 s1, |v2|, 1.0
	;; [unrolled: 1-line block ×7, first 2 shown]
	v_cndmask_b32_e64 v12, |v1|, v12, vcc_lo
	v_cndmask_b32_e64 v13, |v8|, v13, s0
	v_cndmask_b32_e64 v14, |v2|, v14, s1
	v_cndmask_b32_e64 v15, |v9|, v15, s2
	v_cndmask_b32_e64 v16, |v3|, v16, s3
	v_cndmask_b32_e64 v17, |v10|, v17, s4
	v_cndmask_b32_e64 v18, |v4|, v18, s5
	v_cndmask_b32_e64 v19, |v11|, v19, s6
	v_mul_f32_e32 v20, v13, v13
	v_mul_f32_e32 v21, v12, v12
	;; [unrolled: 1-line block ×8, first 2 shown]
	v_fmaak_f32 v28, s13, v21, 0xbc7a590c
	v_fmaak_f32 v29, s13, v20, 0xbc7a590c
	;; [unrolled: 1-line block ×56, first 2 shown]
	v_mul_f32_e32 v21, v21, v28
	v_mul_f32_e32 v20, v20, v29
	;; [unrolled: 1-line block ×8, first 2 shown]
	v_fmac_f32_e32 v13, v13, v20
	v_fmac_f32_e32 v12, v12, v21
	;; [unrolled: 1-line block ×8, first 2 shown]
	v_sub_f32_e32 v20, 0x3fc90fdb, v12
	v_sub_f32_e32 v21, 0x3fc90fdb, v13
	;; [unrolled: 1-line block ×8, first 2 shown]
	v_cndmask_b32_e64 v13, v13, v21, s0
	v_cndmask_b32_e32 v12, v12, v20, vcc_lo
	v_cndmask_b32_e64 v15, v15, v23, s2
	v_cndmask_b32_e64 v14, v14, v22, s1
	;; [unrolled: 1-line block ×6, first 2 shown]
	v_bfi_b32 v1, 0x7fffffff, v12, v1
	v_bfi_b32 v8, 0x7fffffff, v13, v8
	;; [unrolled: 1-line block ×8, first 2 shown]
	v_and_b32_sdwa v12, v8, v6 dst_sel:DWORD dst_unused:UNUSED_PAD src0_sel:WORD_1 src1_sel:DWORD
	v_and_b32_sdwa v13, v1, v6 dst_sel:DWORD dst_unused:UNUSED_PAD src0_sel:WORD_1 src1_sel:DWORD
	;; [unrolled: 1-line block ×8, first 2 shown]
	v_cmp_o_f32_e32 vcc_lo, v4, v4
	v_cmp_o_f32_e64 s0, v11, v11
	v_add3_u32 v13, v1, v13, 0x7fff
	v_add3_u32 v11, v11, v18, 0x7fff
	v_add3_u32 v4, v4, v6, 0x7fff
	v_add3_u32 v15, v2, v15, 0x7fff
	v_add3_u32 v14, v9, v14, 0x7fff
	v_lshrrev_b32_e32 v6, 16, v13
	v_add3_u32 v17, v3, v17, 0x7fff
	v_cndmask_b32_sdwa v4, v7, v4, vcc_lo dst_sel:DWORD dst_unused:UNUSED_PAD src0_sel:DWORD src1_sel:WORD_1
	s_mov_b32 vcc_lo, s0
	v_lshrrev_b32_e32 v13, 16, v15
	v_cndmask_b32_sdwa v7, v7, v11, vcc_lo dst_sel:DWORD dst_unused:UNUSED_PAD src0_sel:DWORD src1_sel:WORD_1
	v_cmp_o_f32_e32 vcc_lo, v1, v1
	v_lshrrev_b32_e32 v14, 16, v14
	v_add3_u32 v16, v10, v16, 0x7fff
	v_lshrrev_b32_e32 v15, 16, v17
	v_add3_u32 v12, v8, v12, 0x7fff
	v_cndmask_b32_e32 v1, 0x7fc0, v6, vcc_lo
	v_cmp_o_f32_e32 vcc_lo, v2, v2
	v_lshrrev_b32_e32 v16, 16, v16
	v_perm_b32 v4, v7, v4, 0x5040100
	v_lshrrev_b32_e32 v12, 16, v12
	s_add_u32 s2, s8, s14
	v_cndmask_b32_e32 v2, 0x7fc0, v13, vcc_lo
	v_cmp_o_f32_e32 vcc_lo, v9, v9
	s_addc_u32 s3, s9, s15
	s_mov_b32 s0, 0
	v_cndmask_b32_e32 v6, 0x7fc0, v14, vcc_lo
	v_cmp_o_f32_e32 vcc_lo, v3, v3
	v_perm_b32 v2, v6, v2, 0x5040100
	v_cndmask_b32_e32 v3, 0x7fc0, v15, vcc_lo
	v_cmp_o_f32_e32 vcc_lo, v10, v10
	v_cndmask_b32_e32 v9, 0x7fc0, v16, vcc_lo
	v_cmp_o_f32_e32 vcc_lo, v8, v8
	v_perm_b32 v3, v9, v3, 0x5040100
	v_cndmask_b32_e32 v8, 0x7fc0, v12, vcc_lo
	v_perm_b32 v1, v8, v1, 0x5040100
	global_store_dwordx4 v5, v[1:4], s[2:3]
.LBB24_2:
	s_andn2_b32 vcc_lo, exec_lo, s0
	s_cbranch_vccnz .LBB24_41
; %bb.3:
	v_cmp_gt_i32_e64 s0, s7, v0
	v_mov_b32_e32 v10, 0
	v_or_b32_e32 v1, s12, v0
	v_or_b32_e32 v3, 0x100, v0
	v_mov_b32_e32 v8, 0
	v_mov_b32_e32 v5, v0
	s_and_saveexec_b32 s1, s0
	s_cbranch_execz .LBB24_5
; %bb.4:
	v_mov_b32_e32 v2, 0
	v_lshlrev_b64 v[4:5], 1, v[1:2]
	v_add_co_u32 v4, vcc_lo, s10, v4
	v_add_co_ci_u32_e64 v5, null, s11, v5, vcc_lo
	global_load_ushort v2, v[4:5], off
	v_or_b32_e32 v5, 0x100, v0
	s_waitcnt vmcnt(0)
	v_lshlrev_b32_e32 v8, 16, v2
.LBB24_5:
	s_or_b32 exec_lo, exec_lo, s1
	s_mov_b32 s1, exec_lo
	v_cmpx_gt_i32_e64 s7, v5
	s_cbranch_execz .LBB24_7
; %bb.6:
	v_add_nc_u32_e32 v6, s12, v5
	v_mov_b32_e32 v7, 0
	v_add_nc_u32_e32 v5, 0x100, v5
	v_lshlrev_b64 v[6:7], 1, v[6:7]
	v_add_co_u32 v6, vcc_lo, s10, v6
	v_add_co_ci_u32_e64 v7, null, s11, v7, vcc_lo
	global_load_ushort v2, v[6:7], off
	s_waitcnt vmcnt(0)
	v_lshlrev_b32_e32 v10, 16, v2
.LBB24_7:
	s_or_b32 exec_lo, exec_lo, s1
	v_mov_b32_e32 v7, 0
	v_mov_b32_e32 v11, 0
	s_mov_b32 s1, exec_lo
	v_cmpx_gt_i32_e64 s7, v5
	s_cbranch_execz .LBB24_9
; %bb.8:
	v_add_nc_u32_e32 v11, s12, v5
	v_mov_b32_e32 v12, 0
	v_add_nc_u32_e32 v5, 0x100, v5
	v_lshlrev_b64 v[11:12], 1, v[11:12]
	v_add_co_u32 v11, vcc_lo, s10, v11
	v_add_co_ci_u32_e64 v12, null, s11, v12, vcc_lo
	global_load_ushort v2, v[11:12], off
	s_waitcnt vmcnt(0)
	v_lshlrev_b32_e32 v11, 16, v2
.LBB24_9:
	s_or_b32 exec_lo, exec_lo, s1
	s_mov_b32 s1, exec_lo
	v_cmpx_gt_i32_e64 s7, v5
	s_cbranch_execz .LBB24_11
; %bb.10:
	v_add_nc_u32_e32 v6, s12, v5
	v_mov_b32_e32 v7, 0
	v_add_nc_u32_e32 v5, 0x100, v5
	v_lshlrev_b64 v[6:7], 1, v[6:7]
	v_add_co_u32 v6, vcc_lo, s10, v6
	v_add_co_ci_u32_e64 v7, null, s11, v7, vcc_lo
	global_load_ushort v2, v[6:7], off
	s_waitcnt vmcnt(0)
	v_lshlrev_b32_e32 v7, 16, v2
.LBB24_11:
	s_or_b32 exec_lo, exec_lo, s1
	v_mov_b32_e32 v4, 0
	v_mov_b32_e32 v9, 0
	s_mov_b32 s1, exec_lo
	v_cmpx_gt_i32_e64 s7, v5
	s_cbranch_execz .LBB24_13
; %bb.12:
	v_add_nc_u32_e32 v12, s12, v5
	v_mov_b32_e32 v13, 0
	v_add_nc_u32_e32 v5, 0x100, v5
	v_lshlrev_b64 v[12:13], 1, v[12:13]
	v_add_co_u32 v12, vcc_lo, s10, v12
	v_add_co_ci_u32_e64 v13, null, s11, v13, vcc_lo
	global_load_ushort v2, v[12:13], off
	s_waitcnt vmcnt(0)
	v_lshlrev_b32_e32 v9, 16, v2
.LBB24_13:
	s_or_b32 exec_lo, exec_lo, s1
	s_mov_b32 s1, exec_lo
	v_cmpx_gt_i32_e64 s7, v5
	s_cbranch_execz .LBB24_15
; %bb.14:
	v_add_nc_u32_e32 v12, s12, v5
	v_mov_b32_e32 v13, 0
	v_add_nc_u32_e32 v5, 0x100, v5
	v_lshlrev_b64 v[12:13], 1, v[12:13]
	v_add_co_u32 v12, vcc_lo, s10, v12
	v_add_co_ci_u32_e64 v13, null, s11, v13, vcc_lo
	global_load_ushort v2, v[12:13], off
	s_waitcnt vmcnt(0)
	v_lshlrev_b32_e32 v4, 16, v2
.LBB24_15:
	s_or_b32 exec_lo, exec_lo, s1
	v_mov_b32_e32 v2, 0
	v_mov_b32_e32 v6, 0
	s_mov_b32 s1, exec_lo
	v_cmpx_gt_i32_e64 s7, v5
	s_cbranch_execz .LBB24_42
; %bb.16:
	v_add_nc_u32_e32 v12, s12, v5
	v_mov_b32_e32 v13, 0
	v_add_nc_u32_e32 v5, 0x100, v5
	v_lshlrev_b64 v[12:13], 1, v[12:13]
	v_add_co_u32 v12, vcc_lo, s10, v12
	v_add_co_ci_u32_e64 v13, null, s11, v13, vcc_lo
	global_load_ushort v6, v[12:13], off
	s_waitcnt vmcnt(0)
	v_lshlrev_b32_e32 v6, 16, v6
	s_or_b32 exec_lo, exec_lo, s1
	s_mov_b32 s1, exec_lo
	v_cmpx_gt_i32_e64 s7, v5
	s_cbranch_execnz .LBB24_43
.LBB24_17:
	s_or_b32 exec_lo, exec_lo, s1
                                        ; implicit-def: $vgpr5
	s_and_saveexec_b32 s1, s0
	s_cbranch_execz .LBB24_19
.LBB24_18:
	v_rcp_f32_e64 v5, |v8|
	v_cmp_gt_f32_e64 vcc_lo, |v8|, 1.0
	s_mov_b32 s2, 0x3b2d2a58
	v_cndmask_b32_e64 v5, |v8|, v5, vcc_lo
	v_mul_f32_e32 v12, v5, v5
	v_fmaak_f32 v13, s2, v12, 0xbc7a590c
	v_fmaak_f32 v13, v12, v13, 0x3d29fb3f
	;; [unrolled: 1-line block ×7, first 2 shown]
	v_mul_f32_e32 v12, v12, v13
	v_fmac_f32_e32 v5, v5, v12
	v_sub_f32_e32 v12, 0x3fc90fdb, v5
	v_cndmask_b32_e32 v5, v5, v12, vcc_lo
	v_bfi_b32 v5, 0x7fffffff, v5, v8
	v_bfe_u32 v8, v5, 16, 1
	v_cmp_o_f32_e32 vcc_lo, v5, v5
	v_add3_u32 v5, v5, v8, 0x7fff
	v_mov_b32_e32 v8, 0x7fc0
	v_cndmask_b32_sdwa v5, v8, v5, vcc_lo dst_sel:DWORD dst_unused:UNUSED_PAD src0_sel:DWORD src1_sel:WORD_1
.LBB24_19:
	s_or_b32 exec_lo, exec_lo, s1
	s_mov_b32 s1, exec_lo
                                        ; implicit-def: $vgpr8
	v_cmpx_gt_i32_e64 s7, v3
	s_cbranch_execz .LBB24_21
; %bb.20:
	v_rcp_f32_e64 v8, |v10|
	v_cmp_gt_f32_e64 vcc_lo, |v10|, 1.0
	s_mov_b32 s2, 0x3b2d2a58
	v_cndmask_b32_e64 v8, |v10|, v8, vcc_lo
	v_mul_f32_e32 v12, v8, v8
	v_fmaak_f32 v13, s2, v12, 0xbc7a590c
	v_fmaak_f32 v13, v12, v13, 0x3d29fb3f
	;; [unrolled: 1-line block ×7, first 2 shown]
	v_mul_f32_e32 v12, v12, v13
	v_fmac_f32_e32 v8, v8, v12
	v_sub_f32_e32 v12, 0x3fc90fdb, v8
	v_cndmask_b32_e32 v8, v8, v12, vcc_lo
	v_bfi_b32 v8, 0x7fffffff, v8, v10
	v_bfe_u32 v10, v8, 16, 1
	v_cmp_o_f32_e32 vcc_lo, v8, v8
	v_add3_u32 v8, v8, v10, 0x7fff
	v_mov_b32_e32 v10, 0x7fc0
	v_cndmask_b32_sdwa v8, v10, v8, vcc_lo dst_sel:DWORD dst_unused:UNUSED_PAD src0_sel:DWORD src1_sel:WORD_1
.LBB24_21:
	s_or_b32 exec_lo, exec_lo, s1
	v_or_b32_e32 v10, 0x200, v0
	v_cmp_gt_i32_e32 vcc_lo, s7, v10
                                        ; implicit-def: $vgpr10
	s_and_saveexec_b32 s1, vcc_lo
	s_cbranch_execz .LBB24_23
; %bb.22:
	v_rcp_f32_e64 v10, |v11|
	v_cmp_gt_f32_e64 vcc_lo, |v11|, 1.0
	s_mov_b32 s2, 0x3b2d2a58
	v_cndmask_b32_e64 v10, |v11|, v10, vcc_lo
	v_mul_f32_e32 v12, v10, v10
	v_fmaak_f32 v13, s2, v12, 0xbc7a590c
	v_fmaak_f32 v13, v12, v13, 0x3d29fb3f
	;; [unrolled: 1-line block ×7, first 2 shown]
	v_mul_f32_e32 v12, v12, v13
	v_fmac_f32_e32 v10, v10, v12
	v_sub_f32_e32 v12, 0x3fc90fdb, v10
	v_cndmask_b32_e32 v10, v10, v12, vcc_lo
	v_bfi_b32 v10, 0x7fffffff, v10, v11
	v_bfe_u32 v11, v10, 16, 1
	v_cmp_o_f32_e32 vcc_lo, v10, v10
	v_add3_u32 v10, v10, v11, 0x7fff
	v_mov_b32_e32 v11, 0x7fc0
	v_cndmask_b32_sdwa v10, v11, v10, vcc_lo dst_sel:DWORD dst_unused:UNUSED_PAD src0_sel:DWORD src1_sel:WORD_1
.LBB24_23:
	s_or_b32 exec_lo, exec_lo, s1
	v_or_b32_e32 v11, 0x300, v0
	v_cmp_gt_i32_e32 vcc_lo, s7, v11
                                        ; implicit-def: $vgpr11
	s_and_saveexec_b32 s1, vcc_lo
	s_cbranch_execz .LBB24_25
; %bb.24:
	v_rcp_f32_e64 v11, |v7|
	v_cmp_gt_f32_e64 vcc_lo, |v7|, 1.0
	s_mov_b32 s2, 0x3b2d2a58
	v_cndmask_b32_e64 v11, |v7|, v11, vcc_lo
	v_mul_f32_e32 v12, v11, v11
	v_fmaak_f32 v13, s2, v12, 0xbc7a590c
	v_fmaak_f32 v13, v12, v13, 0x3d29fb3f
	;; [unrolled: 1-line block ×7, first 2 shown]
	v_mul_f32_e32 v12, v12, v13
	v_fmac_f32_e32 v11, v11, v12
	v_sub_f32_e32 v12, 0x3fc90fdb, v11
	v_cndmask_b32_e32 v11, v11, v12, vcc_lo
	v_bfi_b32 v7, 0x7fffffff, v11, v7
	v_bfe_u32 v11, v7, 16, 1
	v_cmp_o_f32_e32 vcc_lo, v7, v7
	v_add3_u32 v7, v7, v11, 0x7fff
	v_mov_b32_e32 v11, 0x7fc0
	v_cndmask_b32_sdwa v11, v11, v7, vcc_lo dst_sel:DWORD dst_unused:UNUSED_PAD src0_sel:DWORD src1_sel:WORD_1
.LBB24_25:
	s_or_b32 exec_lo, exec_lo, s1
	v_or_b32_e32 v7, 0x400, v0
	v_cmp_gt_i32_e32 vcc_lo, s7, v7
                                        ; implicit-def: $vgpr7
	s_and_saveexec_b32 s1, vcc_lo
	s_cbranch_execz .LBB24_27
; %bb.26:
	v_rcp_f32_e64 v7, |v9|
	v_cmp_gt_f32_e64 vcc_lo, |v9|, 1.0
	s_mov_b32 s2, 0x3b2d2a58
	v_cndmask_b32_e64 v7, |v9|, v7, vcc_lo
	v_mul_f32_e32 v12, v7, v7
	v_fmaak_f32 v13, s2, v12, 0xbc7a590c
	v_fmaak_f32 v13, v12, v13, 0x3d29fb3f
	;; [unrolled: 1-line block ×7, first 2 shown]
	v_mul_f32_e32 v12, v12, v13
	v_fmac_f32_e32 v7, v7, v12
	v_sub_f32_e32 v12, 0x3fc90fdb, v7
	v_cndmask_b32_e32 v7, v7, v12, vcc_lo
	v_bfi_b32 v7, 0x7fffffff, v7, v9
	v_bfe_u32 v9, v7, 16, 1
	v_cmp_o_f32_e32 vcc_lo, v7, v7
	v_add3_u32 v7, v7, v9, 0x7fff
	v_mov_b32_e32 v9, 0x7fc0
	v_cndmask_b32_sdwa v7, v9, v7, vcc_lo dst_sel:DWORD dst_unused:UNUSED_PAD src0_sel:DWORD src1_sel:WORD_1
.LBB24_27:
	s_or_b32 exec_lo, exec_lo, s1
	v_or_b32_e32 v9, 0x500, v0
	v_cmp_gt_i32_e32 vcc_lo, s7, v9
                                        ; implicit-def: $vgpr9
	s_and_saveexec_b32 s1, vcc_lo
	s_cbranch_execz .LBB24_29
; %bb.28:
	v_rcp_f32_e64 v9, |v4|
	v_cmp_gt_f32_e64 vcc_lo, |v4|, 1.0
	s_mov_b32 s2, 0x3b2d2a58
	v_cndmask_b32_e64 v9, |v4|, v9, vcc_lo
	v_mul_f32_e32 v12, v9, v9
	v_fmaak_f32 v13, s2, v12, 0xbc7a590c
	v_fmaak_f32 v13, v12, v13, 0x3d29fb3f
	;; [unrolled: 1-line block ×7, first 2 shown]
	v_mul_f32_e32 v12, v12, v13
	v_fmac_f32_e32 v9, v9, v12
	v_sub_f32_e32 v12, 0x3fc90fdb, v9
	v_cndmask_b32_e32 v9, v9, v12, vcc_lo
	v_bfi_b32 v4, 0x7fffffff, v9, v4
	v_bfe_u32 v9, v4, 16, 1
	v_cmp_o_f32_e32 vcc_lo, v4, v4
	v_add3_u32 v4, v4, v9, 0x7fff
	v_mov_b32_e32 v9, 0x7fc0
	v_cndmask_b32_sdwa v9, v9, v4, vcc_lo dst_sel:DWORD dst_unused:UNUSED_PAD src0_sel:DWORD src1_sel:WORD_1
.LBB24_29:
	s_or_b32 exec_lo, exec_lo, s1
	v_or_b32_e32 v4, 0x600, v0
	v_cmp_gt_i32_e32 vcc_lo, s7, v4
                                        ; implicit-def: $vgpr4
	s_and_saveexec_b32 s1, vcc_lo
	s_cbranch_execz .LBB24_31
; %bb.30:
	v_rcp_f32_e64 v4, |v6|
	v_cmp_gt_f32_e64 vcc_lo, |v6|, 1.0
	s_mov_b32 s2, 0x3b2d2a58
	v_cndmask_b32_e64 v4, |v6|, v4, vcc_lo
	v_mul_f32_e32 v12, v4, v4
	v_fmaak_f32 v13, s2, v12, 0xbc7a590c
	v_fmaak_f32 v13, v12, v13, 0x3d29fb3f
	;; [unrolled: 1-line block ×7, first 2 shown]
	v_mul_f32_e32 v12, v12, v13
	v_fmac_f32_e32 v4, v4, v12
	v_sub_f32_e32 v12, 0x3fc90fdb, v4
	v_cndmask_b32_e32 v4, v4, v12, vcc_lo
	v_bfi_b32 v4, 0x7fffffff, v4, v6
	v_bfe_u32 v6, v4, 16, 1
	v_cmp_o_f32_e32 vcc_lo, v4, v4
	v_add3_u32 v4, v4, v6, 0x7fff
	v_mov_b32_e32 v6, 0x7fc0
	v_cndmask_b32_sdwa v4, v6, v4, vcc_lo dst_sel:DWORD dst_unused:UNUSED_PAD src0_sel:DWORD src1_sel:WORD_1
.LBB24_31:
	s_or_b32 exec_lo, exec_lo, s1
	v_or_b32_e32 v6, 0x700, v0
	v_cmp_gt_i32_e32 vcc_lo, s7, v6
                                        ; implicit-def: $vgpr6
	s_and_saveexec_b32 s1, vcc_lo
	s_cbranch_execz .LBB24_44
; %bb.32:
	v_rcp_f32_e64 v6, |v2|
	v_cmp_gt_f32_e64 vcc_lo, |v2|, 1.0
	s_mov_b32 s2, 0x3b2d2a58
	v_cndmask_b32_e64 v6, |v2|, v6, vcc_lo
	v_mul_f32_e32 v12, v6, v6
	v_fmaak_f32 v13, s2, v12, 0xbc7a590c
	v_fmaak_f32 v13, v12, v13, 0x3d29fb3f
	;; [unrolled: 1-line block ×7, first 2 shown]
	v_mul_f32_e32 v12, v12, v13
	v_fmac_f32_e32 v6, v6, v12
	v_sub_f32_e32 v12, 0x3fc90fdb, v6
	v_cndmask_b32_e32 v6, v6, v12, vcc_lo
	v_bfi_b32 v2, 0x7fffffff, v6, v2
	v_bfe_u32 v6, v2, 16, 1
	v_cmp_o_f32_e32 vcc_lo, v2, v2
	v_add3_u32 v2, v2, v6, 0x7fff
	v_mov_b32_e32 v6, 0x7fc0
	v_cndmask_b32_sdwa v6, v6, v2, vcc_lo dst_sel:DWORD dst_unused:UNUSED_PAD src0_sel:DWORD src1_sel:WORD_1
	s_or_b32 exec_lo, exec_lo, s1
	s_and_saveexec_b32 s1, s0
	s_xor_b32 s0, exec_lo, s1
	s_cbranch_execnz .LBB24_45
.LBB24_33:
	s_or_b32 exec_lo, exec_lo, s0
	s_mov_b32 s0, exec_lo
	v_cmpx_gt_i32_e64 s7, v0
	s_cbranch_execz .LBB24_46
.LBB24_34:
	v_add_nc_u32_e32 v1, s12, v0
	v_mov_b32_e32 v2, 0
	v_add_nc_u32_e32 v0, 0x100, v0
	v_lshlrev_b64 v[1:2], 1, v[1:2]
	v_add_co_u32 v1, vcc_lo, s8, v1
	v_add_co_ci_u32_e64 v2, null, s9, v2, vcc_lo
	global_store_short v[1:2], v8, off
	s_or_b32 exec_lo, exec_lo, s0
	s_mov_b32 s0, exec_lo
	v_cmpx_gt_i32_e64 s7, v0
	s_cbranch_execnz .LBB24_47
.LBB24_35:
	s_or_b32 exec_lo, exec_lo, s0
	s_mov_b32 s0, exec_lo
	v_cmpx_gt_i32_e64 s7, v0
	s_cbranch_execz .LBB24_48
.LBB24_36:
	v_add_nc_u32_e32 v1, s12, v0
	v_mov_b32_e32 v2, 0
	v_add_nc_u32_e32 v0, 0x100, v0
	v_lshlrev_b64 v[1:2], 1, v[1:2]
	v_add_co_u32 v1, vcc_lo, s8, v1
	v_add_co_ci_u32_e64 v2, null, s9, v2, vcc_lo
	global_store_short v[1:2], v11, off
	s_or_b32 exec_lo, exec_lo, s0
	s_mov_b32 s0, exec_lo
	v_cmpx_gt_i32_e64 s7, v0
	s_cbranch_execnz .LBB24_49
.LBB24_37:
	s_or_b32 exec_lo, exec_lo, s0
	s_mov_b32 s0, exec_lo
	v_cmpx_gt_i32_e64 s7, v0
	s_cbranch_execz .LBB24_50
.LBB24_38:
	v_add_nc_u32_e32 v1, s12, v0
	v_mov_b32_e32 v2, 0
	v_add_nc_u32_e32 v0, 0x100, v0
	v_lshlrev_b64 v[1:2], 1, v[1:2]
	v_add_co_u32 v1, vcc_lo, s8, v1
	v_add_co_ci_u32_e64 v2, null, s9, v2, vcc_lo
	global_store_short v[1:2], v9, off
	s_or_b32 exec_lo, exec_lo, s0
	s_mov_b32 s0, exec_lo
	v_cmpx_gt_i32_e64 s7, v0
	s_cbranch_execnz .LBB24_51
.LBB24_39:
	s_or_b32 exec_lo, exec_lo, s0
	s_mov_b32 s0, exec_lo
	v_cmpx_gt_i32_e64 s7, v0
	s_cbranch_execz .LBB24_41
.LBB24_40:
	v_add_nc_u32_e32 v0, s12, v0
	v_mov_b32_e32 v1, 0
	v_lshlrev_b64 v[0:1], 1, v[0:1]
	v_add_co_u32 v0, vcc_lo, s8, v0
	v_add_co_ci_u32_e64 v1, null, s9, v1, vcc_lo
	global_store_short v[0:1], v6, off
.LBB24_41:
	s_endpgm
.LBB24_42:
	s_or_b32 exec_lo, exec_lo, s1
	s_mov_b32 s1, exec_lo
	v_cmpx_gt_i32_e64 s7, v5
	s_cbranch_execz .LBB24_17
.LBB24_43:
	v_add_nc_u32_e32 v12, s12, v5
	v_mov_b32_e32 v13, 0
	v_lshlrev_b64 v[12:13], 1, v[12:13]
	v_add_co_u32 v12, vcc_lo, s10, v12
	v_add_co_ci_u32_e64 v13, null, s11, v13, vcc_lo
	global_load_ushort v2, v[12:13], off
	s_waitcnt vmcnt(0)
	v_lshlrev_b32_e32 v2, 16, v2
	s_or_b32 exec_lo, exec_lo, s1
                                        ; implicit-def: $vgpr5
	s_and_saveexec_b32 s1, s0
	s_cbranch_execz .LBB24_19
	s_branch .LBB24_18
.LBB24_44:
	s_or_b32 exec_lo, exec_lo, s1
	s_and_saveexec_b32 s1, s0
	s_xor_b32 s0, exec_lo, s1
	s_cbranch_execz .LBB24_33
.LBB24_45:
	v_mov_b32_e32 v2, 0
	v_lshlrev_b64 v[0:1], 1, v[1:2]
	v_add_co_u32 v12, vcc_lo, s8, v0
	v_add_co_ci_u32_e64 v13, null, s9, v1, vcc_lo
	v_mov_b32_e32 v0, v3
	global_store_short v[12:13], v5, off
	s_or_b32 exec_lo, exec_lo, s0
	s_mov_b32 s0, exec_lo
	v_cmpx_gt_i32_e64 s7, v0
	s_cbranch_execnz .LBB24_34
.LBB24_46:
	s_or_b32 exec_lo, exec_lo, s0
	s_mov_b32 s0, exec_lo
	v_cmpx_gt_i32_e64 s7, v0
	s_cbranch_execz .LBB24_35
.LBB24_47:
	v_add_nc_u32_e32 v1, s12, v0
	v_mov_b32_e32 v2, 0
	v_add_nc_u32_e32 v0, 0x100, v0
	v_lshlrev_b64 v[1:2], 1, v[1:2]
	v_add_co_u32 v1, vcc_lo, s8, v1
	v_add_co_ci_u32_e64 v2, null, s9, v2, vcc_lo
	global_store_short v[1:2], v10, off
	s_or_b32 exec_lo, exec_lo, s0
	s_mov_b32 s0, exec_lo
	v_cmpx_gt_i32_e64 s7, v0
	s_cbranch_execnz .LBB24_36
.LBB24_48:
	s_or_b32 exec_lo, exec_lo, s0
	s_mov_b32 s0, exec_lo
	v_cmpx_gt_i32_e64 s7, v0
	s_cbranch_execz .LBB24_37
.LBB24_49:
	v_add_nc_u32_e32 v1, s12, v0
	v_mov_b32_e32 v2, 0
	v_add_nc_u32_e32 v0, 0x100, v0
	v_lshlrev_b64 v[1:2], 1, v[1:2]
	v_add_co_u32 v1, vcc_lo, s8, v1
	v_add_co_ci_u32_e64 v2, null, s9, v2, vcc_lo
	global_store_short v[1:2], v7, off
	s_or_b32 exec_lo, exec_lo, s0
	s_mov_b32 s0, exec_lo
	v_cmpx_gt_i32_e64 s7, v0
	s_cbranch_execnz .LBB24_38
.LBB24_50:
	s_or_b32 exec_lo, exec_lo, s0
	s_mov_b32 s0, exec_lo
	v_cmpx_gt_i32_e64 s7, v0
	s_cbranch_execz .LBB24_39
.LBB24_51:
	v_add_nc_u32_e32 v1, s12, v0
	v_mov_b32_e32 v2, 0
	v_add_nc_u32_e32 v0, 0x100, v0
	v_lshlrev_b64 v[1:2], 1, v[1:2]
	v_add_co_u32 v1, vcc_lo, s8, v1
	v_add_co_ci_u32_e64 v2, null, s9, v2, vcc_lo
	global_store_short v[1:2], v4, off
	s_or_b32 exec_lo, exec_lo, s0
	s_mov_b32 s0, exec_lo
	v_cmpx_gt_i32_e64 s7, v0
	s_cbranch_execnz .LBB24_40
	s_branch .LBB24_41
	.section	.rodata,"a",@progbits
	.p2align	6, 0x0
	.amdhsa_kernel _ZN2at6native29vectorized_elementwise_kernelILi16EZZZNS0_16atan_kernel_cudaERNS_18TensorIteratorBaseEENKUlvE0_clEvENKUlvE2_clEvEUlN3c108BFloat16EE_St5arrayIPcLm2EEEEviT0_T1_
		.amdhsa_group_segment_fixed_size 0
		.amdhsa_private_segment_fixed_size 0
		.amdhsa_kernarg_size 24
		.amdhsa_user_sgpr_count 6
		.amdhsa_user_sgpr_private_segment_buffer 1
		.amdhsa_user_sgpr_dispatch_ptr 0
		.amdhsa_user_sgpr_queue_ptr 0
		.amdhsa_user_sgpr_kernarg_segment_ptr 1
		.amdhsa_user_sgpr_dispatch_id 0
		.amdhsa_user_sgpr_flat_scratch_init 0
		.amdhsa_user_sgpr_private_segment_size 0
		.amdhsa_wavefront_size32 1
		.amdhsa_uses_dynamic_stack 0
		.amdhsa_system_sgpr_private_segment_wavefront_offset 0
		.amdhsa_system_sgpr_workgroup_id_x 1
		.amdhsa_system_sgpr_workgroup_id_y 0
		.amdhsa_system_sgpr_workgroup_id_z 0
		.amdhsa_system_sgpr_workgroup_info 0
		.amdhsa_system_vgpr_workitem_id 0
		.amdhsa_next_free_vgpr 36
		.amdhsa_next_free_sgpr 16
		.amdhsa_reserve_vcc 1
		.amdhsa_reserve_flat_scratch 0
		.amdhsa_float_round_mode_32 0
		.amdhsa_float_round_mode_16_64 0
		.amdhsa_float_denorm_mode_32 3
		.amdhsa_float_denorm_mode_16_64 3
		.amdhsa_dx10_clamp 1
		.amdhsa_ieee_mode 1
		.amdhsa_fp16_overflow 0
		.amdhsa_workgroup_processor_mode 1
		.amdhsa_memory_ordered 1
		.amdhsa_forward_progress 1
		.amdhsa_shared_vgpr_count 0
		.amdhsa_exception_fp_ieee_invalid_op 0
		.amdhsa_exception_fp_denorm_src 0
		.amdhsa_exception_fp_ieee_div_zero 0
		.amdhsa_exception_fp_ieee_overflow 0
		.amdhsa_exception_fp_ieee_underflow 0
		.amdhsa_exception_fp_ieee_inexact 0
		.amdhsa_exception_int_div_zero 0
	.end_amdhsa_kernel
	.section	.text._ZN2at6native29vectorized_elementwise_kernelILi16EZZZNS0_16atan_kernel_cudaERNS_18TensorIteratorBaseEENKUlvE0_clEvENKUlvE2_clEvEUlN3c108BFloat16EE_St5arrayIPcLm2EEEEviT0_T1_,"axG",@progbits,_ZN2at6native29vectorized_elementwise_kernelILi16EZZZNS0_16atan_kernel_cudaERNS_18TensorIteratorBaseEENKUlvE0_clEvENKUlvE2_clEvEUlN3c108BFloat16EE_St5arrayIPcLm2EEEEviT0_T1_,comdat
.Lfunc_end24:
	.size	_ZN2at6native29vectorized_elementwise_kernelILi16EZZZNS0_16atan_kernel_cudaERNS_18TensorIteratorBaseEENKUlvE0_clEvENKUlvE2_clEvEUlN3c108BFloat16EE_St5arrayIPcLm2EEEEviT0_T1_, .Lfunc_end24-_ZN2at6native29vectorized_elementwise_kernelILi16EZZZNS0_16atan_kernel_cudaERNS_18TensorIteratorBaseEENKUlvE0_clEvENKUlvE2_clEvEUlN3c108BFloat16EE_St5arrayIPcLm2EEEEviT0_T1_
                                        ; -- End function
	.set _ZN2at6native29vectorized_elementwise_kernelILi16EZZZNS0_16atan_kernel_cudaERNS_18TensorIteratorBaseEENKUlvE0_clEvENKUlvE2_clEvEUlN3c108BFloat16EE_St5arrayIPcLm2EEEEviT0_T1_.num_vgpr, 36
	.set _ZN2at6native29vectorized_elementwise_kernelILi16EZZZNS0_16atan_kernel_cudaERNS_18TensorIteratorBaseEENKUlvE0_clEvENKUlvE2_clEvEUlN3c108BFloat16EE_St5arrayIPcLm2EEEEviT0_T1_.num_agpr, 0
	.set _ZN2at6native29vectorized_elementwise_kernelILi16EZZZNS0_16atan_kernel_cudaERNS_18TensorIteratorBaseEENKUlvE0_clEvENKUlvE2_clEvEUlN3c108BFloat16EE_St5arrayIPcLm2EEEEviT0_T1_.numbered_sgpr, 16
	.set _ZN2at6native29vectorized_elementwise_kernelILi16EZZZNS0_16atan_kernel_cudaERNS_18TensorIteratorBaseEENKUlvE0_clEvENKUlvE2_clEvEUlN3c108BFloat16EE_St5arrayIPcLm2EEEEviT0_T1_.num_named_barrier, 0
	.set _ZN2at6native29vectorized_elementwise_kernelILi16EZZZNS0_16atan_kernel_cudaERNS_18TensorIteratorBaseEENKUlvE0_clEvENKUlvE2_clEvEUlN3c108BFloat16EE_St5arrayIPcLm2EEEEviT0_T1_.private_seg_size, 0
	.set _ZN2at6native29vectorized_elementwise_kernelILi16EZZZNS0_16atan_kernel_cudaERNS_18TensorIteratorBaseEENKUlvE0_clEvENKUlvE2_clEvEUlN3c108BFloat16EE_St5arrayIPcLm2EEEEviT0_T1_.uses_vcc, 1
	.set _ZN2at6native29vectorized_elementwise_kernelILi16EZZZNS0_16atan_kernel_cudaERNS_18TensorIteratorBaseEENKUlvE0_clEvENKUlvE2_clEvEUlN3c108BFloat16EE_St5arrayIPcLm2EEEEviT0_T1_.uses_flat_scratch, 0
	.set _ZN2at6native29vectorized_elementwise_kernelILi16EZZZNS0_16atan_kernel_cudaERNS_18TensorIteratorBaseEENKUlvE0_clEvENKUlvE2_clEvEUlN3c108BFloat16EE_St5arrayIPcLm2EEEEviT0_T1_.has_dyn_sized_stack, 0
	.set _ZN2at6native29vectorized_elementwise_kernelILi16EZZZNS0_16atan_kernel_cudaERNS_18TensorIteratorBaseEENKUlvE0_clEvENKUlvE2_clEvEUlN3c108BFloat16EE_St5arrayIPcLm2EEEEviT0_T1_.has_recursion, 0
	.set _ZN2at6native29vectorized_elementwise_kernelILi16EZZZNS0_16atan_kernel_cudaERNS_18TensorIteratorBaseEENKUlvE0_clEvENKUlvE2_clEvEUlN3c108BFloat16EE_St5arrayIPcLm2EEEEviT0_T1_.has_indirect_call, 0
	.section	.AMDGPU.csdata,"",@progbits
; Kernel info:
; codeLenInByte = 4316
; TotalNumSgprs: 18
; NumVgprs: 36
; ScratchSize: 0
; MemoryBound: 0
; FloatMode: 240
; IeeeMode: 1
; LDSByteSize: 0 bytes/workgroup (compile time only)
; SGPRBlocks: 0
; VGPRBlocks: 4
; NumSGPRsForWavesPerEU: 18
; NumVGPRsForWavesPerEU: 36
; Occupancy: 16
; WaveLimiterHint : 0
; COMPUTE_PGM_RSRC2:SCRATCH_EN: 0
; COMPUTE_PGM_RSRC2:USER_SGPR: 6
; COMPUTE_PGM_RSRC2:TRAP_HANDLER: 0
; COMPUTE_PGM_RSRC2:TGID_X_EN: 1
; COMPUTE_PGM_RSRC2:TGID_Y_EN: 0
; COMPUTE_PGM_RSRC2:TGID_Z_EN: 0
; COMPUTE_PGM_RSRC2:TIDIG_COMP_CNT: 0
	.section	.text._ZN2at6native29vectorized_elementwise_kernelILi8EZZZNS0_16atan_kernel_cudaERNS_18TensorIteratorBaseEENKUlvE0_clEvENKUlvE2_clEvEUlN3c108BFloat16EE_St5arrayIPcLm2EEEEviT0_T1_,"axG",@progbits,_ZN2at6native29vectorized_elementwise_kernelILi8EZZZNS0_16atan_kernel_cudaERNS_18TensorIteratorBaseEENKUlvE0_clEvENKUlvE2_clEvEUlN3c108BFloat16EE_St5arrayIPcLm2EEEEviT0_T1_,comdat
	.globl	_ZN2at6native29vectorized_elementwise_kernelILi8EZZZNS0_16atan_kernel_cudaERNS_18TensorIteratorBaseEENKUlvE0_clEvENKUlvE2_clEvEUlN3c108BFloat16EE_St5arrayIPcLm2EEEEviT0_T1_ ; -- Begin function _ZN2at6native29vectorized_elementwise_kernelILi8EZZZNS0_16atan_kernel_cudaERNS_18TensorIteratorBaseEENKUlvE0_clEvENKUlvE2_clEvEUlN3c108BFloat16EE_St5arrayIPcLm2EEEEviT0_T1_
	.p2align	8
	.type	_ZN2at6native29vectorized_elementwise_kernelILi8EZZZNS0_16atan_kernel_cudaERNS_18TensorIteratorBaseEENKUlvE0_clEvENKUlvE2_clEvEUlN3c108BFloat16EE_St5arrayIPcLm2EEEEviT0_T1_,@function
_ZN2at6native29vectorized_elementwise_kernelILi8EZZZNS0_16atan_kernel_cudaERNS_18TensorIteratorBaseEENKUlvE0_clEvENKUlvE2_clEvEUlN3c108BFloat16EE_St5arrayIPcLm2EEEEviT0_T1_: ; @_ZN2at6native29vectorized_elementwise_kernelILi8EZZZNS0_16atan_kernel_cudaERNS_18TensorIteratorBaseEENKUlvE0_clEvENKUlvE2_clEvEUlN3c108BFloat16EE_St5arrayIPcLm2EEEEviT0_T1_
; %bb.0:
	s_clause 0x1
	s_load_dword s0, s[4:5], 0x0
	s_load_dwordx4 s[8:11], s[4:5], 0x8
	s_lshl_b32 s12, s6, 11
	s_waitcnt lgkmcnt(0)
	s_sub_i32 s7, s0, s12
	s_mov_b32 s0, -1
	s_cmpk_gt_i32 s7, 0x7ff
	s_cbranch_scc0 .LBB25_2
; %bb.1:
	s_ashr_i32 s13, s12, 31
	v_lshlrev_b32_e32 v5, 4, v0
	s_lshl_b64 s[14:15], s[12:13], 1
	s_mov_b32 s13, 0x3b2d2a58
	s_add_u32 s0, s10, s14
	s_addc_u32 s1, s11, s15
	v_mov_b32_e32 v6, 1
	global_load_dwordx4 v[1:4], v5, s[0:1]
	v_mov_b32_e32 v7, 0x7fc0
	s_waitcnt vmcnt(0)
	v_and_b32_e32 v8, 0xffff0000, v1
	v_lshlrev_b32_e32 v1, 16, v1
	v_and_b32_e32 v9, 0xffff0000, v2
	v_lshlrev_b32_e32 v2, 16, v2
	;; [unrolled: 2-line block ×4, first 2 shown]
	v_rcp_f32_e64 v12, |v1|
	v_rcp_f32_e64 v13, |v8|
	;; [unrolled: 1-line block ×8, first 2 shown]
	v_cmp_gt_f32_e64 vcc_lo, |v1|, 1.0
	v_cmp_gt_f32_e64 s0, |v8|, 1.0
	v_cmp_gt_f32_e64 s1, |v2|, 1.0
	;; [unrolled: 1-line block ×7, first 2 shown]
	v_cndmask_b32_e64 v12, |v1|, v12, vcc_lo
	v_cndmask_b32_e64 v13, |v8|, v13, s0
	v_cndmask_b32_e64 v14, |v2|, v14, s1
	;; [unrolled: 1-line block ×7, first 2 shown]
	v_mul_f32_e32 v20, v13, v13
	v_mul_f32_e32 v21, v12, v12
	;; [unrolled: 1-line block ×8, first 2 shown]
	v_fmaak_f32 v28, s13, v21, 0xbc7a590c
	v_fmaak_f32 v29, s13, v20, 0xbc7a590c
	;; [unrolled: 1-line block ×56, first 2 shown]
	v_mul_f32_e32 v21, v21, v28
	v_mul_f32_e32 v20, v20, v29
	;; [unrolled: 1-line block ×8, first 2 shown]
	v_fmac_f32_e32 v13, v13, v20
	v_fmac_f32_e32 v12, v12, v21
	;; [unrolled: 1-line block ×8, first 2 shown]
	v_sub_f32_e32 v20, 0x3fc90fdb, v12
	v_sub_f32_e32 v21, 0x3fc90fdb, v13
	;; [unrolled: 1-line block ×8, first 2 shown]
	v_cndmask_b32_e64 v13, v13, v21, s0
	v_cndmask_b32_e32 v12, v12, v20, vcc_lo
	v_cndmask_b32_e64 v15, v15, v23, s2
	v_cndmask_b32_e64 v14, v14, v22, s1
	;; [unrolled: 1-line block ×6, first 2 shown]
	v_bfi_b32 v1, 0x7fffffff, v12, v1
	v_bfi_b32 v8, 0x7fffffff, v13, v8
	;; [unrolled: 1-line block ×8, first 2 shown]
	v_and_b32_sdwa v12, v8, v6 dst_sel:DWORD dst_unused:UNUSED_PAD src0_sel:WORD_1 src1_sel:DWORD
	v_and_b32_sdwa v13, v1, v6 dst_sel:DWORD dst_unused:UNUSED_PAD src0_sel:WORD_1 src1_sel:DWORD
	;; [unrolled: 1-line block ×8, first 2 shown]
	v_cmp_o_f32_e32 vcc_lo, v4, v4
	v_cmp_o_f32_e64 s0, v11, v11
	v_add3_u32 v13, v1, v13, 0x7fff
	v_add3_u32 v11, v11, v18, 0x7fff
	;; [unrolled: 1-line block ×5, first 2 shown]
	v_lshrrev_b32_e32 v6, 16, v13
	v_add3_u32 v17, v3, v17, 0x7fff
	v_cndmask_b32_sdwa v4, v7, v4, vcc_lo dst_sel:DWORD dst_unused:UNUSED_PAD src0_sel:DWORD src1_sel:WORD_1
	s_mov_b32 vcc_lo, s0
	v_lshrrev_b32_e32 v13, 16, v15
	v_cndmask_b32_sdwa v7, v7, v11, vcc_lo dst_sel:DWORD dst_unused:UNUSED_PAD src0_sel:DWORD src1_sel:WORD_1
	v_cmp_o_f32_e32 vcc_lo, v1, v1
	v_lshrrev_b32_e32 v14, 16, v14
	v_add3_u32 v16, v10, v16, 0x7fff
	v_lshrrev_b32_e32 v15, 16, v17
	v_add3_u32 v12, v8, v12, 0x7fff
	v_cndmask_b32_e32 v1, 0x7fc0, v6, vcc_lo
	v_cmp_o_f32_e32 vcc_lo, v2, v2
	v_lshrrev_b32_e32 v16, 16, v16
	v_perm_b32 v4, v7, v4, 0x5040100
	v_lshrrev_b32_e32 v12, 16, v12
	s_add_u32 s2, s8, s14
	v_cndmask_b32_e32 v2, 0x7fc0, v13, vcc_lo
	v_cmp_o_f32_e32 vcc_lo, v9, v9
	s_addc_u32 s3, s9, s15
	s_mov_b32 s0, 0
	v_cndmask_b32_e32 v6, 0x7fc0, v14, vcc_lo
	v_cmp_o_f32_e32 vcc_lo, v3, v3
	v_perm_b32 v2, v6, v2, 0x5040100
	v_cndmask_b32_e32 v3, 0x7fc0, v15, vcc_lo
	v_cmp_o_f32_e32 vcc_lo, v10, v10
	v_cndmask_b32_e32 v9, 0x7fc0, v16, vcc_lo
	v_cmp_o_f32_e32 vcc_lo, v8, v8
	v_perm_b32 v3, v9, v3, 0x5040100
	v_cndmask_b32_e32 v8, 0x7fc0, v12, vcc_lo
	v_perm_b32 v1, v8, v1, 0x5040100
	global_store_dwordx4 v5, v[1:4], s[2:3]
.LBB25_2:
	s_andn2_b32 vcc_lo, exec_lo, s0
	s_cbranch_vccnz .LBB25_41
; %bb.3:
	v_cmp_gt_i32_e64 s0, s7, v0
	v_mov_b32_e32 v10, 0
	v_or_b32_e32 v1, s12, v0
	v_or_b32_e32 v3, 0x100, v0
	v_mov_b32_e32 v8, 0
	v_mov_b32_e32 v5, v0
	s_and_saveexec_b32 s1, s0
	s_cbranch_execz .LBB25_5
; %bb.4:
	v_mov_b32_e32 v2, 0
	v_lshlrev_b64 v[4:5], 1, v[1:2]
	v_add_co_u32 v4, vcc_lo, s10, v4
	v_add_co_ci_u32_e64 v5, null, s11, v5, vcc_lo
	global_load_ushort v2, v[4:5], off
	v_or_b32_e32 v5, 0x100, v0
	s_waitcnt vmcnt(0)
	v_lshlrev_b32_e32 v8, 16, v2
.LBB25_5:
	s_or_b32 exec_lo, exec_lo, s1
	s_mov_b32 s1, exec_lo
	v_cmpx_gt_i32_e64 s7, v5
	s_cbranch_execz .LBB25_7
; %bb.6:
	v_add_nc_u32_e32 v6, s12, v5
	v_mov_b32_e32 v7, 0
	v_add_nc_u32_e32 v5, 0x100, v5
	v_lshlrev_b64 v[6:7], 1, v[6:7]
	v_add_co_u32 v6, vcc_lo, s10, v6
	v_add_co_ci_u32_e64 v7, null, s11, v7, vcc_lo
	global_load_ushort v2, v[6:7], off
	s_waitcnt vmcnt(0)
	v_lshlrev_b32_e32 v10, 16, v2
.LBB25_7:
	s_or_b32 exec_lo, exec_lo, s1
	v_mov_b32_e32 v7, 0
	v_mov_b32_e32 v11, 0
	s_mov_b32 s1, exec_lo
	v_cmpx_gt_i32_e64 s7, v5
	s_cbranch_execz .LBB25_9
; %bb.8:
	v_add_nc_u32_e32 v11, s12, v5
	v_mov_b32_e32 v12, 0
	v_add_nc_u32_e32 v5, 0x100, v5
	v_lshlrev_b64 v[11:12], 1, v[11:12]
	v_add_co_u32 v11, vcc_lo, s10, v11
	v_add_co_ci_u32_e64 v12, null, s11, v12, vcc_lo
	global_load_ushort v2, v[11:12], off
	s_waitcnt vmcnt(0)
	v_lshlrev_b32_e32 v11, 16, v2
.LBB25_9:
	s_or_b32 exec_lo, exec_lo, s1
	s_mov_b32 s1, exec_lo
	v_cmpx_gt_i32_e64 s7, v5
	s_cbranch_execz .LBB25_11
; %bb.10:
	v_add_nc_u32_e32 v6, s12, v5
	v_mov_b32_e32 v7, 0
	v_add_nc_u32_e32 v5, 0x100, v5
	v_lshlrev_b64 v[6:7], 1, v[6:7]
	v_add_co_u32 v6, vcc_lo, s10, v6
	v_add_co_ci_u32_e64 v7, null, s11, v7, vcc_lo
	global_load_ushort v2, v[6:7], off
	s_waitcnt vmcnt(0)
	v_lshlrev_b32_e32 v7, 16, v2
.LBB25_11:
	s_or_b32 exec_lo, exec_lo, s1
	v_mov_b32_e32 v4, 0
	v_mov_b32_e32 v9, 0
	s_mov_b32 s1, exec_lo
	v_cmpx_gt_i32_e64 s7, v5
	s_cbranch_execz .LBB25_13
; %bb.12:
	v_add_nc_u32_e32 v12, s12, v5
	v_mov_b32_e32 v13, 0
	v_add_nc_u32_e32 v5, 0x100, v5
	v_lshlrev_b64 v[12:13], 1, v[12:13]
	v_add_co_u32 v12, vcc_lo, s10, v12
	v_add_co_ci_u32_e64 v13, null, s11, v13, vcc_lo
	global_load_ushort v2, v[12:13], off
	s_waitcnt vmcnt(0)
	v_lshlrev_b32_e32 v9, 16, v2
.LBB25_13:
	s_or_b32 exec_lo, exec_lo, s1
	s_mov_b32 s1, exec_lo
	v_cmpx_gt_i32_e64 s7, v5
	s_cbranch_execz .LBB25_15
; %bb.14:
	v_add_nc_u32_e32 v12, s12, v5
	v_mov_b32_e32 v13, 0
	v_add_nc_u32_e32 v5, 0x100, v5
	v_lshlrev_b64 v[12:13], 1, v[12:13]
	v_add_co_u32 v12, vcc_lo, s10, v12
	v_add_co_ci_u32_e64 v13, null, s11, v13, vcc_lo
	global_load_ushort v2, v[12:13], off
	s_waitcnt vmcnt(0)
	v_lshlrev_b32_e32 v4, 16, v2
.LBB25_15:
	s_or_b32 exec_lo, exec_lo, s1
	v_mov_b32_e32 v2, 0
	v_mov_b32_e32 v6, 0
	s_mov_b32 s1, exec_lo
	v_cmpx_gt_i32_e64 s7, v5
	s_cbranch_execz .LBB25_42
; %bb.16:
	v_add_nc_u32_e32 v12, s12, v5
	v_mov_b32_e32 v13, 0
	v_add_nc_u32_e32 v5, 0x100, v5
	v_lshlrev_b64 v[12:13], 1, v[12:13]
	v_add_co_u32 v12, vcc_lo, s10, v12
	v_add_co_ci_u32_e64 v13, null, s11, v13, vcc_lo
	global_load_ushort v6, v[12:13], off
	s_waitcnt vmcnt(0)
	v_lshlrev_b32_e32 v6, 16, v6
	s_or_b32 exec_lo, exec_lo, s1
	s_mov_b32 s1, exec_lo
	v_cmpx_gt_i32_e64 s7, v5
	s_cbranch_execnz .LBB25_43
.LBB25_17:
	s_or_b32 exec_lo, exec_lo, s1
                                        ; implicit-def: $vgpr5
	s_and_saveexec_b32 s1, s0
	s_cbranch_execz .LBB25_19
.LBB25_18:
	v_rcp_f32_e64 v5, |v8|
	v_cmp_gt_f32_e64 vcc_lo, |v8|, 1.0
	s_mov_b32 s2, 0x3b2d2a58
	v_cndmask_b32_e64 v5, |v8|, v5, vcc_lo
	v_mul_f32_e32 v12, v5, v5
	v_fmaak_f32 v13, s2, v12, 0xbc7a590c
	v_fmaak_f32 v13, v12, v13, 0x3d29fb3f
	;; [unrolled: 1-line block ×7, first 2 shown]
	v_mul_f32_e32 v12, v12, v13
	v_fmac_f32_e32 v5, v5, v12
	v_sub_f32_e32 v12, 0x3fc90fdb, v5
	v_cndmask_b32_e32 v5, v5, v12, vcc_lo
	v_bfi_b32 v5, 0x7fffffff, v5, v8
	v_bfe_u32 v8, v5, 16, 1
	v_cmp_o_f32_e32 vcc_lo, v5, v5
	v_add3_u32 v5, v5, v8, 0x7fff
	v_mov_b32_e32 v8, 0x7fc0
	v_cndmask_b32_sdwa v5, v8, v5, vcc_lo dst_sel:DWORD dst_unused:UNUSED_PAD src0_sel:DWORD src1_sel:WORD_1
.LBB25_19:
	s_or_b32 exec_lo, exec_lo, s1
	s_mov_b32 s1, exec_lo
                                        ; implicit-def: $vgpr8
	v_cmpx_gt_i32_e64 s7, v3
	s_cbranch_execz .LBB25_21
; %bb.20:
	v_rcp_f32_e64 v8, |v10|
	v_cmp_gt_f32_e64 vcc_lo, |v10|, 1.0
	s_mov_b32 s2, 0x3b2d2a58
	v_cndmask_b32_e64 v8, |v10|, v8, vcc_lo
	v_mul_f32_e32 v12, v8, v8
	v_fmaak_f32 v13, s2, v12, 0xbc7a590c
	v_fmaak_f32 v13, v12, v13, 0x3d29fb3f
	;; [unrolled: 1-line block ×7, first 2 shown]
	v_mul_f32_e32 v12, v12, v13
	v_fmac_f32_e32 v8, v8, v12
	v_sub_f32_e32 v12, 0x3fc90fdb, v8
	v_cndmask_b32_e32 v8, v8, v12, vcc_lo
	v_bfi_b32 v8, 0x7fffffff, v8, v10
	v_bfe_u32 v10, v8, 16, 1
	v_cmp_o_f32_e32 vcc_lo, v8, v8
	v_add3_u32 v8, v8, v10, 0x7fff
	v_mov_b32_e32 v10, 0x7fc0
	v_cndmask_b32_sdwa v8, v10, v8, vcc_lo dst_sel:DWORD dst_unused:UNUSED_PAD src0_sel:DWORD src1_sel:WORD_1
.LBB25_21:
	s_or_b32 exec_lo, exec_lo, s1
	v_or_b32_e32 v10, 0x200, v0
	v_cmp_gt_i32_e32 vcc_lo, s7, v10
                                        ; implicit-def: $vgpr10
	s_and_saveexec_b32 s1, vcc_lo
	s_cbranch_execz .LBB25_23
; %bb.22:
	v_rcp_f32_e64 v10, |v11|
	v_cmp_gt_f32_e64 vcc_lo, |v11|, 1.0
	s_mov_b32 s2, 0x3b2d2a58
	v_cndmask_b32_e64 v10, |v11|, v10, vcc_lo
	v_mul_f32_e32 v12, v10, v10
	v_fmaak_f32 v13, s2, v12, 0xbc7a590c
	v_fmaak_f32 v13, v12, v13, 0x3d29fb3f
	;; [unrolled: 1-line block ×7, first 2 shown]
	v_mul_f32_e32 v12, v12, v13
	v_fmac_f32_e32 v10, v10, v12
	v_sub_f32_e32 v12, 0x3fc90fdb, v10
	v_cndmask_b32_e32 v10, v10, v12, vcc_lo
	v_bfi_b32 v10, 0x7fffffff, v10, v11
	v_bfe_u32 v11, v10, 16, 1
	v_cmp_o_f32_e32 vcc_lo, v10, v10
	v_add3_u32 v10, v10, v11, 0x7fff
	v_mov_b32_e32 v11, 0x7fc0
	v_cndmask_b32_sdwa v10, v11, v10, vcc_lo dst_sel:DWORD dst_unused:UNUSED_PAD src0_sel:DWORD src1_sel:WORD_1
.LBB25_23:
	s_or_b32 exec_lo, exec_lo, s1
	v_or_b32_e32 v11, 0x300, v0
	v_cmp_gt_i32_e32 vcc_lo, s7, v11
                                        ; implicit-def: $vgpr11
	s_and_saveexec_b32 s1, vcc_lo
	s_cbranch_execz .LBB25_25
; %bb.24:
	v_rcp_f32_e64 v11, |v7|
	v_cmp_gt_f32_e64 vcc_lo, |v7|, 1.0
	s_mov_b32 s2, 0x3b2d2a58
	v_cndmask_b32_e64 v11, |v7|, v11, vcc_lo
	v_mul_f32_e32 v12, v11, v11
	v_fmaak_f32 v13, s2, v12, 0xbc7a590c
	v_fmaak_f32 v13, v12, v13, 0x3d29fb3f
	;; [unrolled: 1-line block ×7, first 2 shown]
	v_mul_f32_e32 v12, v12, v13
	v_fmac_f32_e32 v11, v11, v12
	v_sub_f32_e32 v12, 0x3fc90fdb, v11
	v_cndmask_b32_e32 v11, v11, v12, vcc_lo
	v_bfi_b32 v7, 0x7fffffff, v11, v7
	v_bfe_u32 v11, v7, 16, 1
	v_cmp_o_f32_e32 vcc_lo, v7, v7
	v_add3_u32 v7, v7, v11, 0x7fff
	v_mov_b32_e32 v11, 0x7fc0
	v_cndmask_b32_sdwa v11, v11, v7, vcc_lo dst_sel:DWORD dst_unused:UNUSED_PAD src0_sel:DWORD src1_sel:WORD_1
.LBB25_25:
	s_or_b32 exec_lo, exec_lo, s1
	v_or_b32_e32 v7, 0x400, v0
	v_cmp_gt_i32_e32 vcc_lo, s7, v7
                                        ; implicit-def: $vgpr7
	s_and_saveexec_b32 s1, vcc_lo
	s_cbranch_execz .LBB25_27
; %bb.26:
	v_rcp_f32_e64 v7, |v9|
	v_cmp_gt_f32_e64 vcc_lo, |v9|, 1.0
	s_mov_b32 s2, 0x3b2d2a58
	v_cndmask_b32_e64 v7, |v9|, v7, vcc_lo
	v_mul_f32_e32 v12, v7, v7
	v_fmaak_f32 v13, s2, v12, 0xbc7a590c
	v_fmaak_f32 v13, v12, v13, 0x3d29fb3f
	;; [unrolled: 1-line block ×7, first 2 shown]
	v_mul_f32_e32 v12, v12, v13
	v_fmac_f32_e32 v7, v7, v12
	v_sub_f32_e32 v12, 0x3fc90fdb, v7
	v_cndmask_b32_e32 v7, v7, v12, vcc_lo
	v_bfi_b32 v7, 0x7fffffff, v7, v9
	v_bfe_u32 v9, v7, 16, 1
	v_cmp_o_f32_e32 vcc_lo, v7, v7
	v_add3_u32 v7, v7, v9, 0x7fff
	v_mov_b32_e32 v9, 0x7fc0
	v_cndmask_b32_sdwa v7, v9, v7, vcc_lo dst_sel:DWORD dst_unused:UNUSED_PAD src0_sel:DWORD src1_sel:WORD_1
.LBB25_27:
	s_or_b32 exec_lo, exec_lo, s1
	v_or_b32_e32 v9, 0x500, v0
	v_cmp_gt_i32_e32 vcc_lo, s7, v9
                                        ; implicit-def: $vgpr9
	s_and_saveexec_b32 s1, vcc_lo
	s_cbranch_execz .LBB25_29
; %bb.28:
	v_rcp_f32_e64 v9, |v4|
	v_cmp_gt_f32_e64 vcc_lo, |v4|, 1.0
	s_mov_b32 s2, 0x3b2d2a58
	v_cndmask_b32_e64 v9, |v4|, v9, vcc_lo
	v_mul_f32_e32 v12, v9, v9
	v_fmaak_f32 v13, s2, v12, 0xbc7a590c
	v_fmaak_f32 v13, v12, v13, 0x3d29fb3f
	;; [unrolled: 1-line block ×7, first 2 shown]
	v_mul_f32_e32 v12, v12, v13
	v_fmac_f32_e32 v9, v9, v12
	v_sub_f32_e32 v12, 0x3fc90fdb, v9
	v_cndmask_b32_e32 v9, v9, v12, vcc_lo
	v_bfi_b32 v4, 0x7fffffff, v9, v4
	v_bfe_u32 v9, v4, 16, 1
	v_cmp_o_f32_e32 vcc_lo, v4, v4
	v_add3_u32 v4, v4, v9, 0x7fff
	v_mov_b32_e32 v9, 0x7fc0
	v_cndmask_b32_sdwa v9, v9, v4, vcc_lo dst_sel:DWORD dst_unused:UNUSED_PAD src0_sel:DWORD src1_sel:WORD_1
.LBB25_29:
	s_or_b32 exec_lo, exec_lo, s1
	v_or_b32_e32 v4, 0x600, v0
	v_cmp_gt_i32_e32 vcc_lo, s7, v4
                                        ; implicit-def: $vgpr4
	s_and_saveexec_b32 s1, vcc_lo
	s_cbranch_execz .LBB25_31
; %bb.30:
	v_rcp_f32_e64 v4, |v6|
	v_cmp_gt_f32_e64 vcc_lo, |v6|, 1.0
	s_mov_b32 s2, 0x3b2d2a58
	v_cndmask_b32_e64 v4, |v6|, v4, vcc_lo
	v_mul_f32_e32 v12, v4, v4
	v_fmaak_f32 v13, s2, v12, 0xbc7a590c
	v_fmaak_f32 v13, v12, v13, 0x3d29fb3f
	v_fmaak_f32 v13, v12, v13, 0xbd97d4d7
	v_fmaak_f32 v13, v12, v13, 0x3dd931b2
	v_fmaak_f32 v13, v12, v13, 0xbe1160e6
	v_fmaak_f32 v13, v12, v13, 0x3e4cb8bf
	v_fmaak_f32 v13, v12, v13, 0xbeaaaa62
	v_mul_f32_e32 v12, v12, v13
	v_fmac_f32_e32 v4, v4, v12
	v_sub_f32_e32 v12, 0x3fc90fdb, v4
	v_cndmask_b32_e32 v4, v4, v12, vcc_lo
	v_bfi_b32 v4, 0x7fffffff, v4, v6
	v_bfe_u32 v6, v4, 16, 1
	v_cmp_o_f32_e32 vcc_lo, v4, v4
	v_add3_u32 v4, v4, v6, 0x7fff
	v_mov_b32_e32 v6, 0x7fc0
	v_cndmask_b32_sdwa v4, v6, v4, vcc_lo dst_sel:DWORD dst_unused:UNUSED_PAD src0_sel:DWORD src1_sel:WORD_1
.LBB25_31:
	s_or_b32 exec_lo, exec_lo, s1
	v_or_b32_e32 v6, 0x700, v0
	v_cmp_gt_i32_e32 vcc_lo, s7, v6
                                        ; implicit-def: $vgpr6
	s_and_saveexec_b32 s1, vcc_lo
	s_cbranch_execz .LBB25_44
; %bb.32:
	v_rcp_f32_e64 v6, |v2|
	v_cmp_gt_f32_e64 vcc_lo, |v2|, 1.0
	s_mov_b32 s2, 0x3b2d2a58
	v_cndmask_b32_e64 v6, |v2|, v6, vcc_lo
	v_mul_f32_e32 v12, v6, v6
	v_fmaak_f32 v13, s2, v12, 0xbc7a590c
	v_fmaak_f32 v13, v12, v13, 0x3d29fb3f
	;; [unrolled: 1-line block ×7, first 2 shown]
	v_mul_f32_e32 v12, v12, v13
	v_fmac_f32_e32 v6, v6, v12
	v_sub_f32_e32 v12, 0x3fc90fdb, v6
	v_cndmask_b32_e32 v6, v6, v12, vcc_lo
	v_bfi_b32 v2, 0x7fffffff, v6, v2
	v_bfe_u32 v6, v2, 16, 1
	v_cmp_o_f32_e32 vcc_lo, v2, v2
	v_add3_u32 v2, v2, v6, 0x7fff
	v_mov_b32_e32 v6, 0x7fc0
	v_cndmask_b32_sdwa v6, v6, v2, vcc_lo dst_sel:DWORD dst_unused:UNUSED_PAD src0_sel:DWORD src1_sel:WORD_1
	s_or_b32 exec_lo, exec_lo, s1
	s_and_saveexec_b32 s1, s0
	s_xor_b32 s0, exec_lo, s1
	s_cbranch_execnz .LBB25_45
.LBB25_33:
	s_or_b32 exec_lo, exec_lo, s0
	s_mov_b32 s0, exec_lo
	v_cmpx_gt_i32_e64 s7, v0
	s_cbranch_execz .LBB25_46
.LBB25_34:
	v_add_nc_u32_e32 v1, s12, v0
	v_mov_b32_e32 v2, 0
	v_add_nc_u32_e32 v0, 0x100, v0
	v_lshlrev_b64 v[1:2], 1, v[1:2]
	v_add_co_u32 v1, vcc_lo, s8, v1
	v_add_co_ci_u32_e64 v2, null, s9, v2, vcc_lo
	global_store_short v[1:2], v8, off
	s_or_b32 exec_lo, exec_lo, s0
	s_mov_b32 s0, exec_lo
	v_cmpx_gt_i32_e64 s7, v0
	s_cbranch_execnz .LBB25_47
.LBB25_35:
	s_or_b32 exec_lo, exec_lo, s0
	s_mov_b32 s0, exec_lo
	v_cmpx_gt_i32_e64 s7, v0
	s_cbranch_execz .LBB25_48
.LBB25_36:
	v_add_nc_u32_e32 v1, s12, v0
	v_mov_b32_e32 v2, 0
	v_add_nc_u32_e32 v0, 0x100, v0
	v_lshlrev_b64 v[1:2], 1, v[1:2]
	v_add_co_u32 v1, vcc_lo, s8, v1
	v_add_co_ci_u32_e64 v2, null, s9, v2, vcc_lo
	global_store_short v[1:2], v11, off
	s_or_b32 exec_lo, exec_lo, s0
	s_mov_b32 s0, exec_lo
	v_cmpx_gt_i32_e64 s7, v0
	s_cbranch_execnz .LBB25_49
.LBB25_37:
	s_or_b32 exec_lo, exec_lo, s0
	s_mov_b32 s0, exec_lo
	v_cmpx_gt_i32_e64 s7, v0
	s_cbranch_execz .LBB25_50
.LBB25_38:
	v_add_nc_u32_e32 v1, s12, v0
	v_mov_b32_e32 v2, 0
	v_add_nc_u32_e32 v0, 0x100, v0
	v_lshlrev_b64 v[1:2], 1, v[1:2]
	v_add_co_u32 v1, vcc_lo, s8, v1
	v_add_co_ci_u32_e64 v2, null, s9, v2, vcc_lo
	global_store_short v[1:2], v9, off
	s_or_b32 exec_lo, exec_lo, s0
	s_mov_b32 s0, exec_lo
	v_cmpx_gt_i32_e64 s7, v0
	s_cbranch_execnz .LBB25_51
.LBB25_39:
	s_or_b32 exec_lo, exec_lo, s0
	s_mov_b32 s0, exec_lo
	v_cmpx_gt_i32_e64 s7, v0
	s_cbranch_execz .LBB25_41
.LBB25_40:
	v_add_nc_u32_e32 v0, s12, v0
	v_mov_b32_e32 v1, 0
	v_lshlrev_b64 v[0:1], 1, v[0:1]
	v_add_co_u32 v0, vcc_lo, s8, v0
	v_add_co_ci_u32_e64 v1, null, s9, v1, vcc_lo
	global_store_short v[0:1], v6, off
.LBB25_41:
	s_endpgm
.LBB25_42:
	s_or_b32 exec_lo, exec_lo, s1
	s_mov_b32 s1, exec_lo
	v_cmpx_gt_i32_e64 s7, v5
	s_cbranch_execz .LBB25_17
.LBB25_43:
	v_add_nc_u32_e32 v12, s12, v5
	v_mov_b32_e32 v13, 0
	v_lshlrev_b64 v[12:13], 1, v[12:13]
	v_add_co_u32 v12, vcc_lo, s10, v12
	v_add_co_ci_u32_e64 v13, null, s11, v13, vcc_lo
	global_load_ushort v2, v[12:13], off
	s_waitcnt vmcnt(0)
	v_lshlrev_b32_e32 v2, 16, v2
	s_or_b32 exec_lo, exec_lo, s1
                                        ; implicit-def: $vgpr5
	s_and_saveexec_b32 s1, s0
	s_cbranch_execz .LBB25_19
	s_branch .LBB25_18
.LBB25_44:
	s_or_b32 exec_lo, exec_lo, s1
	s_and_saveexec_b32 s1, s0
	s_xor_b32 s0, exec_lo, s1
	s_cbranch_execz .LBB25_33
.LBB25_45:
	v_mov_b32_e32 v2, 0
	v_lshlrev_b64 v[0:1], 1, v[1:2]
	v_add_co_u32 v12, vcc_lo, s8, v0
	v_add_co_ci_u32_e64 v13, null, s9, v1, vcc_lo
	v_mov_b32_e32 v0, v3
	global_store_short v[12:13], v5, off
	s_or_b32 exec_lo, exec_lo, s0
	s_mov_b32 s0, exec_lo
	v_cmpx_gt_i32_e64 s7, v0
	s_cbranch_execnz .LBB25_34
.LBB25_46:
	s_or_b32 exec_lo, exec_lo, s0
	s_mov_b32 s0, exec_lo
	v_cmpx_gt_i32_e64 s7, v0
	s_cbranch_execz .LBB25_35
.LBB25_47:
	v_add_nc_u32_e32 v1, s12, v0
	v_mov_b32_e32 v2, 0
	v_add_nc_u32_e32 v0, 0x100, v0
	v_lshlrev_b64 v[1:2], 1, v[1:2]
	v_add_co_u32 v1, vcc_lo, s8, v1
	v_add_co_ci_u32_e64 v2, null, s9, v2, vcc_lo
	global_store_short v[1:2], v10, off
	s_or_b32 exec_lo, exec_lo, s0
	s_mov_b32 s0, exec_lo
	v_cmpx_gt_i32_e64 s7, v0
	s_cbranch_execnz .LBB25_36
.LBB25_48:
	s_or_b32 exec_lo, exec_lo, s0
	s_mov_b32 s0, exec_lo
	v_cmpx_gt_i32_e64 s7, v0
	s_cbranch_execz .LBB25_37
.LBB25_49:
	v_add_nc_u32_e32 v1, s12, v0
	v_mov_b32_e32 v2, 0
	v_add_nc_u32_e32 v0, 0x100, v0
	v_lshlrev_b64 v[1:2], 1, v[1:2]
	v_add_co_u32 v1, vcc_lo, s8, v1
	v_add_co_ci_u32_e64 v2, null, s9, v2, vcc_lo
	global_store_short v[1:2], v7, off
	s_or_b32 exec_lo, exec_lo, s0
	s_mov_b32 s0, exec_lo
	v_cmpx_gt_i32_e64 s7, v0
	s_cbranch_execnz .LBB25_38
.LBB25_50:
	s_or_b32 exec_lo, exec_lo, s0
	s_mov_b32 s0, exec_lo
	v_cmpx_gt_i32_e64 s7, v0
	s_cbranch_execz .LBB25_39
.LBB25_51:
	v_add_nc_u32_e32 v1, s12, v0
	v_mov_b32_e32 v2, 0
	v_add_nc_u32_e32 v0, 0x100, v0
	v_lshlrev_b64 v[1:2], 1, v[1:2]
	v_add_co_u32 v1, vcc_lo, s8, v1
	v_add_co_ci_u32_e64 v2, null, s9, v2, vcc_lo
	global_store_short v[1:2], v4, off
	s_or_b32 exec_lo, exec_lo, s0
	s_mov_b32 s0, exec_lo
	v_cmpx_gt_i32_e64 s7, v0
	s_cbranch_execnz .LBB25_40
	s_branch .LBB25_41
	.section	.rodata,"a",@progbits
	.p2align	6, 0x0
	.amdhsa_kernel _ZN2at6native29vectorized_elementwise_kernelILi8EZZZNS0_16atan_kernel_cudaERNS_18TensorIteratorBaseEENKUlvE0_clEvENKUlvE2_clEvEUlN3c108BFloat16EE_St5arrayIPcLm2EEEEviT0_T1_
		.amdhsa_group_segment_fixed_size 0
		.amdhsa_private_segment_fixed_size 0
		.amdhsa_kernarg_size 24
		.amdhsa_user_sgpr_count 6
		.amdhsa_user_sgpr_private_segment_buffer 1
		.amdhsa_user_sgpr_dispatch_ptr 0
		.amdhsa_user_sgpr_queue_ptr 0
		.amdhsa_user_sgpr_kernarg_segment_ptr 1
		.amdhsa_user_sgpr_dispatch_id 0
		.amdhsa_user_sgpr_flat_scratch_init 0
		.amdhsa_user_sgpr_private_segment_size 0
		.amdhsa_wavefront_size32 1
		.amdhsa_uses_dynamic_stack 0
		.amdhsa_system_sgpr_private_segment_wavefront_offset 0
		.amdhsa_system_sgpr_workgroup_id_x 1
		.amdhsa_system_sgpr_workgroup_id_y 0
		.amdhsa_system_sgpr_workgroup_id_z 0
		.amdhsa_system_sgpr_workgroup_info 0
		.amdhsa_system_vgpr_workitem_id 0
		.amdhsa_next_free_vgpr 36
		.amdhsa_next_free_sgpr 16
		.amdhsa_reserve_vcc 1
		.amdhsa_reserve_flat_scratch 0
		.amdhsa_float_round_mode_32 0
		.amdhsa_float_round_mode_16_64 0
		.amdhsa_float_denorm_mode_32 3
		.amdhsa_float_denorm_mode_16_64 3
		.amdhsa_dx10_clamp 1
		.amdhsa_ieee_mode 1
		.amdhsa_fp16_overflow 0
		.amdhsa_workgroup_processor_mode 1
		.amdhsa_memory_ordered 1
		.amdhsa_forward_progress 1
		.amdhsa_shared_vgpr_count 0
		.amdhsa_exception_fp_ieee_invalid_op 0
		.amdhsa_exception_fp_denorm_src 0
		.amdhsa_exception_fp_ieee_div_zero 0
		.amdhsa_exception_fp_ieee_overflow 0
		.amdhsa_exception_fp_ieee_underflow 0
		.amdhsa_exception_fp_ieee_inexact 0
		.amdhsa_exception_int_div_zero 0
	.end_amdhsa_kernel
	.section	.text._ZN2at6native29vectorized_elementwise_kernelILi8EZZZNS0_16atan_kernel_cudaERNS_18TensorIteratorBaseEENKUlvE0_clEvENKUlvE2_clEvEUlN3c108BFloat16EE_St5arrayIPcLm2EEEEviT0_T1_,"axG",@progbits,_ZN2at6native29vectorized_elementwise_kernelILi8EZZZNS0_16atan_kernel_cudaERNS_18TensorIteratorBaseEENKUlvE0_clEvENKUlvE2_clEvEUlN3c108BFloat16EE_St5arrayIPcLm2EEEEviT0_T1_,comdat
.Lfunc_end25:
	.size	_ZN2at6native29vectorized_elementwise_kernelILi8EZZZNS0_16atan_kernel_cudaERNS_18TensorIteratorBaseEENKUlvE0_clEvENKUlvE2_clEvEUlN3c108BFloat16EE_St5arrayIPcLm2EEEEviT0_T1_, .Lfunc_end25-_ZN2at6native29vectorized_elementwise_kernelILi8EZZZNS0_16atan_kernel_cudaERNS_18TensorIteratorBaseEENKUlvE0_clEvENKUlvE2_clEvEUlN3c108BFloat16EE_St5arrayIPcLm2EEEEviT0_T1_
                                        ; -- End function
	.set _ZN2at6native29vectorized_elementwise_kernelILi8EZZZNS0_16atan_kernel_cudaERNS_18TensorIteratorBaseEENKUlvE0_clEvENKUlvE2_clEvEUlN3c108BFloat16EE_St5arrayIPcLm2EEEEviT0_T1_.num_vgpr, 36
	.set _ZN2at6native29vectorized_elementwise_kernelILi8EZZZNS0_16atan_kernel_cudaERNS_18TensorIteratorBaseEENKUlvE0_clEvENKUlvE2_clEvEUlN3c108BFloat16EE_St5arrayIPcLm2EEEEviT0_T1_.num_agpr, 0
	.set _ZN2at6native29vectorized_elementwise_kernelILi8EZZZNS0_16atan_kernel_cudaERNS_18TensorIteratorBaseEENKUlvE0_clEvENKUlvE2_clEvEUlN3c108BFloat16EE_St5arrayIPcLm2EEEEviT0_T1_.numbered_sgpr, 16
	.set _ZN2at6native29vectorized_elementwise_kernelILi8EZZZNS0_16atan_kernel_cudaERNS_18TensorIteratorBaseEENKUlvE0_clEvENKUlvE2_clEvEUlN3c108BFloat16EE_St5arrayIPcLm2EEEEviT0_T1_.num_named_barrier, 0
	.set _ZN2at6native29vectorized_elementwise_kernelILi8EZZZNS0_16atan_kernel_cudaERNS_18TensorIteratorBaseEENKUlvE0_clEvENKUlvE2_clEvEUlN3c108BFloat16EE_St5arrayIPcLm2EEEEviT0_T1_.private_seg_size, 0
	.set _ZN2at6native29vectorized_elementwise_kernelILi8EZZZNS0_16atan_kernel_cudaERNS_18TensorIteratorBaseEENKUlvE0_clEvENKUlvE2_clEvEUlN3c108BFloat16EE_St5arrayIPcLm2EEEEviT0_T1_.uses_vcc, 1
	.set _ZN2at6native29vectorized_elementwise_kernelILi8EZZZNS0_16atan_kernel_cudaERNS_18TensorIteratorBaseEENKUlvE0_clEvENKUlvE2_clEvEUlN3c108BFloat16EE_St5arrayIPcLm2EEEEviT0_T1_.uses_flat_scratch, 0
	.set _ZN2at6native29vectorized_elementwise_kernelILi8EZZZNS0_16atan_kernel_cudaERNS_18TensorIteratorBaseEENKUlvE0_clEvENKUlvE2_clEvEUlN3c108BFloat16EE_St5arrayIPcLm2EEEEviT0_T1_.has_dyn_sized_stack, 0
	.set _ZN2at6native29vectorized_elementwise_kernelILi8EZZZNS0_16atan_kernel_cudaERNS_18TensorIteratorBaseEENKUlvE0_clEvENKUlvE2_clEvEUlN3c108BFloat16EE_St5arrayIPcLm2EEEEviT0_T1_.has_recursion, 0
	.set _ZN2at6native29vectorized_elementwise_kernelILi8EZZZNS0_16atan_kernel_cudaERNS_18TensorIteratorBaseEENKUlvE0_clEvENKUlvE2_clEvEUlN3c108BFloat16EE_St5arrayIPcLm2EEEEviT0_T1_.has_indirect_call, 0
	.section	.AMDGPU.csdata,"",@progbits
; Kernel info:
; codeLenInByte = 4316
; TotalNumSgprs: 18
; NumVgprs: 36
; ScratchSize: 0
; MemoryBound: 0
; FloatMode: 240
; IeeeMode: 1
; LDSByteSize: 0 bytes/workgroup (compile time only)
; SGPRBlocks: 0
; VGPRBlocks: 4
; NumSGPRsForWavesPerEU: 18
; NumVGPRsForWavesPerEU: 36
; Occupancy: 16
; WaveLimiterHint : 0
; COMPUTE_PGM_RSRC2:SCRATCH_EN: 0
; COMPUTE_PGM_RSRC2:USER_SGPR: 6
; COMPUTE_PGM_RSRC2:TRAP_HANDLER: 0
; COMPUTE_PGM_RSRC2:TGID_X_EN: 1
; COMPUTE_PGM_RSRC2:TGID_Y_EN: 0
; COMPUTE_PGM_RSRC2:TGID_Z_EN: 0
; COMPUTE_PGM_RSRC2:TIDIG_COMP_CNT: 0
	.section	.text._ZN2at6native29vectorized_elementwise_kernelILi4EZZZNS0_16atan_kernel_cudaERNS_18TensorIteratorBaseEENKUlvE0_clEvENKUlvE2_clEvEUlN3c108BFloat16EE_St5arrayIPcLm2EEEEviT0_T1_,"axG",@progbits,_ZN2at6native29vectorized_elementwise_kernelILi4EZZZNS0_16atan_kernel_cudaERNS_18TensorIteratorBaseEENKUlvE0_clEvENKUlvE2_clEvEUlN3c108BFloat16EE_St5arrayIPcLm2EEEEviT0_T1_,comdat
	.globl	_ZN2at6native29vectorized_elementwise_kernelILi4EZZZNS0_16atan_kernel_cudaERNS_18TensorIteratorBaseEENKUlvE0_clEvENKUlvE2_clEvEUlN3c108BFloat16EE_St5arrayIPcLm2EEEEviT0_T1_ ; -- Begin function _ZN2at6native29vectorized_elementwise_kernelILi4EZZZNS0_16atan_kernel_cudaERNS_18TensorIteratorBaseEENKUlvE0_clEvENKUlvE2_clEvEUlN3c108BFloat16EE_St5arrayIPcLm2EEEEviT0_T1_
	.p2align	8
	.type	_ZN2at6native29vectorized_elementwise_kernelILi4EZZZNS0_16atan_kernel_cudaERNS_18TensorIteratorBaseEENKUlvE0_clEvENKUlvE2_clEvEUlN3c108BFloat16EE_St5arrayIPcLm2EEEEviT0_T1_,@function
_ZN2at6native29vectorized_elementwise_kernelILi4EZZZNS0_16atan_kernel_cudaERNS_18TensorIteratorBaseEENKUlvE0_clEvENKUlvE2_clEvEUlN3c108BFloat16EE_St5arrayIPcLm2EEEEviT0_T1_: ; @_ZN2at6native29vectorized_elementwise_kernelILi4EZZZNS0_16atan_kernel_cudaERNS_18TensorIteratorBaseEENKUlvE0_clEvENKUlvE2_clEvEUlN3c108BFloat16EE_St5arrayIPcLm2EEEEviT0_T1_
; %bb.0:
	s_clause 0x1
	s_load_dword s0, s[4:5], 0x0
	s_load_dwordx4 s[8:11], s[4:5], 0x8
	s_lshl_b32 s12, s6, 11
	s_waitcnt lgkmcnt(0)
	s_sub_i32 s7, s0, s12
	s_mov_b32 s0, -1
	s_cmpk_gt_i32 s7, 0x7ff
	s_cbranch_scc0 .LBB26_2
; %bb.1:
	s_ashr_i32 s13, s12, 31
	v_lshlrev_b32_e32 v7, 3, v0
	s_lshl_b64 s[0:1], s[12:13], 1
	s_mov_b32 s13, 0x3b2d2a58
	s_add_u32 s2, s10, s0
	s_addc_u32 s3, s11, s1
	v_add_co_u32 v3, s4, s2, v7
	global_load_dwordx2 v[1:2], v7, s[2:3]
	v_add_co_ci_u32_e64 v4, null, s3, 0, s4
	v_add_co_u32 v3, vcc_lo, 0x800, v3
	s_add_u32 s14, s8, s0
	v_add_co_ci_u32_e64 v4, null, 0, v4, vcc_lo
	s_addc_u32 s15, s9, s1
	global_load_dwordx2 v[3:4], v[3:4], off
	s_waitcnt vmcnt(1)
	v_lshlrev_b32_e32 v5, 16, v1
	v_and_b32_e32 v1, 0xffff0000, v1
	v_lshlrev_b32_e32 v6, 16, v2
	v_and_b32_e32 v2, 0xffff0000, v2
	v_rcp_f32_e64 v8, |v5|
	v_rcp_f32_e64 v9, |v1|
	v_rcp_f32_e64 v10, |v6|
	v_cmp_gt_f32_e64 vcc_lo, |v5|, 1.0
	v_rcp_f32_e64 v11, |v2|
	v_cmp_gt_f32_e64 s0, |v1|, 1.0
	s_waitcnt vmcnt(0)
	v_lshlrev_b32_e32 v12, 16, v3
	v_and_b32_e32 v3, 0xffff0000, v3
	v_lshlrev_b32_e32 v13, 16, v4
	v_cmp_gt_f32_e64 s1, |v6|, 1.0
	v_cndmask_b32_e64 v8, |v5|, v8, vcc_lo
	v_and_b32_e32 v4, 0xffff0000, v4
	v_cndmask_b32_e64 v9, |v1|, v9, s0
	v_cmp_gt_f32_e64 s2, |v2|, 1.0
	v_cndmask_b32_e64 v10, |v6|, v10, s1
	v_rcp_f32_e64 v14, |v12|
	v_rcp_f32_e64 v15, |v3|
	;; [unrolled: 1-line block ×3, first 2 shown]
	v_mul_f32_e32 v17, v8, v8
	v_cndmask_b32_e64 v11, |v2|, v11, s2
	v_mul_f32_e32 v18, v9, v9
	v_mul_f32_e32 v19, v10, v10
	v_rcp_f32_e64 v21, |v4|
	v_fmaak_f32 v22, s13, v17, 0xbc7a590c
	v_cmp_gt_f32_e64 s3, |v12|, 1.0
	v_cmp_gt_f32_e64 s4, |v3|, 1.0
	;; [unrolled: 1-line block ×3, first 2 shown]
	v_mul_f32_e32 v20, v11, v11
	v_fmaak_f32 v23, s13, v18, 0xbc7a590c
	v_fmaak_f32 v24, s13, v19, 0xbc7a590c
	v_cndmask_b32_e64 v14, |v12|, v14, s3
	v_cndmask_b32_e64 v15, |v3|, v15, s4
	;; [unrolled: 1-line block ×3, first 2 shown]
	v_cmp_gt_f32_e64 s6, |v4|, 1.0
	v_fmaak_f32 v22, v17, v22, 0x3d29fb3f
	v_fmaak_f32 v25, s13, v20, 0xbc7a590c
	;; [unrolled: 1-line block ×4, first 2 shown]
	v_cndmask_b32_e64 v21, |v4|, v21, s6
	v_mul_f32_e32 v26, v14, v14
	v_mul_f32_e32 v27, v15, v15
	;; [unrolled: 1-line block ×3, first 2 shown]
	v_fmaak_f32 v22, v17, v22, 0xbd97d4d7
	v_fmaak_f32 v25, v20, v25, 0x3d29fb3f
	v_mul_f32_e32 v29, v21, v21
	v_fmaak_f32 v23, v18, v23, 0xbd97d4d7
	v_fmaak_f32 v24, v19, v24, 0xbd97d4d7
	;; [unrolled: 1-line block ×37, first 2 shown]
	v_mul_f32_e32 v17, v17, v22
	v_fmaak_f32 v25, v20, v25, 0xbeaaaa62
	v_fmaak_f32 v33, v29, v33, 0xbe1160e6
	v_mul_f32_e32 v18, v18, v23
	v_mul_f32_e32 v19, v19, v24
	v_fmaak_f32 v22, v26, v30, 0x3e4cb8bf
	v_fmaak_f32 v23, v27, v31, 0x3e4cb8bf
	;; [unrolled: 1-line block ×3, first 2 shown]
	v_fmac_f32_e32 v8, v8, v17
	v_mul_f32_e32 v20, v20, v25
	v_fmaak_f32 v25, v29, v33, 0x3e4cb8bf
	v_fmac_f32_e32 v9, v9, v18
	v_fmac_f32_e32 v10, v10, v19
	v_fmaak_f32 v17, v26, v22, 0xbeaaaa62
	v_fmaak_f32 v18, v27, v23, 0xbeaaaa62
	v_fmaak_f32 v19, v28, v24, 0xbeaaaa62
	v_sub_f32_e32 v22, 0x3fc90fdb, v8
	v_fmac_f32_e32 v11, v11, v20
	v_fmaak_f32 v20, v29, v25, 0xbeaaaa62
	v_sub_f32_e32 v23, 0x3fc90fdb, v9
	v_sub_f32_e32 v24, 0x3fc90fdb, v10
	v_mul_f32_e32 v17, v26, v17
	v_mul_f32_e32 v18, v27, v18
	;; [unrolled: 1-line block ×3, first 2 shown]
	v_cndmask_b32_e32 v8, v8, v22, vcc_lo
	v_sub_f32_e32 v25, 0x3fc90fdb, v11
	v_mul_f32_e32 v20, v29, v20
	v_cndmask_b32_e64 v9, v9, v23, s0
	v_cndmask_b32_e64 v10, v10, v24, s1
	v_fmac_f32_e32 v14, v14, v17
	v_fmac_f32_e32 v15, v15, v18
	;; [unrolled: 1-line block ×3, first 2 shown]
	v_bfi_b32 v5, 0x7fffffff, v8, v5
	v_cndmask_b32_e64 v11, v11, v25, s2
	v_fmac_f32_e32 v21, v21, v20
	v_bfi_b32 v1, 0x7fffffff, v9, v1
	v_bfi_b32 v6, 0x7fffffff, v10, v6
	v_sub_f32_e32 v8, 0x3fc90fdb, v14
	v_sub_f32_e32 v9, 0x3fc90fdb, v15
	;; [unrolled: 1-line block ×3, first 2 shown]
	v_bfe_u32 v17, v5, 16, 1
	v_bfi_b32 v2, 0x7fffffff, v11, v2
	v_sub_f32_e32 v11, 0x3fc90fdb, v21
	v_bfe_u32 v18, v1, 16, 1
	v_cndmask_b32_e64 v8, v14, v8, s3
	v_cndmask_b32_e64 v9, v15, v9, s4
	;; [unrolled: 1-line block ×3, first 2 shown]
	v_add3_u32 v14, v5, v17, 0x7fff
	v_bfe_u32 v19, v6, 16, 1
	v_cndmask_b32_e64 v11, v21, v11, s6
	v_add3_u32 v15, v1, v18, 0x7fff
	v_bfi_b32 v3, 0x7fffffff, v9, v3
	v_bfi_b32 v9, 0x7fffffff, v10, v13
	v_lshrrev_b32_e32 v10, 16, v14
	v_cmp_o_f32_e32 vcc_lo, v5, v5
	v_bfe_u32 v20, v2, 16, 1
	v_add3_u32 v16, v6, v19, 0x7fff
	v_bfi_b32 v8, 0x7fffffff, v8, v12
	v_bfi_b32 v4, 0x7fffffff, v11, v4
	v_and_b32_e32 v11, 0xffff0000, v15
	v_cndmask_b32_e32 v5, 0x7fc0, v10, vcc_lo
	v_cmp_o_f32_e32 vcc_lo, v1, v1
	v_add3_u32 v17, v2, v20, 0x7fff
	v_lshrrev_b32_e32 v12, 16, v16
	v_bfe_u32 v14, v8, 16, 1
	v_bfe_u32 v15, v3, 16, 1
	v_cndmask_b32_e32 v1, 0x7fc00000, v11, vcc_lo
	v_cmp_o_f32_e32 vcc_lo, v6, v6
	v_and_b32_e32 v13, 0xffff0000, v17
	v_add3_u32 v10, v8, v14, 0x7fff
	v_bfe_u32 v16, v9, 16, 1
	v_add3_u32 v11, v3, v15, 0x7fff
	v_cndmask_b32_e32 v6, 0x7fc0, v12, vcc_lo
	v_cmp_o_f32_e32 vcc_lo, v2, v2
	v_or_b32_e32 v1, v5, v1
	v_lshrrev_b32_e32 v5, 16, v10
	v_bfe_u32 v17, v4, 16, 1
	v_add3_u32 v12, v9, v16, 0x7fff
	v_cndmask_b32_e32 v2, 0x7fc00000, v13, vcc_lo
	v_cmp_o_f32_e32 vcc_lo, v8, v8
	v_and_b32_e32 v10, 0xffff0000, v11
	v_add3_u32 v13, v4, v17, 0x7fff
	v_lshrrev_b32_e32 v11, 16, v12
	v_or3_b32 v2, 0, v6, v2
	v_cndmask_b32_e32 v5, 0x7fc0, v5, vcc_lo
	v_cmp_o_f32_e32 vcc_lo, v3, v3
	v_and_b32_e32 v12, 0xffff0000, v13
	v_or3_b32 v1, v1, 0, 0
	v_cndmask_b32_e32 v3, 0x7fc00000, v10, vcc_lo
	v_cmp_o_f32_e32 vcc_lo, v9, v9
	v_or_b32_e32 v3, v5, v3
	v_cndmask_b32_e32 v8, 0x7fc0, v11, vcc_lo
	v_cmp_o_f32_e32 vcc_lo, v4, v4
	v_add_co_u32 v5, s0, s14, v7
	v_add_co_ci_u32_e64 v9, null, s15, 0, s0
	v_cndmask_b32_e32 v4, 0x7fc00000, v12, vcc_lo
	v_add_co_u32 v5, vcc_lo, 0x800, v5
	v_or3_b32 v3, v3, 0, 0
	v_add_co_ci_u32_e64 v6, null, 0, v9, vcc_lo
	v_or3_b32 v4, 0, v8, v4
	s_mov_b32 s0, 0
	global_store_dwordx2 v7, v[1:2], s[14:15]
	global_store_dwordx2 v[5:6], v[3:4], off
.LBB26_2:
	s_andn2_b32 vcc_lo, exec_lo, s0
	s_cbranch_vccnz .LBB26_41
; %bb.3:
	v_cmp_gt_i32_e64 s0, s7, v0
	v_mov_b32_e32 v10, 0
	v_or_b32_e32 v1, s12, v0
	v_or_b32_e32 v3, 0x100, v0
	v_mov_b32_e32 v8, 0
	v_mov_b32_e32 v5, v0
	s_and_saveexec_b32 s1, s0
	s_cbranch_execz .LBB26_5
; %bb.4:
	v_mov_b32_e32 v2, 0
	v_lshlrev_b64 v[4:5], 1, v[1:2]
	v_add_co_u32 v4, vcc_lo, s10, v4
	v_add_co_ci_u32_e64 v5, null, s11, v5, vcc_lo
	global_load_ushort v2, v[4:5], off
	v_or_b32_e32 v5, 0x100, v0
	s_waitcnt vmcnt(0)
	v_lshlrev_b32_e32 v8, 16, v2
.LBB26_5:
	s_or_b32 exec_lo, exec_lo, s1
	s_mov_b32 s1, exec_lo
	v_cmpx_gt_i32_e64 s7, v5
	s_cbranch_execz .LBB26_7
; %bb.6:
	v_add_nc_u32_e32 v6, s12, v5
	v_mov_b32_e32 v7, 0
	v_add_nc_u32_e32 v5, 0x100, v5
	v_lshlrev_b64 v[6:7], 1, v[6:7]
	v_add_co_u32 v6, vcc_lo, s10, v6
	v_add_co_ci_u32_e64 v7, null, s11, v7, vcc_lo
	global_load_ushort v2, v[6:7], off
	s_waitcnt vmcnt(0)
	v_lshlrev_b32_e32 v10, 16, v2
.LBB26_7:
	s_or_b32 exec_lo, exec_lo, s1
	v_mov_b32_e32 v7, 0
	v_mov_b32_e32 v11, 0
	s_mov_b32 s1, exec_lo
	v_cmpx_gt_i32_e64 s7, v5
	s_cbranch_execz .LBB26_9
; %bb.8:
	v_add_nc_u32_e32 v11, s12, v5
	v_mov_b32_e32 v12, 0
	v_add_nc_u32_e32 v5, 0x100, v5
	v_lshlrev_b64 v[11:12], 1, v[11:12]
	v_add_co_u32 v11, vcc_lo, s10, v11
	v_add_co_ci_u32_e64 v12, null, s11, v12, vcc_lo
	global_load_ushort v2, v[11:12], off
	s_waitcnt vmcnt(0)
	v_lshlrev_b32_e32 v11, 16, v2
.LBB26_9:
	s_or_b32 exec_lo, exec_lo, s1
	s_mov_b32 s1, exec_lo
	v_cmpx_gt_i32_e64 s7, v5
	s_cbranch_execz .LBB26_11
; %bb.10:
	v_add_nc_u32_e32 v6, s12, v5
	v_mov_b32_e32 v7, 0
	v_add_nc_u32_e32 v5, 0x100, v5
	v_lshlrev_b64 v[6:7], 1, v[6:7]
	v_add_co_u32 v6, vcc_lo, s10, v6
	v_add_co_ci_u32_e64 v7, null, s11, v7, vcc_lo
	global_load_ushort v2, v[6:7], off
	s_waitcnt vmcnt(0)
	v_lshlrev_b32_e32 v7, 16, v2
.LBB26_11:
	s_or_b32 exec_lo, exec_lo, s1
	v_mov_b32_e32 v4, 0
	v_mov_b32_e32 v9, 0
	s_mov_b32 s1, exec_lo
	v_cmpx_gt_i32_e64 s7, v5
	s_cbranch_execz .LBB26_13
; %bb.12:
	v_add_nc_u32_e32 v12, s12, v5
	v_mov_b32_e32 v13, 0
	v_add_nc_u32_e32 v5, 0x100, v5
	v_lshlrev_b64 v[12:13], 1, v[12:13]
	v_add_co_u32 v12, vcc_lo, s10, v12
	v_add_co_ci_u32_e64 v13, null, s11, v13, vcc_lo
	global_load_ushort v2, v[12:13], off
	s_waitcnt vmcnt(0)
	v_lshlrev_b32_e32 v9, 16, v2
.LBB26_13:
	s_or_b32 exec_lo, exec_lo, s1
	s_mov_b32 s1, exec_lo
	v_cmpx_gt_i32_e64 s7, v5
	s_cbranch_execz .LBB26_15
; %bb.14:
	v_add_nc_u32_e32 v12, s12, v5
	v_mov_b32_e32 v13, 0
	v_add_nc_u32_e32 v5, 0x100, v5
	v_lshlrev_b64 v[12:13], 1, v[12:13]
	v_add_co_u32 v12, vcc_lo, s10, v12
	v_add_co_ci_u32_e64 v13, null, s11, v13, vcc_lo
	global_load_ushort v2, v[12:13], off
	s_waitcnt vmcnt(0)
	v_lshlrev_b32_e32 v4, 16, v2
.LBB26_15:
	s_or_b32 exec_lo, exec_lo, s1
	v_mov_b32_e32 v2, 0
	v_mov_b32_e32 v6, 0
	s_mov_b32 s1, exec_lo
	v_cmpx_gt_i32_e64 s7, v5
	s_cbranch_execz .LBB26_42
; %bb.16:
	v_add_nc_u32_e32 v12, s12, v5
	v_mov_b32_e32 v13, 0
	v_add_nc_u32_e32 v5, 0x100, v5
	v_lshlrev_b64 v[12:13], 1, v[12:13]
	v_add_co_u32 v12, vcc_lo, s10, v12
	v_add_co_ci_u32_e64 v13, null, s11, v13, vcc_lo
	global_load_ushort v6, v[12:13], off
	s_waitcnt vmcnt(0)
	v_lshlrev_b32_e32 v6, 16, v6
	s_or_b32 exec_lo, exec_lo, s1
	s_mov_b32 s1, exec_lo
	v_cmpx_gt_i32_e64 s7, v5
	s_cbranch_execnz .LBB26_43
.LBB26_17:
	s_or_b32 exec_lo, exec_lo, s1
                                        ; implicit-def: $vgpr5
	s_and_saveexec_b32 s1, s0
	s_cbranch_execz .LBB26_19
.LBB26_18:
	v_rcp_f32_e64 v5, |v8|
	v_cmp_gt_f32_e64 vcc_lo, |v8|, 1.0
	s_mov_b32 s2, 0x3b2d2a58
	v_cndmask_b32_e64 v5, |v8|, v5, vcc_lo
	v_mul_f32_e32 v12, v5, v5
	v_fmaak_f32 v13, s2, v12, 0xbc7a590c
	v_fmaak_f32 v13, v12, v13, 0x3d29fb3f
	v_fmaak_f32 v13, v12, v13, 0xbd97d4d7
	v_fmaak_f32 v13, v12, v13, 0x3dd931b2
	v_fmaak_f32 v13, v12, v13, 0xbe1160e6
	v_fmaak_f32 v13, v12, v13, 0x3e4cb8bf
	v_fmaak_f32 v13, v12, v13, 0xbeaaaa62
	v_mul_f32_e32 v12, v12, v13
	v_fmac_f32_e32 v5, v5, v12
	v_sub_f32_e32 v12, 0x3fc90fdb, v5
	v_cndmask_b32_e32 v5, v5, v12, vcc_lo
	v_bfi_b32 v5, 0x7fffffff, v5, v8
	v_bfe_u32 v8, v5, 16, 1
	v_cmp_o_f32_e32 vcc_lo, v5, v5
	v_add3_u32 v5, v5, v8, 0x7fff
	v_mov_b32_e32 v8, 0x7fc0
	v_cndmask_b32_sdwa v5, v8, v5, vcc_lo dst_sel:DWORD dst_unused:UNUSED_PAD src0_sel:DWORD src1_sel:WORD_1
.LBB26_19:
	s_or_b32 exec_lo, exec_lo, s1
	s_mov_b32 s1, exec_lo
                                        ; implicit-def: $vgpr8
	v_cmpx_gt_i32_e64 s7, v3
	s_cbranch_execz .LBB26_21
; %bb.20:
	v_rcp_f32_e64 v8, |v10|
	v_cmp_gt_f32_e64 vcc_lo, |v10|, 1.0
	s_mov_b32 s2, 0x3b2d2a58
	v_cndmask_b32_e64 v8, |v10|, v8, vcc_lo
	v_mul_f32_e32 v12, v8, v8
	v_fmaak_f32 v13, s2, v12, 0xbc7a590c
	v_fmaak_f32 v13, v12, v13, 0x3d29fb3f
	;; [unrolled: 1-line block ×7, first 2 shown]
	v_mul_f32_e32 v12, v12, v13
	v_fmac_f32_e32 v8, v8, v12
	v_sub_f32_e32 v12, 0x3fc90fdb, v8
	v_cndmask_b32_e32 v8, v8, v12, vcc_lo
	v_bfi_b32 v8, 0x7fffffff, v8, v10
	v_bfe_u32 v10, v8, 16, 1
	v_cmp_o_f32_e32 vcc_lo, v8, v8
	v_add3_u32 v8, v8, v10, 0x7fff
	v_mov_b32_e32 v10, 0x7fc0
	v_cndmask_b32_sdwa v8, v10, v8, vcc_lo dst_sel:DWORD dst_unused:UNUSED_PAD src0_sel:DWORD src1_sel:WORD_1
.LBB26_21:
	s_or_b32 exec_lo, exec_lo, s1
	v_or_b32_e32 v10, 0x200, v0
	v_cmp_gt_i32_e32 vcc_lo, s7, v10
                                        ; implicit-def: $vgpr10
	s_and_saveexec_b32 s1, vcc_lo
	s_cbranch_execz .LBB26_23
; %bb.22:
	v_rcp_f32_e64 v10, |v11|
	v_cmp_gt_f32_e64 vcc_lo, |v11|, 1.0
	s_mov_b32 s2, 0x3b2d2a58
	v_cndmask_b32_e64 v10, |v11|, v10, vcc_lo
	v_mul_f32_e32 v12, v10, v10
	v_fmaak_f32 v13, s2, v12, 0xbc7a590c
	v_fmaak_f32 v13, v12, v13, 0x3d29fb3f
	v_fmaak_f32 v13, v12, v13, 0xbd97d4d7
	v_fmaak_f32 v13, v12, v13, 0x3dd931b2
	v_fmaak_f32 v13, v12, v13, 0xbe1160e6
	v_fmaak_f32 v13, v12, v13, 0x3e4cb8bf
	v_fmaak_f32 v13, v12, v13, 0xbeaaaa62
	v_mul_f32_e32 v12, v12, v13
	v_fmac_f32_e32 v10, v10, v12
	v_sub_f32_e32 v12, 0x3fc90fdb, v10
	v_cndmask_b32_e32 v10, v10, v12, vcc_lo
	v_bfi_b32 v10, 0x7fffffff, v10, v11
	v_bfe_u32 v11, v10, 16, 1
	v_cmp_o_f32_e32 vcc_lo, v10, v10
	v_add3_u32 v10, v10, v11, 0x7fff
	v_mov_b32_e32 v11, 0x7fc0
	v_cndmask_b32_sdwa v10, v11, v10, vcc_lo dst_sel:DWORD dst_unused:UNUSED_PAD src0_sel:DWORD src1_sel:WORD_1
.LBB26_23:
	s_or_b32 exec_lo, exec_lo, s1
	v_or_b32_e32 v11, 0x300, v0
	v_cmp_gt_i32_e32 vcc_lo, s7, v11
                                        ; implicit-def: $vgpr11
	s_and_saveexec_b32 s1, vcc_lo
	s_cbranch_execz .LBB26_25
; %bb.24:
	v_rcp_f32_e64 v11, |v7|
	v_cmp_gt_f32_e64 vcc_lo, |v7|, 1.0
	s_mov_b32 s2, 0x3b2d2a58
	v_cndmask_b32_e64 v11, |v7|, v11, vcc_lo
	v_mul_f32_e32 v12, v11, v11
	v_fmaak_f32 v13, s2, v12, 0xbc7a590c
	v_fmaak_f32 v13, v12, v13, 0x3d29fb3f
	;; [unrolled: 1-line block ×7, first 2 shown]
	v_mul_f32_e32 v12, v12, v13
	v_fmac_f32_e32 v11, v11, v12
	v_sub_f32_e32 v12, 0x3fc90fdb, v11
	v_cndmask_b32_e32 v11, v11, v12, vcc_lo
	v_bfi_b32 v7, 0x7fffffff, v11, v7
	v_bfe_u32 v11, v7, 16, 1
	v_cmp_o_f32_e32 vcc_lo, v7, v7
	v_add3_u32 v7, v7, v11, 0x7fff
	v_mov_b32_e32 v11, 0x7fc0
	v_cndmask_b32_sdwa v11, v11, v7, vcc_lo dst_sel:DWORD dst_unused:UNUSED_PAD src0_sel:DWORD src1_sel:WORD_1
.LBB26_25:
	s_or_b32 exec_lo, exec_lo, s1
	v_or_b32_e32 v7, 0x400, v0
	v_cmp_gt_i32_e32 vcc_lo, s7, v7
                                        ; implicit-def: $vgpr7
	s_and_saveexec_b32 s1, vcc_lo
	s_cbranch_execz .LBB26_27
; %bb.26:
	v_rcp_f32_e64 v7, |v9|
	v_cmp_gt_f32_e64 vcc_lo, |v9|, 1.0
	s_mov_b32 s2, 0x3b2d2a58
	v_cndmask_b32_e64 v7, |v9|, v7, vcc_lo
	v_mul_f32_e32 v12, v7, v7
	v_fmaak_f32 v13, s2, v12, 0xbc7a590c
	v_fmaak_f32 v13, v12, v13, 0x3d29fb3f
	;; [unrolled: 1-line block ×7, first 2 shown]
	v_mul_f32_e32 v12, v12, v13
	v_fmac_f32_e32 v7, v7, v12
	v_sub_f32_e32 v12, 0x3fc90fdb, v7
	v_cndmask_b32_e32 v7, v7, v12, vcc_lo
	v_bfi_b32 v7, 0x7fffffff, v7, v9
	v_bfe_u32 v9, v7, 16, 1
	v_cmp_o_f32_e32 vcc_lo, v7, v7
	v_add3_u32 v7, v7, v9, 0x7fff
	v_mov_b32_e32 v9, 0x7fc0
	v_cndmask_b32_sdwa v7, v9, v7, vcc_lo dst_sel:DWORD dst_unused:UNUSED_PAD src0_sel:DWORD src1_sel:WORD_1
.LBB26_27:
	s_or_b32 exec_lo, exec_lo, s1
	v_or_b32_e32 v9, 0x500, v0
	v_cmp_gt_i32_e32 vcc_lo, s7, v9
                                        ; implicit-def: $vgpr9
	s_and_saveexec_b32 s1, vcc_lo
	s_cbranch_execz .LBB26_29
; %bb.28:
	v_rcp_f32_e64 v9, |v4|
	v_cmp_gt_f32_e64 vcc_lo, |v4|, 1.0
	s_mov_b32 s2, 0x3b2d2a58
	v_cndmask_b32_e64 v9, |v4|, v9, vcc_lo
	v_mul_f32_e32 v12, v9, v9
	v_fmaak_f32 v13, s2, v12, 0xbc7a590c
	v_fmaak_f32 v13, v12, v13, 0x3d29fb3f
	;; [unrolled: 1-line block ×7, first 2 shown]
	v_mul_f32_e32 v12, v12, v13
	v_fmac_f32_e32 v9, v9, v12
	v_sub_f32_e32 v12, 0x3fc90fdb, v9
	v_cndmask_b32_e32 v9, v9, v12, vcc_lo
	v_bfi_b32 v4, 0x7fffffff, v9, v4
	v_bfe_u32 v9, v4, 16, 1
	v_cmp_o_f32_e32 vcc_lo, v4, v4
	v_add3_u32 v4, v4, v9, 0x7fff
	v_mov_b32_e32 v9, 0x7fc0
	v_cndmask_b32_sdwa v9, v9, v4, vcc_lo dst_sel:DWORD dst_unused:UNUSED_PAD src0_sel:DWORD src1_sel:WORD_1
.LBB26_29:
	s_or_b32 exec_lo, exec_lo, s1
	v_or_b32_e32 v4, 0x600, v0
	v_cmp_gt_i32_e32 vcc_lo, s7, v4
                                        ; implicit-def: $vgpr4
	s_and_saveexec_b32 s1, vcc_lo
	s_cbranch_execz .LBB26_31
; %bb.30:
	v_rcp_f32_e64 v4, |v6|
	v_cmp_gt_f32_e64 vcc_lo, |v6|, 1.0
	s_mov_b32 s2, 0x3b2d2a58
	v_cndmask_b32_e64 v4, |v6|, v4, vcc_lo
	v_mul_f32_e32 v12, v4, v4
	v_fmaak_f32 v13, s2, v12, 0xbc7a590c
	v_fmaak_f32 v13, v12, v13, 0x3d29fb3f
	;; [unrolled: 1-line block ×7, first 2 shown]
	v_mul_f32_e32 v12, v12, v13
	v_fmac_f32_e32 v4, v4, v12
	v_sub_f32_e32 v12, 0x3fc90fdb, v4
	v_cndmask_b32_e32 v4, v4, v12, vcc_lo
	v_bfi_b32 v4, 0x7fffffff, v4, v6
	v_bfe_u32 v6, v4, 16, 1
	v_cmp_o_f32_e32 vcc_lo, v4, v4
	v_add3_u32 v4, v4, v6, 0x7fff
	v_mov_b32_e32 v6, 0x7fc0
	v_cndmask_b32_sdwa v4, v6, v4, vcc_lo dst_sel:DWORD dst_unused:UNUSED_PAD src0_sel:DWORD src1_sel:WORD_1
.LBB26_31:
	s_or_b32 exec_lo, exec_lo, s1
	v_or_b32_e32 v6, 0x700, v0
	v_cmp_gt_i32_e32 vcc_lo, s7, v6
                                        ; implicit-def: $vgpr6
	s_and_saveexec_b32 s1, vcc_lo
	s_cbranch_execz .LBB26_44
; %bb.32:
	v_rcp_f32_e64 v6, |v2|
	v_cmp_gt_f32_e64 vcc_lo, |v2|, 1.0
	s_mov_b32 s2, 0x3b2d2a58
	v_cndmask_b32_e64 v6, |v2|, v6, vcc_lo
	v_mul_f32_e32 v12, v6, v6
	v_fmaak_f32 v13, s2, v12, 0xbc7a590c
	v_fmaak_f32 v13, v12, v13, 0x3d29fb3f
	;; [unrolled: 1-line block ×7, first 2 shown]
	v_mul_f32_e32 v12, v12, v13
	v_fmac_f32_e32 v6, v6, v12
	v_sub_f32_e32 v12, 0x3fc90fdb, v6
	v_cndmask_b32_e32 v6, v6, v12, vcc_lo
	v_bfi_b32 v2, 0x7fffffff, v6, v2
	v_bfe_u32 v6, v2, 16, 1
	v_cmp_o_f32_e32 vcc_lo, v2, v2
	v_add3_u32 v2, v2, v6, 0x7fff
	v_mov_b32_e32 v6, 0x7fc0
	v_cndmask_b32_sdwa v6, v6, v2, vcc_lo dst_sel:DWORD dst_unused:UNUSED_PAD src0_sel:DWORD src1_sel:WORD_1
	s_or_b32 exec_lo, exec_lo, s1
	s_and_saveexec_b32 s1, s0
	s_xor_b32 s0, exec_lo, s1
	s_cbranch_execnz .LBB26_45
.LBB26_33:
	s_or_b32 exec_lo, exec_lo, s0
	s_mov_b32 s0, exec_lo
	v_cmpx_gt_i32_e64 s7, v0
	s_cbranch_execz .LBB26_46
.LBB26_34:
	v_add_nc_u32_e32 v1, s12, v0
	v_mov_b32_e32 v2, 0
	v_add_nc_u32_e32 v0, 0x100, v0
	v_lshlrev_b64 v[1:2], 1, v[1:2]
	v_add_co_u32 v1, vcc_lo, s8, v1
	v_add_co_ci_u32_e64 v2, null, s9, v2, vcc_lo
	global_store_short v[1:2], v8, off
	s_or_b32 exec_lo, exec_lo, s0
	s_mov_b32 s0, exec_lo
	v_cmpx_gt_i32_e64 s7, v0
	s_cbranch_execnz .LBB26_47
.LBB26_35:
	s_or_b32 exec_lo, exec_lo, s0
	s_mov_b32 s0, exec_lo
	v_cmpx_gt_i32_e64 s7, v0
	s_cbranch_execz .LBB26_48
.LBB26_36:
	v_add_nc_u32_e32 v1, s12, v0
	v_mov_b32_e32 v2, 0
	v_add_nc_u32_e32 v0, 0x100, v0
	v_lshlrev_b64 v[1:2], 1, v[1:2]
	v_add_co_u32 v1, vcc_lo, s8, v1
	v_add_co_ci_u32_e64 v2, null, s9, v2, vcc_lo
	global_store_short v[1:2], v11, off
	s_or_b32 exec_lo, exec_lo, s0
	s_mov_b32 s0, exec_lo
	v_cmpx_gt_i32_e64 s7, v0
	s_cbranch_execnz .LBB26_49
.LBB26_37:
	s_or_b32 exec_lo, exec_lo, s0
	s_mov_b32 s0, exec_lo
	v_cmpx_gt_i32_e64 s7, v0
	s_cbranch_execz .LBB26_50
.LBB26_38:
	v_add_nc_u32_e32 v1, s12, v0
	v_mov_b32_e32 v2, 0
	v_add_nc_u32_e32 v0, 0x100, v0
	v_lshlrev_b64 v[1:2], 1, v[1:2]
	v_add_co_u32 v1, vcc_lo, s8, v1
	v_add_co_ci_u32_e64 v2, null, s9, v2, vcc_lo
	global_store_short v[1:2], v9, off
	s_or_b32 exec_lo, exec_lo, s0
	s_mov_b32 s0, exec_lo
	v_cmpx_gt_i32_e64 s7, v0
	s_cbranch_execnz .LBB26_51
.LBB26_39:
	s_or_b32 exec_lo, exec_lo, s0
	s_mov_b32 s0, exec_lo
	v_cmpx_gt_i32_e64 s7, v0
	s_cbranch_execz .LBB26_41
.LBB26_40:
	v_add_nc_u32_e32 v0, s12, v0
	v_mov_b32_e32 v1, 0
	v_lshlrev_b64 v[0:1], 1, v[0:1]
	v_add_co_u32 v0, vcc_lo, s8, v0
	v_add_co_ci_u32_e64 v1, null, s9, v1, vcc_lo
	global_store_short v[0:1], v6, off
.LBB26_41:
	s_endpgm
.LBB26_42:
	s_or_b32 exec_lo, exec_lo, s1
	s_mov_b32 s1, exec_lo
	v_cmpx_gt_i32_e64 s7, v5
	s_cbranch_execz .LBB26_17
.LBB26_43:
	v_add_nc_u32_e32 v12, s12, v5
	v_mov_b32_e32 v13, 0
	v_lshlrev_b64 v[12:13], 1, v[12:13]
	v_add_co_u32 v12, vcc_lo, s10, v12
	v_add_co_ci_u32_e64 v13, null, s11, v13, vcc_lo
	global_load_ushort v2, v[12:13], off
	s_waitcnt vmcnt(0)
	v_lshlrev_b32_e32 v2, 16, v2
	s_or_b32 exec_lo, exec_lo, s1
                                        ; implicit-def: $vgpr5
	s_and_saveexec_b32 s1, s0
	s_cbranch_execz .LBB26_19
	s_branch .LBB26_18
.LBB26_44:
	s_or_b32 exec_lo, exec_lo, s1
	s_and_saveexec_b32 s1, s0
	s_xor_b32 s0, exec_lo, s1
	s_cbranch_execz .LBB26_33
.LBB26_45:
	v_mov_b32_e32 v2, 0
	v_lshlrev_b64 v[0:1], 1, v[1:2]
	v_add_co_u32 v12, vcc_lo, s8, v0
	v_add_co_ci_u32_e64 v13, null, s9, v1, vcc_lo
	v_mov_b32_e32 v0, v3
	global_store_short v[12:13], v5, off
	s_or_b32 exec_lo, exec_lo, s0
	s_mov_b32 s0, exec_lo
	v_cmpx_gt_i32_e64 s7, v0
	s_cbranch_execnz .LBB26_34
.LBB26_46:
	s_or_b32 exec_lo, exec_lo, s0
	s_mov_b32 s0, exec_lo
	v_cmpx_gt_i32_e64 s7, v0
	s_cbranch_execz .LBB26_35
.LBB26_47:
	v_add_nc_u32_e32 v1, s12, v0
	v_mov_b32_e32 v2, 0
	v_add_nc_u32_e32 v0, 0x100, v0
	v_lshlrev_b64 v[1:2], 1, v[1:2]
	v_add_co_u32 v1, vcc_lo, s8, v1
	v_add_co_ci_u32_e64 v2, null, s9, v2, vcc_lo
	global_store_short v[1:2], v10, off
	s_or_b32 exec_lo, exec_lo, s0
	s_mov_b32 s0, exec_lo
	v_cmpx_gt_i32_e64 s7, v0
	s_cbranch_execnz .LBB26_36
.LBB26_48:
	s_or_b32 exec_lo, exec_lo, s0
	s_mov_b32 s0, exec_lo
	v_cmpx_gt_i32_e64 s7, v0
	s_cbranch_execz .LBB26_37
.LBB26_49:
	v_add_nc_u32_e32 v1, s12, v0
	v_mov_b32_e32 v2, 0
	v_add_nc_u32_e32 v0, 0x100, v0
	v_lshlrev_b64 v[1:2], 1, v[1:2]
	v_add_co_u32 v1, vcc_lo, s8, v1
	v_add_co_ci_u32_e64 v2, null, s9, v2, vcc_lo
	global_store_short v[1:2], v7, off
	s_or_b32 exec_lo, exec_lo, s0
	s_mov_b32 s0, exec_lo
	v_cmpx_gt_i32_e64 s7, v0
	s_cbranch_execnz .LBB26_38
.LBB26_50:
	s_or_b32 exec_lo, exec_lo, s0
	s_mov_b32 s0, exec_lo
	v_cmpx_gt_i32_e64 s7, v0
	s_cbranch_execz .LBB26_39
.LBB26_51:
	v_add_nc_u32_e32 v1, s12, v0
	v_mov_b32_e32 v2, 0
	v_add_nc_u32_e32 v0, 0x100, v0
	v_lshlrev_b64 v[1:2], 1, v[1:2]
	v_add_co_u32 v1, vcc_lo, s8, v1
	v_add_co_ci_u32_e64 v2, null, s9, v2, vcc_lo
	global_store_short v[1:2], v4, off
	s_or_b32 exec_lo, exec_lo, s0
	s_mov_b32 s0, exec_lo
	v_cmpx_gt_i32_e64 s7, v0
	s_cbranch_execnz .LBB26_40
	s_branch .LBB26_41
	.section	.rodata,"a",@progbits
	.p2align	6, 0x0
	.amdhsa_kernel _ZN2at6native29vectorized_elementwise_kernelILi4EZZZNS0_16atan_kernel_cudaERNS_18TensorIteratorBaseEENKUlvE0_clEvENKUlvE2_clEvEUlN3c108BFloat16EE_St5arrayIPcLm2EEEEviT0_T1_
		.amdhsa_group_segment_fixed_size 0
		.amdhsa_private_segment_fixed_size 0
		.amdhsa_kernarg_size 24
		.amdhsa_user_sgpr_count 6
		.amdhsa_user_sgpr_private_segment_buffer 1
		.amdhsa_user_sgpr_dispatch_ptr 0
		.amdhsa_user_sgpr_queue_ptr 0
		.amdhsa_user_sgpr_kernarg_segment_ptr 1
		.amdhsa_user_sgpr_dispatch_id 0
		.amdhsa_user_sgpr_flat_scratch_init 0
		.amdhsa_user_sgpr_private_segment_size 0
		.amdhsa_wavefront_size32 1
		.amdhsa_uses_dynamic_stack 0
		.amdhsa_system_sgpr_private_segment_wavefront_offset 0
		.amdhsa_system_sgpr_workgroup_id_x 1
		.amdhsa_system_sgpr_workgroup_id_y 0
		.amdhsa_system_sgpr_workgroup_id_z 0
		.amdhsa_system_sgpr_workgroup_info 0
		.amdhsa_system_vgpr_workitem_id 0
		.amdhsa_next_free_vgpr 34
		.amdhsa_next_free_sgpr 16
		.amdhsa_reserve_vcc 1
		.amdhsa_reserve_flat_scratch 0
		.amdhsa_float_round_mode_32 0
		.amdhsa_float_round_mode_16_64 0
		.amdhsa_float_denorm_mode_32 3
		.amdhsa_float_denorm_mode_16_64 3
		.amdhsa_dx10_clamp 1
		.amdhsa_ieee_mode 1
		.amdhsa_fp16_overflow 0
		.amdhsa_workgroup_processor_mode 1
		.amdhsa_memory_ordered 1
		.amdhsa_forward_progress 1
		.amdhsa_shared_vgpr_count 0
		.amdhsa_exception_fp_ieee_invalid_op 0
		.amdhsa_exception_fp_denorm_src 0
		.amdhsa_exception_fp_ieee_div_zero 0
		.amdhsa_exception_fp_ieee_overflow 0
		.amdhsa_exception_fp_ieee_underflow 0
		.amdhsa_exception_fp_ieee_inexact 0
		.amdhsa_exception_int_div_zero 0
	.end_amdhsa_kernel
	.section	.text._ZN2at6native29vectorized_elementwise_kernelILi4EZZZNS0_16atan_kernel_cudaERNS_18TensorIteratorBaseEENKUlvE0_clEvENKUlvE2_clEvEUlN3c108BFloat16EE_St5arrayIPcLm2EEEEviT0_T1_,"axG",@progbits,_ZN2at6native29vectorized_elementwise_kernelILi4EZZZNS0_16atan_kernel_cudaERNS_18TensorIteratorBaseEENKUlvE0_clEvENKUlvE2_clEvEUlN3c108BFloat16EE_St5arrayIPcLm2EEEEviT0_T1_,comdat
.Lfunc_end26:
	.size	_ZN2at6native29vectorized_elementwise_kernelILi4EZZZNS0_16atan_kernel_cudaERNS_18TensorIteratorBaseEENKUlvE0_clEvENKUlvE2_clEvEUlN3c108BFloat16EE_St5arrayIPcLm2EEEEviT0_T1_, .Lfunc_end26-_ZN2at6native29vectorized_elementwise_kernelILi4EZZZNS0_16atan_kernel_cudaERNS_18TensorIteratorBaseEENKUlvE0_clEvENKUlvE2_clEvEUlN3c108BFloat16EE_St5arrayIPcLm2EEEEviT0_T1_
                                        ; -- End function
	.set _ZN2at6native29vectorized_elementwise_kernelILi4EZZZNS0_16atan_kernel_cudaERNS_18TensorIteratorBaseEENKUlvE0_clEvENKUlvE2_clEvEUlN3c108BFloat16EE_St5arrayIPcLm2EEEEviT0_T1_.num_vgpr, 34
	.set _ZN2at6native29vectorized_elementwise_kernelILi4EZZZNS0_16atan_kernel_cudaERNS_18TensorIteratorBaseEENKUlvE0_clEvENKUlvE2_clEvEUlN3c108BFloat16EE_St5arrayIPcLm2EEEEviT0_T1_.num_agpr, 0
	.set _ZN2at6native29vectorized_elementwise_kernelILi4EZZZNS0_16atan_kernel_cudaERNS_18TensorIteratorBaseEENKUlvE0_clEvENKUlvE2_clEvEUlN3c108BFloat16EE_St5arrayIPcLm2EEEEviT0_T1_.numbered_sgpr, 16
	.set _ZN2at6native29vectorized_elementwise_kernelILi4EZZZNS0_16atan_kernel_cudaERNS_18TensorIteratorBaseEENKUlvE0_clEvENKUlvE2_clEvEUlN3c108BFloat16EE_St5arrayIPcLm2EEEEviT0_T1_.num_named_barrier, 0
	.set _ZN2at6native29vectorized_elementwise_kernelILi4EZZZNS0_16atan_kernel_cudaERNS_18TensorIteratorBaseEENKUlvE0_clEvENKUlvE2_clEvEUlN3c108BFloat16EE_St5arrayIPcLm2EEEEviT0_T1_.private_seg_size, 0
	.set _ZN2at6native29vectorized_elementwise_kernelILi4EZZZNS0_16atan_kernel_cudaERNS_18TensorIteratorBaseEENKUlvE0_clEvENKUlvE2_clEvEUlN3c108BFloat16EE_St5arrayIPcLm2EEEEviT0_T1_.uses_vcc, 1
	.set _ZN2at6native29vectorized_elementwise_kernelILi4EZZZNS0_16atan_kernel_cudaERNS_18TensorIteratorBaseEENKUlvE0_clEvENKUlvE2_clEvEUlN3c108BFloat16EE_St5arrayIPcLm2EEEEviT0_T1_.uses_flat_scratch, 0
	.set _ZN2at6native29vectorized_elementwise_kernelILi4EZZZNS0_16atan_kernel_cudaERNS_18TensorIteratorBaseEENKUlvE0_clEvENKUlvE2_clEvEUlN3c108BFloat16EE_St5arrayIPcLm2EEEEviT0_T1_.has_dyn_sized_stack, 0
	.set _ZN2at6native29vectorized_elementwise_kernelILi4EZZZNS0_16atan_kernel_cudaERNS_18TensorIteratorBaseEENKUlvE0_clEvENKUlvE2_clEvEUlN3c108BFloat16EE_St5arrayIPcLm2EEEEviT0_T1_.has_recursion, 0
	.set _ZN2at6native29vectorized_elementwise_kernelILi4EZZZNS0_16atan_kernel_cudaERNS_18TensorIteratorBaseEENKUlvE0_clEvENKUlvE2_clEvEUlN3c108BFloat16EE_St5arrayIPcLm2EEEEviT0_T1_.has_indirect_call, 0
	.section	.AMDGPU.csdata,"",@progbits
; Kernel info:
; codeLenInByte = 4404
; TotalNumSgprs: 18
; NumVgprs: 34
; ScratchSize: 0
; MemoryBound: 0
; FloatMode: 240
; IeeeMode: 1
; LDSByteSize: 0 bytes/workgroup (compile time only)
; SGPRBlocks: 0
; VGPRBlocks: 4
; NumSGPRsForWavesPerEU: 18
; NumVGPRsForWavesPerEU: 34
; Occupancy: 16
; WaveLimiterHint : 1
; COMPUTE_PGM_RSRC2:SCRATCH_EN: 0
; COMPUTE_PGM_RSRC2:USER_SGPR: 6
; COMPUTE_PGM_RSRC2:TRAP_HANDLER: 0
; COMPUTE_PGM_RSRC2:TGID_X_EN: 1
; COMPUTE_PGM_RSRC2:TGID_Y_EN: 0
; COMPUTE_PGM_RSRC2:TGID_Z_EN: 0
; COMPUTE_PGM_RSRC2:TIDIG_COMP_CNT: 0
	.section	.text._ZN2at6native29vectorized_elementwise_kernelILi2EZZZNS0_16atan_kernel_cudaERNS_18TensorIteratorBaseEENKUlvE0_clEvENKUlvE2_clEvEUlN3c108BFloat16EE_St5arrayIPcLm2EEEEviT0_T1_,"axG",@progbits,_ZN2at6native29vectorized_elementwise_kernelILi2EZZZNS0_16atan_kernel_cudaERNS_18TensorIteratorBaseEENKUlvE0_clEvENKUlvE2_clEvEUlN3c108BFloat16EE_St5arrayIPcLm2EEEEviT0_T1_,comdat
	.globl	_ZN2at6native29vectorized_elementwise_kernelILi2EZZZNS0_16atan_kernel_cudaERNS_18TensorIteratorBaseEENKUlvE0_clEvENKUlvE2_clEvEUlN3c108BFloat16EE_St5arrayIPcLm2EEEEviT0_T1_ ; -- Begin function _ZN2at6native29vectorized_elementwise_kernelILi2EZZZNS0_16atan_kernel_cudaERNS_18TensorIteratorBaseEENKUlvE0_clEvENKUlvE2_clEvEUlN3c108BFloat16EE_St5arrayIPcLm2EEEEviT0_T1_
	.p2align	8
	.type	_ZN2at6native29vectorized_elementwise_kernelILi2EZZZNS0_16atan_kernel_cudaERNS_18TensorIteratorBaseEENKUlvE0_clEvENKUlvE2_clEvEUlN3c108BFloat16EE_St5arrayIPcLm2EEEEviT0_T1_,@function
_ZN2at6native29vectorized_elementwise_kernelILi2EZZZNS0_16atan_kernel_cudaERNS_18TensorIteratorBaseEENKUlvE0_clEvENKUlvE2_clEvEUlN3c108BFloat16EE_St5arrayIPcLm2EEEEviT0_T1_: ; @_ZN2at6native29vectorized_elementwise_kernelILi2EZZZNS0_16atan_kernel_cudaERNS_18TensorIteratorBaseEENKUlvE0_clEvENKUlvE2_clEvEUlN3c108BFloat16EE_St5arrayIPcLm2EEEEviT0_T1_
; %bb.0:
	s_clause 0x1
	s_load_dword s0, s[4:5], 0x0
	s_load_dwordx4 s[8:11], s[4:5], 0x8
	s_lshl_b32 s12, s6, 11
	s_waitcnt lgkmcnt(0)
	s_sub_i32 s7, s0, s12
	s_mov_b32 s0, -1
	s_cmpk_gt_i32 s7, 0x7ff
	s_cbranch_scc0 .LBB27_2
; %bb.1:
	s_ashr_i32 s13, s12, 31
	v_lshlrev_b32_e32 v3, 2, v0
	s_lshl_b64 s[0:1], s[12:13], 1
	s_mov_b32 s13, 0x3b2d2a58
	s_add_u32 s2, s10, s0
	s_addc_u32 s3, s11, s1
	v_add_co_u32 v1, s4, s2, v3
	s_clause 0x1
	global_load_dword v4, v3, s[2:3]
	global_load_dword v5, v3, s[2:3] offset:1024
	v_add_co_ci_u32_e64 v2, null, s3, 0, s4
	v_add_co_u32 v1, vcc_lo, 0x800, v1
	s_add_u32 s14, s8, s0
	v_add_co_ci_u32_e64 v2, null, 0, v2, vcc_lo
	s_addc_u32 s15, s9, s1
	s_clause 0x1
	global_load_dword v6, v[1:2], off
	global_load_dword v1, v[1:2], off offset:1024
	v_add_co_u32 v9, s0, s14, v3
	v_add_co_ci_u32_e64 v10, null, s15, 0, s0
	s_waitcnt vmcnt(3)
	v_lshlrev_b32_e32 v2, 16, v4
	v_and_b32_e32 v4, 0xffff0000, v4
	s_waitcnt vmcnt(2)
	v_lshlrev_b32_e32 v7, 16, v5
	v_and_b32_e32 v5, 0xffff0000, v5
	v_rcp_f32_e64 v8, |v2|
	v_rcp_f32_e64 v11, |v4|
	;; [unrolled: 1-line block ×3, first 2 shown]
	v_cmp_gt_f32_e64 vcc_lo, |v2|, 1.0
	v_rcp_f32_e64 v13, |v5|
	v_cmp_gt_f32_e64 s0, |v4|, 1.0
	s_waitcnt vmcnt(1)
	v_lshlrev_b32_e32 v14, 16, v6
	v_and_b32_e32 v6, 0xffff0000, v6
	s_waitcnt vmcnt(0)
	v_lshlrev_b32_e32 v15, 16, v1
	v_cmp_gt_f32_e64 s1, |v7|, 1.0
	v_cndmask_b32_e64 v8, |v2|, v8, vcc_lo
	v_and_b32_e32 v1, 0xffff0000, v1
	v_cndmask_b32_e64 v11, |v4|, v11, s0
	v_cmp_gt_f32_e64 s2, |v5|, 1.0
	v_cndmask_b32_e64 v12, |v7|, v12, s1
	v_rcp_f32_e64 v16, |v14|
	v_rcp_f32_e64 v17, |v6|
	;; [unrolled: 1-line block ×3, first 2 shown]
	v_mul_f32_e32 v19, v8, v8
	v_cndmask_b32_e64 v13, |v5|, v13, s2
	v_mul_f32_e32 v20, v11, v11
	v_mul_f32_e32 v21, v12, v12
	v_rcp_f32_e64 v23, |v1|
	v_fmaak_f32 v24, s13, v19, 0xbc7a590c
	v_cmp_gt_f32_e64 s3, |v14|, 1.0
	v_cmp_gt_f32_e64 s4, |v6|, 1.0
	;; [unrolled: 1-line block ×3, first 2 shown]
	v_mul_f32_e32 v22, v13, v13
	v_fmaak_f32 v25, s13, v20, 0xbc7a590c
	v_fmaak_f32 v26, s13, v21, 0xbc7a590c
	v_cndmask_b32_e64 v16, |v14|, v16, s3
	v_cndmask_b32_e64 v17, |v6|, v17, s4
	;; [unrolled: 1-line block ×3, first 2 shown]
	v_cmp_gt_f32_e64 s6, |v1|, 1.0
	v_fmaak_f32 v24, v19, v24, 0x3d29fb3f
	v_fmaak_f32 v27, s13, v22, 0xbc7a590c
	;; [unrolled: 1-line block ×4, first 2 shown]
	v_cndmask_b32_e64 v23, |v1|, v23, s6
	v_mul_f32_e32 v28, v16, v16
	v_mul_f32_e32 v29, v17, v17
	;; [unrolled: 1-line block ×3, first 2 shown]
	v_fmaak_f32 v24, v19, v24, 0xbd97d4d7
	v_fmaak_f32 v27, v22, v27, 0x3d29fb3f
	v_mul_f32_e32 v31, v23, v23
	v_fmaak_f32 v25, v20, v25, 0xbd97d4d7
	v_fmaak_f32 v26, v21, v26, 0xbd97d4d7
	;; [unrolled: 1-line block ×37, first 2 shown]
	v_mul_f32_e32 v19, v19, v24
	v_fmaak_f32 v27, v22, v27, 0xbeaaaa62
	v_fmaak_f32 v35, v31, v35, 0xbe1160e6
	v_mul_f32_e32 v20, v20, v25
	v_mul_f32_e32 v21, v21, v26
	v_fmaak_f32 v24, v28, v32, 0x3e4cb8bf
	v_fmaak_f32 v25, v29, v33, 0x3e4cb8bf
	;; [unrolled: 1-line block ×3, first 2 shown]
	v_fmac_f32_e32 v8, v8, v19
	v_mul_f32_e32 v22, v22, v27
	v_fmaak_f32 v27, v31, v35, 0x3e4cb8bf
	v_fmac_f32_e32 v11, v11, v20
	v_fmac_f32_e32 v12, v12, v21
	v_fmaak_f32 v19, v28, v24, 0xbeaaaa62
	v_fmaak_f32 v20, v29, v25, 0xbeaaaa62
	;; [unrolled: 1-line block ×3, first 2 shown]
	v_sub_f32_e32 v24, 0x3fc90fdb, v8
	v_fmac_f32_e32 v13, v13, v22
	v_fmaak_f32 v22, v31, v27, 0xbeaaaa62
	v_sub_f32_e32 v25, 0x3fc90fdb, v11
	v_sub_f32_e32 v26, 0x3fc90fdb, v12
	v_mul_f32_e32 v19, v28, v19
	v_mul_f32_e32 v20, v29, v20
	v_mul_f32_e32 v21, v30, v21
	v_cndmask_b32_e32 v8, v8, v24, vcc_lo
	v_sub_f32_e32 v27, 0x3fc90fdb, v13
	v_mul_f32_e32 v22, v31, v22
	v_cndmask_b32_e64 v11, v11, v25, s0
	v_cndmask_b32_e64 v12, v12, v26, s1
	v_fmac_f32_e32 v16, v16, v19
	v_fmac_f32_e32 v17, v17, v20
	;; [unrolled: 1-line block ×3, first 2 shown]
	v_bfi_b32 v2, 0x7fffffff, v8, v2
	v_cndmask_b32_e64 v13, v13, v27, s2
	v_fmac_f32_e32 v23, v23, v22
	v_bfi_b32 v4, 0x7fffffff, v11, v4
	v_bfi_b32 v7, 0x7fffffff, v12, v7
	v_sub_f32_e32 v8, 0x3fc90fdb, v16
	v_sub_f32_e32 v11, 0x3fc90fdb, v17
	v_sub_f32_e32 v12, 0x3fc90fdb, v18
	v_bfe_u32 v19, v2, 16, 1
	v_bfi_b32 v5, 0x7fffffff, v13, v5
	v_sub_f32_e32 v13, 0x3fc90fdb, v23
	v_bfe_u32 v20, v4, 16, 1
	v_cndmask_b32_e64 v8, v16, v8, s3
	v_cndmask_b32_e64 v11, v17, v11, s4
	;; [unrolled: 1-line block ×3, first 2 shown]
	v_add3_u32 v16, v2, v19, 0x7fff
	v_bfe_u32 v21, v7, 16, 1
	v_cndmask_b32_e64 v13, v23, v13, s6
	v_add3_u32 v17, v4, v20, 0x7fff
	v_bfi_b32 v6, 0x7fffffff, v11, v6
	v_bfi_b32 v11, 0x7fffffff, v12, v15
	v_lshrrev_b32_e32 v12, 16, v16
	v_cmp_o_f32_e32 vcc_lo, v2, v2
	v_bfe_u32 v22, v5, 16, 1
	v_add3_u32 v18, v7, v21, 0x7fff
	v_bfi_b32 v8, 0x7fffffff, v8, v14
	v_bfi_b32 v1, 0x7fffffff, v13, v1
	v_and_b32_e32 v13, 0xffff0000, v17
	v_cndmask_b32_e32 v12, 0x7fc0, v12, vcc_lo
	v_cmp_o_f32_e32 vcc_lo, v4, v4
	v_add3_u32 v19, v5, v22, 0x7fff
	v_lshrrev_b32_e32 v14, 16, v18
	v_bfe_u32 v16, v8, 16, 1
	v_bfe_u32 v17, v6, 16, 1
	v_cndmask_b32_e32 v4, 0x7fc00000, v13, vcc_lo
	v_cmp_o_f32_e32 vcc_lo, v7, v7
	v_and_b32_e32 v15, 0xffff0000, v19
	v_add3_u32 v2, v8, v16, 0x7fff
	v_bfe_u32 v18, v11, 16, 1
	v_add3_u32 v13, v6, v17, 0x7fff
	v_cndmask_b32_e32 v7, 0x7fc0, v14, vcc_lo
	v_cmp_o_f32_e32 vcc_lo, v5, v5
	v_lshrrev_b32_e32 v2, 16, v2
	v_bfe_u32 v19, v1, 16, 1
	v_add3_u32 v14, v11, v18, 0x7fff
	v_and_b32_e32 v13, 0xffff0000, v13
	v_cndmask_b32_e32 v5, 0x7fc00000, v15, vcc_lo
	v_cmp_o_f32_e32 vcc_lo, v8, v8
	v_add3_u32 v16, v1, v19, 0x7fff
	v_lshrrev_b32_e32 v14, 16, v14
	v_or_b32_e32 v4, v12, v4
	v_or_b32_e32 v5, v7, v5
	v_cndmask_b32_e32 v8, 0x7fc0, v2, vcc_lo
	v_cmp_o_f32_e32 vcc_lo, v6, v6
	v_and_b32_e32 v15, 0xffff0000, v16
	s_mov_b32 s0, 0
	v_cndmask_b32_e32 v6, 0x7fc00000, v13, vcc_lo
	v_cmp_o_f32_e32 vcc_lo, v11, v11
	v_or_b32_e32 v6, v8, v6
	v_cndmask_b32_e32 v11, 0x7fc0, v14, vcc_lo
	v_cmp_o_f32_e32 vcc_lo, v1, v1
	v_cndmask_b32_e32 v13, 0x7fc00000, v15, vcc_lo
	v_add_co_u32 v1, vcc_lo, 0x800, v9
	v_add_co_ci_u32_e64 v2, null, 0, v10, vcc_lo
	v_or_b32_e32 v7, v11, v13
	global_store_dword v3, v4, s[14:15]
	global_store_dword v3, v5, s[14:15] offset:1024
	global_store_dword v[1:2], v6, off
	global_store_dword v[1:2], v7, off offset:1024
.LBB27_2:
	s_andn2_b32 vcc_lo, exec_lo, s0
	s_cbranch_vccnz .LBB27_41
; %bb.3:
	v_cmp_gt_i32_e64 s0, s7, v0
	v_mov_b32_e32 v10, 0
	v_or_b32_e32 v1, s12, v0
	v_or_b32_e32 v3, 0x100, v0
	v_mov_b32_e32 v8, 0
	v_mov_b32_e32 v5, v0
	s_and_saveexec_b32 s1, s0
	s_cbranch_execz .LBB27_5
; %bb.4:
	v_mov_b32_e32 v2, 0
	v_lshlrev_b64 v[4:5], 1, v[1:2]
	v_add_co_u32 v4, vcc_lo, s10, v4
	v_add_co_ci_u32_e64 v5, null, s11, v5, vcc_lo
	global_load_ushort v2, v[4:5], off
	v_or_b32_e32 v5, 0x100, v0
	s_waitcnt vmcnt(0)
	v_lshlrev_b32_e32 v8, 16, v2
.LBB27_5:
	s_or_b32 exec_lo, exec_lo, s1
	s_mov_b32 s1, exec_lo
	v_cmpx_gt_i32_e64 s7, v5
	s_cbranch_execz .LBB27_7
; %bb.6:
	v_add_nc_u32_e32 v6, s12, v5
	v_mov_b32_e32 v7, 0
	v_add_nc_u32_e32 v5, 0x100, v5
	v_lshlrev_b64 v[6:7], 1, v[6:7]
	v_add_co_u32 v6, vcc_lo, s10, v6
	v_add_co_ci_u32_e64 v7, null, s11, v7, vcc_lo
	global_load_ushort v2, v[6:7], off
	s_waitcnt vmcnt(0)
	v_lshlrev_b32_e32 v10, 16, v2
.LBB27_7:
	s_or_b32 exec_lo, exec_lo, s1
	v_mov_b32_e32 v7, 0
	v_mov_b32_e32 v11, 0
	s_mov_b32 s1, exec_lo
	v_cmpx_gt_i32_e64 s7, v5
	s_cbranch_execz .LBB27_9
; %bb.8:
	v_add_nc_u32_e32 v11, s12, v5
	v_mov_b32_e32 v12, 0
	v_add_nc_u32_e32 v5, 0x100, v5
	v_lshlrev_b64 v[11:12], 1, v[11:12]
	v_add_co_u32 v11, vcc_lo, s10, v11
	v_add_co_ci_u32_e64 v12, null, s11, v12, vcc_lo
	global_load_ushort v2, v[11:12], off
	s_waitcnt vmcnt(0)
	v_lshlrev_b32_e32 v11, 16, v2
.LBB27_9:
	s_or_b32 exec_lo, exec_lo, s1
	s_mov_b32 s1, exec_lo
	v_cmpx_gt_i32_e64 s7, v5
	s_cbranch_execz .LBB27_11
; %bb.10:
	v_add_nc_u32_e32 v6, s12, v5
	v_mov_b32_e32 v7, 0
	v_add_nc_u32_e32 v5, 0x100, v5
	v_lshlrev_b64 v[6:7], 1, v[6:7]
	v_add_co_u32 v6, vcc_lo, s10, v6
	v_add_co_ci_u32_e64 v7, null, s11, v7, vcc_lo
	global_load_ushort v2, v[6:7], off
	s_waitcnt vmcnt(0)
	v_lshlrev_b32_e32 v7, 16, v2
.LBB27_11:
	s_or_b32 exec_lo, exec_lo, s1
	v_mov_b32_e32 v4, 0
	v_mov_b32_e32 v9, 0
	s_mov_b32 s1, exec_lo
	v_cmpx_gt_i32_e64 s7, v5
	s_cbranch_execz .LBB27_13
; %bb.12:
	v_add_nc_u32_e32 v12, s12, v5
	v_mov_b32_e32 v13, 0
	v_add_nc_u32_e32 v5, 0x100, v5
	v_lshlrev_b64 v[12:13], 1, v[12:13]
	v_add_co_u32 v12, vcc_lo, s10, v12
	v_add_co_ci_u32_e64 v13, null, s11, v13, vcc_lo
	global_load_ushort v2, v[12:13], off
	s_waitcnt vmcnt(0)
	v_lshlrev_b32_e32 v9, 16, v2
.LBB27_13:
	s_or_b32 exec_lo, exec_lo, s1
	s_mov_b32 s1, exec_lo
	v_cmpx_gt_i32_e64 s7, v5
	s_cbranch_execz .LBB27_15
; %bb.14:
	v_add_nc_u32_e32 v12, s12, v5
	v_mov_b32_e32 v13, 0
	v_add_nc_u32_e32 v5, 0x100, v5
	v_lshlrev_b64 v[12:13], 1, v[12:13]
	v_add_co_u32 v12, vcc_lo, s10, v12
	v_add_co_ci_u32_e64 v13, null, s11, v13, vcc_lo
	global_load_ushort v2, v[12:13], off
	s_waitcnt vmcnt(0)
	v_lshlrev_b32_e32 v4, 16, v2
.LBB27_15:
	s_or_b32 exec_lo, exec_lo, s1
	v_mov_b32_e32 v2, 0
	v_mov_b32_e32 v6, 0
	s_mov_b32 s1, exec_lo
	v_cmpx_gt_i32_e64 s7, v5
	s_cbranch_execz .LBB27_42
; %bb.16:
	v_add_nc_u32_e32 v12, s12, v5
	v_mov_b32_e32 v13, 0
	v_add_nc_u32_e32 v5, 0x100, v5
	v_lshlrev_b64 v[12:13], 1, v[12:13]
	v_add_co_u32 v12, vcc_lo, s10, v12
	v_add_co_ci_u32_e64 v13, null, s11, v13, vcc_lo
	global_load_ushort v6, v[12:13], off
	s_waitcnt vmcnt(0)
	v_lshlrev_b32_e32 v6, 16, v6
	s_or_b32 exec_lo, exec_lo, s1
	s_mov_b32 s1, exec_lo
	v_cmpx_gt_i32_e64 s7, v5
	s_cbranch_execnz .LBB27_43
.LBB27_17:
	s_or_b32 exec_lo, exec_lo, s1
                                        ; implicit-def: $vgpr5
	s_and_saveexec_b32 s1, s0
	s_cbranch_execz .LBB27_19
.LBB27_18:
	v_rcp_f32_e64 v5, |v8|
	v_cmp_gt_f32_e64 vcc_lo, |v8|, 1.0
	s_mov_b32 s2, 0x3b2d2a58
	v_cndmask_b32_e64 v5, |v8|, v5, vcc_lo
	v_mul_f32_e32 v12, v5, v5
	v_fmaak_f32 v13, s2, v12, 0xbc7a590c
	v_fmaak_f32 v13, v12, v13, 0x3d29fb3f
	;; [unrolled: 1-line block ×7, first 2 shown]
	v_mul_f32_e32 v12, v12, v13
	v_fmac_f32_e32 v5, v5, v12
	v_sub_f32_e32 v12, 0x3fc90fdb, v5
	v_cndmask_b32_e32 v5, v5, v12, vcc_lo
	v_bfi_b32 v5, 0x7fffffff, v5, v8
	v_bfe_u32 v8, v5, 16, 1
	v_cmp_o_f32_e32 vcc_lo, v5, v5
	v_add3_u32 v5, v5, v8, 0x7fff
	v_mov_b32_e32 v8, 0x7fc0
	v_cndmask_b32_sdwa v5, v8, v5, vcc_lo dst_sel:DWORD dst_unused:UNUSED_PAD src0_sel:DWORD src1_sel:WORD_1
.LBB27_19:
	s_or_b32 exec_lo, exec_lo, s1
	s_mov_b32 s1, exec_lo
                                        ; implicit-def: $vgpr8
	v_cmpx_gt_i32_e64 s7, v3
	s_cbranch_execz .LBB27_21
; %bb.20:
	v_rcp_f32_e64 v8, |v10|
	v_cmp_gt_f32_e64 vcc_lo, |v10|, 1.0
	s_mov_b32 s2, 0x3b2d2a58
	v_cndmask_b32_e64 v8, |v10|, v8, vcc_lo
	v_mul_f32_e32 v12, v8, v8
	v_fmaak_f32 v13, s2, v12, 0xbc7a590c
	v_fmaak_f32 v13, v12, v13, 0x3d29fb3f
	;; [unrolled: 1-line block ×7, first 2 shown]
	v_mul_f32_e32 v12, v12, v13
	v_fmac_f32_e32 v8, v8, v12
	v_sub_f32_e32 v12, 0x3fc90fdb, v8
	v_cndmask_b32_e32 v8, v8, v12, vcc_lo
	v_bfi_b32 v8, 0x7fffffff, v8, v10
	v_bfe_u32 v10, v8, 16, 1
	v_cmp_o_f32_e32 vcc_lo, v8, v8
	v_add3_u32 v8, v8, v10, 0x7fff
	v_mov_b32_e32 v10, 0x7fc0
	v_cndmask_b32_sdwa v8, v10, v8, vcc_lo dst_sel:DWORD dst_unused:UNUSED_PAD src0_sel:DWORD src1_sel:WORD_1
.LBB27_21:
	s_or_b32 exec_lo, exec_lo, s1
	v_or_b32_e32 v10, 0x200, v0
	v_cmp_gt_i32_e32 vcc_lo, s7, v10
                                        ; implicit-def: $vgpr10
	s_and_saveexec_b32 s1, vcc_lo
	s_cbranch_execz .LBB27_23
; %bb.22:
	v_rcp_f32_e64 v10, |v11|
	v_cmp_gt_f32_e64 vcc_lo, |v11|, 1.0
	s_mov_b32 s2, 0x3b2d2a58
	v_cndmask_b32_e64 v10, |v11|, v10, vcc_lo
	v_mul_f32_e32 v12, v10, v10
	v_fmaak_f32 v13, s2, v12, 0xbc7a590c
	v_fmaak_f32 v13, v12, v13, 0x3d29fb3f
	;; [unrolled: 1-line block ×7, first 2 shown]
	v_mul_f32_e32 v12, v12, v13
	v_fmac_f32_e32 v10, v10, v12
	v_sub_f32_e32 v12, 0x3fc90fdb, v10
	v_cndmask_b32_e32 v10, v10, v12, vcc_lo
	v_bfi_b32 v10, 0x7fffffff, v10, v11
	v_bfe_u32 v11, v10, 16, 1
	v_cmp_o_f32_e32 vcc_lo, v10, v10
	v_add3_u32 v10, v10, v11, 0x7fff
	v_mov_b32_e32 v11, 0x7fc0
	v_cndmask_b32_sdwa v10, v11, v10, vcc_lo dst_sel:DWORD dst_unused:UNUSED_PAD src0_sel:DWORD src1_sel:WORD_1
.LBB27_23:
	s_or_b32 exec_lo, exec_lo, s1
	v_or_b32_e32 v11, 0x300, v0
	v_cmp_gt_i32_e32 vcc_lo, s7, v11
                                        ; implicit-def: $vgpr11
	s_and_saveexec_b32 s1, vcc_lo
	s_cbranch_execz .LBB27_25
; %bb.24:
	v_rcp_f32_e64 v11, |v7|
	v_cmp_gt_f32_e64 vcc_lo, |v7|, 1.0
	s_mov_b32 s2, 0x3b2d2a58
	v_cndmask_b32_e64 v11, |v7|, v11, vcc_lo
	v_mul_f32_e32 v12, v11, v11
	v_fmaak_f32 v13, s2, v12, 0xbc7a590c
	v_fmaak_f32 v13, v12, v13, 0x3d29fb3f
	;; [unrolled: 1-line block ×7, first 2 shown]
	v_mul_f32_e32 v12, v12, v13
	v_fmac_f32_e32 v11, v11, v12
	v_sub_f32_e32 v12, 0x3fc90fdb, v11
	v_cndmask_b32_e32 v11, v11, v12, vcc_lo
	v_bfi_b32 v7, 0x7fffffff, v11, v7
	v_bfe_u32 v11, v7, 16, 1
	v_cmp_o_f32_e32 vcc_lo, v7, v7
	v_add3_u32 v7, v7, v11, 0x7fff
	v_mov_b32_e32 v11, 0x7fc0
	v_cndmask_b32_sdwa v11, v11, v7, vcc_lo dst_sel:DWORD dst_unused:UNUSED_PAD src0_sel:DWORD src1_sel:WORD_1
.LBB27_25:
	s_or_b32 exec_lo, exec_lo, s1
	v_or_b32_e32 v7, 0x400, v0
	v_cmp_gt_i32_e32 vcc_lo, s7, v7
                                        ; implicit-def: $vgpr7
	s_and_saveexec_b32 s1, vcc_lo
	s_cbranch_execz .LBB27_27
; %bb.26:
	v_rcp_f32_e64 v7, |v9|
	v_cmp_gt_f32_e64 vcc_lo, |v9|, 1.0
	s_mov_b32 s2, 0x3b2d2a58
	v_cndmask_b32_e64 v7, |v9|, v7, vcc_lo
	v_mul_f32_e32 v12, v7, v7
	v_fmaak_f32 v13, s2, v12, 0xbc7a590c
	v_fmaak_f32 v13, v12, v13, 0x3d29fb3f
	;; [unrolled: 1-line block ×7, first 2 shown]
	v_mul_f32_e32 v12, v12, v13
	v_fmac_f32_e32 v7, v7, v12
	v_sub_f32_e32 v12, 0x3fc90fdb, v7
	v_cndmask_b32_e32 v7, v7, v12, vcc_lo
	v_bfi_b32 v7, 0x7fffffff, v7, v9
	v_bfe_u32 v9, v7, 16, 1
	v_cmp_o_f32_e32 vcc_lo, v7, v7
	v_add3_u32 v7, v7, v9, 0x7fff
	v_mov_b32_e32 v9, 0x7fc0
	v_cndmask_b32_sdwa v7, v9, v7, vcc_lo dst_sel:DWORD dst_unused:UNUSED_PAD src0_sel:DWORD src1_sel:WORD_1
.LBB27_27:
	s_or_b32 exec_lo, exec_lo, s1
	v_or_b32_e32 v9, 0x500, v0
	v_cmp_gt_i32_e32 vcc_lo, s7, v9
                                        ; implicit-def: $vgpr9
	s_and_saveexec_b32 s1, vcc_lo
	s_cbranch_execz .LBB27_29
; %bb.28:
	v_rcp_f32_e64 v9, |v4|
	v_cmp_gt_f32_e64 vcc_lo, |v4|, 1.0
	s_mov_b32 s2, 0x3b2d2a58
	v_cndmask_b32_e64 v9, |v4|, v9, vcc_lo
	v_mul_f32_e32 v12, v9, v9
	v_fmaak_f32 v13, s2, v12, 0xbc7a590c
	v_fmaak_f32 v13, v12, v13, 0x3d29fb3f
	v_fmaak_f32 v13, v12, v13, 0xbd97d4d7
	v_fmaak_f32 v13, v12, v13, 0x3dd931b2
	v_fmaak_f32 v13, v12, v13, 0xbe1160e6
	v_fmaak_f32 v13, v12, v13, 0x3e4cb8bf
	v_fmaak_f32 v13, v12, v13, 0xbeaaaa62
	v_mul_f32_e32 v12, v12, v13
	v_fmac_f32_e32 v9, v9, v12
	v_sub_f32_e32 v12, 0x3fc90fdb, v9
	v_cndmask_b32_e32 v9, v9, v12, vcc_lo
	v_bfi_b32 v4, 0x7fffffff, v9, v4
	v_bfe_u32 v9, v4, 16, 1
	v_cmp_o_f32_e32 vcc_lo, v4, v4
	v_add3_u32 v4, v4, v9, 0x7fff
	v_mov_b32_e32 v9, 0x7fc0
	v_cndmask_b32_sdwa v9, v9, v4, vcc_lo dst_sel:DWORD dst_unused:UNUSED_PAD src0_sel:DWORD src1_sel:WORD_1
.LBB27_29:
	s_or_b32 exec_lo, exec_lo, s1
	v_or_b32_e32 v4, 0x600, v0
	v_cmp_gt_i32_e32 vcc_lo, s7, v4
                                        ; implicit-def: $vgpr4
	s_and_saveexec_b32 s1, vcc_lo
	s_cbranch_execz .LBB27_31
; %bb.30:
	v_rcp_f32_e64 v4, |v6|
	v_cmp_gt_f32_e64 vcc_lo, |v6|, 1.0
	s_mov_b32 s2, 0x3b2d2a58
	v_cndmask_b32_e64 v4, |v6|, v4, vcc_lo
	v_mul_f32_e32 v12, v4, v4
	v_fmaak_f32 v13, s2, v12, 0xbc7a590c
	v_fmaak_f32 v13, v12, v13, 0x3d29fb3f
	v_fmaak_f32 v13, v12, v13, 0xbd97d4d7
	v_fmaak_f32 v13, v12, v13, 0x3dd931b2
	v_fmaak_f32 v13, v12, v13, 0xbe1160e6
	v_fmaak_f32 v13, v12, v13, 0x3e4cb8bf
	v_fmaak_f32 v13, v12, v13, 0xbeaaaa62
	v_mul_f32_e32 v12, v12, v13
	v_fmac_f32_e32 v4, v4, v12
	v_sub_f32_e32 v12, 0x3fc90fdb, v4
	v_cndmask_b32_e32 v4, v4, v12, vcc_lo
	v_bfi_b32 v4, 0x7fffffff, v4, v6
	v_bfe_u32 v6, v4, 16, 1
	v_cmp_o_f32_e32 vcc_lo, v4, v4
	v_add3_u32 v4, v4, v6, 0x7fff
	v_mov_b32_e32 v6, 0x7fc0
	v_cndmask_b32_sdwa v4, v6, v4, vcc_lo dst_sel:DWORD dst_unused:UNUSED_PAD src0_sel:DWORD src1_sel:WORD_1
.LBB27_31:
	s_or_b32 exec_lo, exec_lo, s1
	v_or_b32_e32 v6, 0x700, v0
	v_cmp_gt_i32_e32 vcc_lo, s7, v6
                                        ; implicit-def: $vgpr6
	s_and_saveexec_b32 s1, vcc_lo
	s_cbranch_execz .LBB27_44
; %bb.32:
	v_rcp_f32_e64 v6, |v2|
	v_cmp_gt_f32_e64 vcc_lo, |v2|, 1.0
	s_mov_b32 s2, 0x3b2d2a58
	v_cndmask_b32_e64 v6, |v2|, v6, vcc_lo
	v_mul_f32_e32 v12, v6, v6
	v_fmaak_f32 v13, s2, v12, 0xbc7a590c
	v_fmaak_f32 v13, v12, v13, 0x3d29fb3f
	;; [unrolled: 1-line block ×7, first 2 shown]
	v_mul_f32_e32 v12, v12, v13
	v_fmac_f32_e32 v6, v6, v12
	v_sub_f32_e32 v12, 0x3fc90fdb, v6
	v_cndmask_b32_e32 v6, v6, v12, vcc_lo
	v_bfi_b32 v2, 0x7fffffff, v6, v2
	v_bfe_u32 v6, v2, 16, 1
	v_cmp_o_f32_e32 vcc_lo, v2, v2
	v_add3_u32 v2, v2, v6, 0x7fff
	v_mov_b32_e32 v6, 0x7fc0
	v_cndmask_b32_sdwa v6, v6, v2, vcc_lo dst_sel:DWORD dst_unused:UNUSED_PAD src0_sel:DWORD src1_sel:WORD_1
	s_or_b32 exec_lo, exec_lo, s1
	s_and_saveexec_b32 s1, s0
	s_xor_b32 s0, exec_lo, s1
	s_cbranch_execnz .LBB27_45
.LBB27_33:
	s_or_b32 exec_lo, exec_lo, s0
	s_mov_b32 s0, exec_lo
	v_cmpx_gt_i32_e64 s7, v0
	s_cbranch_execz .LBB27_46
.LBB27_34:
	v_add_nc_u32_e32 v1, s12, v0
	v_mov_b32_e32 v2, 0
	v_add_nc_u32_e32 v0, 0x100, v0
	v_lshlrev_b64 v[1:2], 1, v[1:2]
	v_add_co_u32 v1, vcc_lo, s8, v1
	v_add_co_ci_u32_e64 v2, null, s9, v2, vcc_lo
	global_store_short v[1:2], v8, off
	s_or_b32 exec_lo, exec_lo, s0
	s_mov_b32 s0, exec_lo
	v_cmpx_gt_i32_e64 s7, v0
	s_cbranch_execnz .LBB27_47
.LBB27_35:
	s_or_b32 exec_lo, exec_lo, s0
	s_mov_b32 s0, exec_lo
	v_cmpx_gt_i32_e64 s7, v0
	s_cbranch_execz .LBB27_48
.LBB27_36:
	v_add_nc_u32_e32 v1, s12, v0
	v_mov_b32_e32 v2, 0
	v_add_nc_u32_e32 v0, 0x100, v0
	v_lshlrev_b64 v[1:2], 1, v[1:2]
	v_add_co_u32 v1, vcc_lo, s8, v1
	v_add_co_ci_u32_e64 v2, null, s9, v2, vcc_lo
	global_store_short v[1:2], v11, off
	s_or_b32 exec_lo, exec_lo, s0
	s_mov_b32 s0, exec_lo
	v_cmpx_gt_i32_e64 s7, v0
	s_cbranch_execnz .LBB27_49
.LBB27_37:
	s_or_b32 exec_lo, exec_lo, s0
	s_mov_b32 s0, exec_lo
	v_cmpx_gt_i32_e64 s7, v0
	s_cbranch_execz .LBB27_50
.LBB27_38:
	v_add_nc_u32_e32 v1, s12, v0
	v_mov_b32_e32 v2, 0
	v_add_nc_u32_e32 v0, 0x100, v0
	v_lshlrev_b64 v[1:2], 1, v[1:2]
	v_add_co_u32 v1, vcc_lo, s8, v1
	v_add_co_ci_u32_e64 v2, null, s9, v2, vcc_lo
	global_store_short v[1:2], v9, off
	s_or_b32 exec_lo, exec_lo, s0
	s_mov_b32 s0, exec_lo
	v_cmpx_gt_i32_e64 s7, v0
	s_cbranch_execnz .LBB27_51
.LBB27_39:
	s_or_b32 exec_lo, exec_lo, s0
	s_mov_b32 s0, exec_lo
	v_cmpx_gt_i32_e64 s7, v0
	s_cbranch_execz .LBB27_41
.LBB27_40:
	v_add_nc_u32_e32 v0, s12, v0
	v_mov_b32_e32 v1, 0
	v_lshlrev_b64 v[0:1], 1, v[0:1]
	v_add_co_u32 v0, vcc_lo, s8, v0
	v_add_co_ci_u32_e64 v1, null, s9, v1, vcc_lo
	global_store_short v[0:1], v6, off
.LBB27_41:
	s_endpgm
.LBB27_42:
	s_or_b32 exec_lo, exec_lo, s1
	s_mov_b32 s1, exec_lo
	v_cmpx_gt_i32_e64 s7, v5
	s_cbranch_execz .LBB27_17
.LBB27_43:
	v_add_nc_u32_e32 v12, s12, v5
	v_mov_b32_e32 v13, 0
	v_lshlrev_b64 v[12:13], 1, v[12:13]
	v_add_co_u32 v12, vcc_lo, s10, v12
	v_add_co_ci_u32_e64 v13, null, s11, v13, vcc_lo
	global_load_ushort v2, v[12:13], off
	s_waitcnt vmcnt(0)
	v_lshlrev_b32_e32 v2, 16, v2
	s_or_b32 exec_lo, exec_lo, s1
                                        ; implicit-def: $vgpr5
	s_and_saveexec_b32 s1, s0
	s_cbranch_execz .LBB27_19
	s_branch .LBB27_18
.LBB27_44:
	s_or_b32 exec_lo, exec_lo, s1
	s_and_saveexec_b32 s1, s0
	s_xor_b32 s0, exec_lo, s1
	s_cbranch_execz .LBB27_33
.LBB27_45:
	v_mov_b32_e32 v2, 0
	v_lshlrev_b64 v[0:1], 1, v[1:2]
	v_add_co_u32 v12, vcc_lo, s8, v0
	v_add_co_ci_u32_e64 v13, null, s9, v1, vcc_lo
	v_mov_b32_e32 v0, v3
	global_store_short v[12:13], v5, off
	s_or_b32 exec_lo, exec_lo, s0
	s_mov_b32 s0, exec_lo
	v_cmpx_gt_i32_e64 s7, v0
	s_cbranch_execnz .LBB27_34
.LBB27_46:
	s_or_b32 exec_lo, exec_lo, s0
	s_mov_b32 s0, exec_lo
	v_cmpx_gt_i32_e64 s7, v0
	s_cbranch_execz .LBB27_35
.LBB27_47:
	v_add_nc_u32_e32 v1, s12, v0
	v_mov_b32_e32 v2, 0
	v_add_nc_u32_e32 v0, 0x100, v0
	v_lshlrev_b64 v[1:2], 1, v[1:2]
	v_add_co_u32 v1, vcc_lo, s8, v1
	v_add_co_ci_u32_e64 v2, null, s9, v2, vcc_lo
	global_store_short v[1:2], v10, off
	s_or_b32 exec_lo, exec_lo, s0
	s_mov_b32 s0, exec_lo
	v_cmpx_gt_i32_e64 s7, v0
	s_cbranch_execnz .LBB27_36
.LBB27_48:
	s_or_b32 exec_lo, exec_lo, s0
	s_mov_b32 s0, exec_lo
	v_cmpx_gt_i32_e64 s7, v0
	s_cbranch_execz .LBB27_37
.LBB27_49:
	v_add_nc_u32_e32 v1, s12, v0
	v_mov_b32_e32 v2, 0
	v_add_nc_u32_e32 v0, 0x100, v0
	v_lshlrev_b64 v[1:2], 1, v[1:2]
	v_add_co_u32 v1, vcc_lo, s8, v1
	v_add_co_ci_u32_e64 v2, null, s9, v2, vcc_lo
	global_store_short v[1:2], v7, off
	s_or_b32 exec_lo, exec_lo, s0
	s_mov_b32 s0, exec_lo
	v_cmpx_gt_i32_e64 s7, v0
	s_cbranch_execnz .LBB27_38
.LBB27_50:
	s_or_b32 exec_lo, exec_lo, s0
	s_mov_b32 s0, exec_lo
	v_cmpx_gt_i32_e64 s7, v0
	s_cbranch_execz .LBB27_39
.LBB27_51:
	v_add_nc_u32_e32 v1, s12, v0
	v_mov_b32_e32 v2, 0
	v_add_nc_u32_e32 v0, 0x100, v0
	v_lshlrev_b64 v[1:2], 1, v[1:2]
	v_add_co_u32 v1, vcc_lo, s8, v1
	v_add_co_ci_u32_e64 v2, null, s9, v2, vcc_lo
	global_store_short v[1:2], v4, off
	s_or_b32 exec_lo, exec_lo, s0
	s_mov_b32 s0, exec_lo
	v_cmpx_gt_i32_e64 s7, v0
	s_cbranch_execnz .LBB27_40
	s_branch .LBB27_41
	.section	.rodata,"a",@progbits
	.p2align	6, 0x0
	.amdhsa_kernel _ZN2at6native29vectorized_elementwise_kernelILi2EZZZNS0_16atan_kernel_cudaERNS_18TensorIteratorBaseEENKUlvE0_clEvENKUlvE2_clEvEUlN3c108BFloat16EE_St5arrayIPcLm2EEEEviT0_T1_
		.amdhsa_group_segment_fixed_size 0
		.amdhsa_private_segment_fixed_size 0
		.amdhsa_kernarg_size 24
		.amdhsa_user_sgpr_count 6
		.amdhsa_user_sgpr_private_segment_buffer 1
		.amdhsa_user_sgpr_dispatch_ptr 0
		.amdhsa_user_sgpr_queue_ptr 0
		.amdhsa_user_sgpr_kernarg_segment_ptr 1
		.amdhsa_user_sgpr_dispatch_id 0
		.amdhsa_user_sgpr_flat_scratch_init 0
		.amdhsa_user_sgpr_private_segment_size 0
		.amdhsa_wavefront_size32 1
		.amdhsa_uses_dynamic_stack 0
		.amdhsa_system_sgpr_private_segment_wavefront_offset 0
		.amdhsa_system_sgpr_workgroup_id_x 1
		.amdhsa_system_sgpr_workgroup_id_y 0
		.amdhsa_system_sgpr_workgroup_id_z 0
		.amdhsa_system_sgpr_workgroup_info 0
		.amdhsa_system_vgpr_workitem_id 0
		.amdhsa_next_free_vgpr 36
		.amdhsa_next_free_sgpr 16
		.amdhsa_reserve_vcc 1
		.amdhsa_reserve_flat_scratch 0
		.amdhsa_float_round_mode_32 0
		.amdhsa_float_round_mode_16_64 0
		.amdhsa_float_denorm_mode_32 3
		.amdhsa_float_denorm_mode_16_64 3
		.amdhsa_dx10_clamp 1
		.amdhsa_ieee_mode 1
		.amdhsa_fp16_overflow 0
		.amdhsa_workgroup_processor_mode 1
		.amdhsa_memory_ordered 1
		.amdhsa_forward_progress 1
		.amdhsa_shared_vgpr_count 0
		.amdhsa_exception_fp_ieee_invalid_op 0
		.amdhsa_exception_fp_denorm_src 0
		.amdhsa_exception_fp_ieee_div_zero 0
		.amdhsa_exception_fp_ieee_overflow 0
		.amdhsa_exception_fp_ieee_underflow 0
		.amdhsa_exception_fp_ieee_inexact 0
		.amdhsa_exception_int_div_zero 0
	.end_amdhsa_kernel
	.section	.text._ZN2at6native29vectorized_elementwise_kernelILi2EZZZNS0_16atan_kernel_cudaERNS_18TensorIteratorBaseEENKUlvE0_clEvENKUlvE2_clEvEUlN3c108BFloat16EE_St5arrayIPcLm2EEEEviT0_T1_,"axG",@progbits,_ZN2at6native29vectorized_elementwise_kernelILi2EZZZNS0_16atan_kernel_cudaERNS_18TensorIteratorBaseEENKUlvE0_clEvENKUlvE2_clEvEUlN3c108BFloat16EE_St5arrayIPcLm2EEEEviT0_T1_,comdat
.Lfunc_end27:
	.size	_ZN2at6native29vectorized_elementwise_kernelILi2EZZZNS0_16atan_kernel_cudaERNS_18TensorIteratorBaseEENKUlvE0_clEvENKUlvE2_clEvEUlN3c108BFloat16EE_St5arrayIPcLm2EEEEviT0_T1_, .Lfunc_end27-_ZN2at6native29vectorized_elementwise_kernelILi2EZZZNS0_16atan_kernel_cudaERNS_18TensorIteratorBaseEENKUlvE0_clEvENKUlvE2_clEvEUlN3c108BFloat16EE_St5arrayIPcLm2EEEEviT0_T1_
                                        ; -- End function
	.set _ZN2at6native29vectorized_elementwise_kernelILi2EZZZNS0_16atan_kernel_cudaERNS_18TensorIteratorBaseEENKUlvE0_clEvENKUlvE2_clEvEUlN3c108BFloat16EE_St5arrayIPcLm2EEEEviT0_T1_.num_vgpr, 36
	.set _ZN2at6native29vectorized_elementwise_kernelILi2EZZZNS0_16atan_kernel_cudaERNS_18TensorIteratorBaseEENKUlvE0_clEvENKUlvE2_clEvEUlN3c108BFloat16EE_St5arrayIPcLm2EEEEviT0_T1_.num_agpr, 0
	.set _ZN2at6native29vectorized_elementwise_kernelILi2EZZZNS0_16atan_kernel_cudaERNS_18TensorIteratorBaseEENKUlvE0_clEvENKUlvE2_clEvEUlN3c108BFloat16EE_St5arrayIPcLm2EEEEviT0_T1_.numbered_sgpr, 16
	.set _ZN2at6native29vectorized_elementwise_kernelILi2EZZZNS0_16atan_kernel_cudaERNS_18TensorIteratorBaseEENKUlvE0_clEvENKUlvE2_clEvEUlN3c108BFloat16EE_St5arrayIPcLm2EEEEviT0_T1_.num_named_barrier, 0
	.set _ZN2at6native29vectorized_elementwise_kernelILi2EZZZNS0_16atan_kernel_cudaERNS_18TensorIteratorBaseEENKUlvE0_clEvENKUlvE2_clEvEUlN3c108BFloat16EE_St5arrayIPcLm2EEEEviT0_T1_.private_seg_size, 0
	.set _ZN2at6native29vectorized_elementwise_kernelILi2EZZZNS0_16atan_kernel_cudaERNS_18TensorIteratorBaseEENKUlvE0_clEvENKUlvE2_clEvEUlN3c108BFloat16EE_St5arrayIPcLm2EEEEviT0_T1_.uses_vcc, 1
	.set _ZN2at6native29vectorized_elementwise_kernelILi2EZZZNS0_16atan_kernel_cudaERNS_18TensorIteratorBaseEENKUlvE0_clEvENKUlvE2_clEvEUlN3c108BFloat16EE_St5arrayIPcLm2EEEEviT0_T1_.uses_flat_scratch, 0
	.set _ZN2at6native29vectorized_elementwise_kernelILi2EZZZNS0_16atan_kernel_cudaERNS_18TensorIteratorBaseEENKUlvE0_clEvENKUlvE2_clEvEUlN3c108BFloat16EE_St5arrayIPcLm2EEEEviT0_T1_.has_dyn_sized_stack, 0
	.set _ZN2at6native29vectorized_elementwise_kernelILi2EZZZNS0_16atan_kernel_cudaERNS_18TensorIteratorBaseEENKUlvE0_clEvENKUlvE2_clEvEUlN3c108BFloat16EE_St5arrayIPcLm2EEEEviT0_T1_.has_recursion, 0
	.set _ZN2at6native29vectorized_elementwise_kernelILi2EZZZNS0_16atan_kernel_cudaERNS_18TensorIteratorBaseEENKUlvE0_clEvENKUlvE2_clEvEUlN3c108BFloat16EE_St5arrayIPcLm2EEEEviT0_T1_.has_indirect_call, 0
	.section	.AMDGPU.csdata,"",@progbits
; Kernel info:
; codeLenInByte = 4428
; TotalNumSgprs: 18
; NumVgprs: 36
; ScratchSize: 0
; MemoryBound: 0
; FloatMode: 240
; IeeeMode: 1
; LDSByteSize: 0 bytes/workgroup (compile time only)
; SGPRBlocks: 0
; VGPRBlocks: 4
; NumSGPRsForWavesPerEU: 18
; NumVGPRsForWavesPerEU: 36
; Occupancy: 16
; WaveLimiterHint : 1
; COMPUTE_PGM_RSRC2:SCRATCH_EN: 0
; COMPUTE_PGM_RSRC2:USER_SGPR: 6
; COMPUTE_PGM_RSRC2:TRAP_HANDLER: 0
; COMPUTE_PGM_RSRC2:TGID_X_EN: 1
; COMPUTE_PGM_RSRC2:TGID_Y_EN: 0
; COMPUTE_PGM_RSRC2:TGID_Z_EN: 0
; COMPUTE_PGM_RSRC2:TIDIG_COMP_CNT: 0
	.section	.text._ZN2at6native27unrolled_elementwise_kernelIZZZNS0_16atan_kernel_cudaERNS_18TensorIteratorBaseEENKUlvE0_clEvENKUlvE2_clEvEUlN3c108BFloat16EE_St5arrayIPcLm2EELi4E23TrivialOffsetCalculatorILi1EjESD_NS0_6memory15LoadWithoutCastENSE_16StoreWithoutCastEEEviT_T0_T2_T3_T4_T5_,"axG",@progbits,_ZN2at6native27unrolled_elementwise_kernelIZZZNS0_16atan_kernel_cudaERNS_18TensorIteratorBaseEENKUlvE0_clEvENKUlvE2_clEvEUlN3c108BFloat16EE_St5arrayIPcLm2EELi4E23TrivialOffsetCalculatorILi1EjESD_NS0_6memory15LoadWithoutCastENSE_16StoreWithoutCastEEEviT_T0_T2_T3_T4_T5_,comdat
	.globl	_ZN2at6native27unrolled_elementwise_kernelIZZZNS0_16atan_kernel_cudaERNS_18TensorIteratorBaseEENKUlvE0_clEvENKUlvE2_clEvEUlN3c108BFloat16EE_St5arrayIPcLm2EELi4E23TrivialOffsetCalculatorILi1EjESD_NS0_6memory15LoadWithoutCastENSE_16StoreWithoutCastEEEviT_T0_T2_T3_T4_T5_ ; -- Begin function _ZN2at6native27unrolled_elementwise_kernelIZZZNS0_16atan_kernel_cudaERNS_18TensorIteratorBaseEENKUlvE0_clEvENKUlvE2_clEvEUlN3c108BFloat16EE_St5arrayIPcLm2EELi4E23TrivialOffsetCalculatorILi1EjESD_NS0_6memory15LoadWithoutCastENSE_16StoreWithoutCastEEEviT_T0_T2_T3_T4_T5_
	.p2align	8
	.type	_ZN2at6native27unrolled_elementwise_kernelIZZZNS0_16atan_kernel_cudaERNS_18TensorIteratorBaseEENKUlvE0_clEvENKUlvE2_clEvEUlN3c108BFloat16EE_St5arrayIPcLm2EELi4E23TrivialOffsetCalculatorILi1EjESD_NS0_6memory15LoadWithoutCastENSE_16StoreWithoutCastEEEviT_T0_T2_T3_T4_T5_,@function
_ZN2at6native27unrolled_elementwise_kernelIZZZNS0_16atan_kernel_cudaERNS_18TensorIteratorBaseEENKUlvE0_clEvENKUlvE2_clEvEUlN3c108BFloat16EE_St5arrayIPcLm2EELi4E23TrivialOffsetCalculatorILi1EjESD_NS0_6memory15LoadWithoutCastENSE_16StoreWithoutCastEEEviT_T0_T2_T3_T4_T5_: ; @_ZN2at6native27unrolled_elementwise_kernelIZZZNS0_16atan_kernel_cudaERNS_18TensorIteratorBaseEENKUlvE0_clEvENKUlvE2_clEvEUlN3c108BFloat16EE_St5arrayIPcLm2EELi4E23TrivialOffsetCalculatorILi1EjESD_NS0_6memory15LoadWithoutCastENSE_16StoreWithoutCastEEEviT_T0_T2_T3_T4_T5_
; %bb.0:
	s_clause 0x1
	s_load_dword s0, s[4:5], 0x0
	s_load_dwordx4 s[8:11], s[4:5], 0x8
	s_lshl_b32 s1, s6, 10
	v_mov_b32_e32 v4, 0
	v_mov_b32_e32 v7, 0
	v_or_b32_e32 v1, s1, v0
	v_or_b32_e32 v3, 0x100, v0
	v_mov_b32_e32 v5, v0
	s_waitcnt lgkmcnt(0)
	s_sub_i32 s2, s0, s1
	v_cmp_gt_i32_e64 s0, s2, v0
	s_and_saveexec_b32 s3, s0
	s_cbranch_execz .LBB28_2
; %bb.1:
	v_mov_b32_e32 v2, 0
	v_lshlrev_b64 v[5:6], 1, v[1:2]
	v_add_co_u32 v5, vcc_lo, s10, v5
	v_add_co_ci_u32_e64 v6, null, s11, v6, vcc_lo
	global_load_ushort v2, v[5:6], off
	v_or_b32_e32 v5, 0x100, v0
	s_waitcnt vmcnt(0)
	v_lshlrev_b32_e32 v7, 16, v2
.LBB28_2:
	s_or_b32 exec_lo, exec_lo, s3
	s_mov_b32 s3, exec_lo
	v_cmpx_gt_i32_e64 s2, v5
	s_cbranch_execz .LBB28_4
; %bb.3:
	v_add_nc_u32_e32 v8, s1, v5
	v_mov_b32_e32 v9, 0
	v_add_nc_u32_e32 v5, 0x100, v5
	v_lshlrev_b64 v[8:9], 1, v[8:9]
	v_add_co_u32 v8, vcc_lo, s10, v8
	v_add_co_ci_u32_e64 v9, null, s11, v9, vcc_lo
	global_load_ushort v2, v[8:9], off
	s_waitcnt vmcnt(0)
	v_lshlrev_b32_e32 v4, 16, v2
.LBB28_4:
	s_or_b32 exec_lo, exec_lo, s3
	v_mov_b32_e32 v2, 0
	v_mov_b32_e32 v6, 0
	s_mov_b32 s3, exec_lo
	v_cmpx_gt_i32_e64 s2, v5
	s_cbranch_execz .LBB28_18
; %bb.5:
	v_add_nc_u32_e32 v8, s1, v5
	v_mov_b32_e32 v9, 0
	v_add_nc_u32_e32 v5, 0x100, v5
	v_lshlrev_b64 v[8:9], 1, v[8:9]
	v_add_co_u32 v8, vcc_lo, s10, v8
	v_add_co_ci_u32_e64 v9, null, s11, v9, vcc_lo
	global_load_ushort v6, v[8:9], off
	s_waitcnt vmcnt(0)
	v_lshlrev_b32_e32 v6, 16, v6
	s_or_b32 exec_lo, exec_lo, s3
	s_mov_b32 s3, exec_lo
	v_cmpx_gt_i32_e64 s2, v5
	s_cbranch_execnz .LBB28_19
.LBB28_6:
	s_or_b32 exec_lo, exec_lo, s3
                                        ; implicit-def: $vgpr5
	s_and_saveexec_b32 s3, s0
	s_cbranch_execz .LBB28_8
.LBB28_7:
	v_rcp_f32_e64 v5, |v7|
	v_cmp_gt_f32_e64 vcc_lo, |v7|, 1.0
	s_mov_b32 s4, 0x3b2d2a58
	v_cndmask_b32_e64 v5, |v7|, v5, vcc_lo
	v_mul_f32_e32 v8, v5, v5
	v_fmaak_f32 v9, s4, v8, 0xbc7a590c
	v_fmaak_f32 v9, v8, v9, 0x3d29fb3f
	;; [unrolled: 1-line block ×7, first 2 shown]
	v_mul_f32_e32 v8, v8, v9
	v_fmac_f32_e32 v5, v5, v8
	v_sub_f32_e32 v8, 0x3fc90fdb, v5
	v_cndmask_b32_e32 v5, v5, v8, vcc_lo
	v_bfi_b32 v5, 0x7fffffff, v5, v7
	v_bfe_u32 v7, v5, 16, 1
	v_cmp_o_f32_e32 vcc_lo, v5, v5
	v_add3_u32 v5, v5, v7, 0x7fff
	v_mov_b32_e32 v7, 0x7fc0
	v_cndmask_b32_sdwa v5, v7, v5, vcc_lo dst_sel:DWORD dst_unused:UNUSED_PAD src0_sel:DWORD src1_sel:WORD_1
.LBB28_8:
	s_or_b32 exec_lo, exec_lo, s3
	s_mov_b32 s3, exec_lo
                                        ; implicit-def: $vgpr7
	v_cmpx_gt_i32_e64 s2, v3
	s_cbranch_execz .LBB28_10
; %bb.9:
	v_rcp_f32_e64 v7, |v4|
	v_cmp_gt_f32_e64 vcc_lo, |v4|, 1.0
	s_mov_b32 s4, 0x3b2d2a58
	v_cndmask_b32_e64 v7, |v4|, v7, vcc_lo
	v_mul_f32_e32 v8, v7, v7
	v_fmaak_f32 v9, s4, v8, 0xbc7a590c
	v_fmaak_f32 v9, v8, v9, 0x3d29fb3f
	;; [unrolled: 1-line block ×7, first 2 shown]
	v_mul_f32_e32 v8, v8, v9
	v_fmac_f32_e32 v7, v7, v8
	v_sub_f32_e32 v8, 0x3fc90fdb, v7
	v_cndmask_b32_e32 v7, v7, v8, vcc_lo
	v_bfi_b32 v4, 0x7fffffff, v7, v4
	v_bfe_u32 v7, v4, 16, 1
	v_cmp_o_f32_e32 vcc_lo, v4, v4
	v_add3_u32 v4, v4, v7, 0x7fff
	v_mov_b32_e32 v7, 0x7fc0
	v_cndmask_b32_sdwa v7, v7, v4, vcc_lo dst_sel:DWORD dst_unused:UNUSED_PAD src0_sel:DWORD src1_sel:WORD_1
.LBB28_10:
	s_or_b32 exec_lo, exec_lo, s3
	v_or_b32_e32 v4, 0x200, v0
	v_cmp_gt_i32_e32 vcc_lo, s2, v4
                                        ; implicit-def: $vgpr4
	s_and_saveexec_b32 s3, vcc_lo
	s_cbranch_execz .LBB28_12
; %bb.11:
	v_rcp_f32_e64 v4, |v6|
	v_cmp_gt_f32_e64 vcc_lo, |v6|, 1.0
	s_mov_b32 s4, 0x3b2d2a58
	v_cndmask_b32_e64 v4, |v6|, v4, vcc_lo
	v_mul_f32_e32 v8, v4, v4
	v_fmaak_f32 v9, s4, v8, 0xbc7a590c
	v_fmaak_f32 v9, v8, v9, 0x3d29fb3f
	;; [unrolled: 1-line block ×7, first 2 shown]
	v_mul_f32_e32 v8, v8, v9
	v_fmac_f32_e32 v4, v4, v8
	v_sub_f32_e32 v8, 0x3fc90fdb, v4
	v_cndmask_b32_e32 v4, v4, v8, vcc_lo
	v_bfi_b32 v4, 0x7fffffff, v4, v6
	v_bfe_u32 v6, v4, 16, 1
	v_cmp_o_f32_e32 vcc_lo, v4, v4
	v_add3_u32 v4, v4, v6, 0x7fff
	v_mov_b32_e32 v6, 0x7fc0
	v_cndmask_b32_sdwa v4, v6, v4, vcc_lo dst_sel:DWORD dst_unused:UNUSED_PAD src0_sel:DWORD src1_sel:WORD_1
.LBB28_12:
	s_or_b32 exec_lo, exec_lo, s3
	v_or_b32_e32 v6, 0x300, v0
	v_cmp_gt_i32_e32 vcc_lo, s2, v6
                                        ; implicit-def: $vgpr6
	s_and_saveexec_b32 s3, vcc_lo
	s_cbranch_execz .LBB28_20
; %bb.13:
	v_rcp_f32_e64 v6, |v2|
	v_cmp_gt_f32_e64 vcc_lo, |v2|, 1.0
	s_mov_b32 s4, 0x3b2d2a58
	v_cndmask_b32_e64 v6, |v2|, v6, vcc_lo
	v_mul_f32_e32 v8, v6, v6
	v_fmaak_f32 v9, s4, v8, 0xbc7a590c
	v_fmaak_f32 v9, v8, v9, 0x3d29fb3f
	;; [unrolled: 1-line block ×7, first 2 shown]
	v_mul_f32_e32 v8, v8, v9
	v_fmac_f32_e32 v6, v6, v8
	v_sub_f32_e32 v8, 0x3fc90fdb, v6
	v_cndmask_b32_e32 v6, v6, v8, vcc_lo
	v_bfi_b32 v2, 0x7fffffff, v6, v2
	v_bfe_u32 v6, v2, 16, 1
	v_cmp_o_f32_e32 vcc_lo, v2, v2
	v_add3_u32 v2, v2, v6, 0x7fff
	v_mov_b32_e32 v6, 0x7fc0
	v_cndmask_b32_sdwa v6, v6, v2, vcc_lo dst_sel:DWORD dst_unused:UNUSED_PAD src0_sel:DWORD src1_sel:WORD_1
	s_or_b32 exec_lo, exec_lo, s3
	s_and_saveexec_b32 s3, s0
	s_xor_b32 s0, exec_lo, s3
	s_cbranch_execnz .LBB28_21
.LBB28_14:
	s_or_b32 exec_lo, exec_lo, s0
	s_mov_b32 s0, exec_lo
	v_cmpx_gt_i32_e64 s2, v0
	s_cbranch_execz .LBB28_22
.LBB28_15:
	v_add_nc_u32_e32 v1, s1, v0
	v_mov_b32_e32 v2, 0
	v_add_nc_u32_e32 v0, 0x100, v0
	v_lshlrev_b64 v[1:2], 1, v[1:2]
	v_add_co_u32 v1, vcc_lo, s8, v1
	v_add_co_ci_u32_e64 v2, null, s9, v2, vcc_lo
	global_store_short v[1:2], v7, off
	s_or_b32 exec_lo, exec_lo, s0
	s_mov_b32 s0, exec_lo
	v_cmpx_gt_i32_e64 s2, v0
	s_cbranch_execnz .LBB28_23
.LBB28_16:
	s_or_b32 exec_lo, exec_lo, s0
	s_mov_b32 s0, exec_lo
	v_cmpx_gt_i32_e64 s2, v0
	s_cbranch_execz .LBB28_24
.LBB28_17:
	v_add_nc_u32_e32 v0, s1, v0
	v_mov_b32_e32 v1, 0
	v_lshlrev_b64 v[0:1], 1, v[0:1]
	v_add_co_u32 v0, vcc_lo, s8, v0
	v_add_co_ci_u32_e64 v1, null, s9, v1, vcc_lo
	global_store_short v[0:1], v6, off
	s_endpgm
.LBB28_18:
	s_or_b32 exec_lo, exec_lo, s3
	s_mov_b32 s3, exec_lo
	v_cmpx_gt_i32_e64 s2, v5
	s_cbranch_execz .LBB28_6
.LBB28_19:
	v_add_nc_u32_e32 v8, s1, v5
	v_mov_b32_e32 v9, 0
	v_lshlrev_b64 v[8:9], 1, v[8:9]
	v_add_co_u32 v8, vcc_lo, s10, v8
	v_add_co_ci_u32_e64 v9, null, s11, v9, vcc_lo
	global_load_ushort v2, v[8:9], off
	s_waitcnt vmcnt(0)
	v_lshlrev_b32_e32 v2, 16, v2
	s_or_b32 exec_lo, exec_lo, s3
                                        ; implicit-def: $vgpr5
	s_and_saveexec_b32 s3, s0
	s_cbranch_execz .LBB28_8
	s_branch .LBB28_7
.LBB28_20:
	s_or_b32 exec_lo, exec_lo, s3
	s_and_saveexec_b32 s3, s0
	s_xor_b32 s0, exec_lo, s3
	s_cbranch_execz .LBB28_14
.LBB28_21:
	v_mov_b32_e32 v2, 0
	v_lshlrev_b64 v[0:1], 1, v[1:2]
	v_add_co_u32 v8, vcc_lo, s8, v0
	v_add_co_ci_u32_e64 v9, null, s9, v1, vcc_lo
	v_mov_b32_e32 v0, v3
	global_store_short v[8:9], v5, off
	s_or_b32 exec_lo, exec_lo, s0
	s_mov_b32 s0, exec_lo
	v_cmpx_gt_i32_e64 s2, v0
	s_cbranch_execnz .LBB28_15
.LBB28_22:
	s_or_b32 exec_lo, exec_lo, s0
	s_mov_b32 s0, exec_lo
	v_cmpx_gt_i32_e64 s2, v0
	s_cbranch_execz .LBB28_16
.LBB28_23:
	v_add_nc_u32_e32 v1, s1, v0
	v_mov_b32_e32 v2, 0
	v_add_nc_u32_e32 v0, 0x100, v0
	v_lshlrev_b64 v[1:2], 1, v[1:2]
	v_add_co_u32 v1, vcc_lo, s8, v1
	v_add_co_ci_u32_e64 v2, null, s9, v2, vcc_lo
	global_store_short v[1:2], v4, off
	s_or_b32 exec_lo, exec_lo, s0
	s_mov_b32 s0, exec_lo
	v_cmpx_gt_i32_e64 s2, v0
	s_cbranch_execnz .LBB28_17
.LBB28_24:
	s_endpgm
	.section	.rodata,"a",@progbits
	.p2align	6, 0x0
	.amdhsa_kernel _ZN2at6native27unrolled_elementwise_kernelIZZZNS0_16atan_kernel_cudaERNS_18TensorIteratorBaseEENKUlvE0_clEvENKUlvE2_clEvEUlN3c108BFloat16EE_St5arrayIPcLm2EELi4E23TrivialOffsetCalculatorILi1EjESD_NS0_6memory15LoadWithoutCastENSE_16StoreWithoutCastEEEviT_T0_T2_T3_T4_T5_
		.amdhsa_group_segment_fixed_size 0
		.amdhsa_private_segment_fixed_size 0
		.amdhsa_kernarg_size 28
		.amdhsa_user_sgpr_count 6
		.amdhsa_user_sgpr_private_segment_buffer 1
		.amdhsa_user_sgpr_dispatch_ptr 0
		.amdhsa_user_sgpr_queue_ptr 0
		.amdhsa_user_sgpr_kernarg_segment_ptr 1
		.amdhsa_user_sgpr_dispatch_id 0
		.amdhsa_user_sgpr_flat_scratch_init 0
		.amdhsa_user_sgpr_private_segment_size 0
		.amdhsa_wavefront_size32 1
		.amdhsa_uses_dynamic_stack 0
		.amdhsa_system_sgpr_private_segment_wavefront_offset 0
		.amdhsa_system_sgpr_workgroup_id_x 1
		.amdhsa_system_sgpr_workgroup_id_y 0
		.amdhsa_system_sgpr_workgroup_id_z 0
		.amdhsa_system_sgpr_workgroup_info 0
		.amdhsa_system_vgpr_workitem_id 0
		.amdhsa_next_free_vgpr 10
		.amdhsa_next_free_sgpr 12
		.amdhsa_reserve_vcc 1
		.amdhsa_reserve_flat_scratch 0
		.amdhsa_float_round_mode_32 0
		.amdhsa_float_round_mode_16_64 0
		.amdhsa_float_denorm_mode_32 3
		.amdhsa_float_denorm_mode_16_64 3
		.amdhsa_dx10_clamp 1
		.amdhsa_ieee_mode 1
		.amdhsa_fp16_overflow 0
		.amdhsa_workgroup_processor_mode 1
		.amdhsa_memory_ordered 1
		.amdhsa_forward_progress 1
		.amdhsa_shared_vgpr_count 0
		.amdhsa_exception_fp_ieee_invalid_op 0
		.amdhsa_exception_fp_denorm_src 0
		.amdhsa_exception_fp_ieee_div_zero 0
		.amdhsa_exception_fp_ieee_overflow 0
		.amdhsa_exception_fp_ieee_underflow 0
		.amdhsa_exception_fp_ieee_inexact 0
		.amdhsa_exception_int_div_zero 0
	.end_amdhsa_kernel
	.section	.text._ZN2at6native27unrolled_elementwise_kernelIZZZNS0_16atan_kernel_cudaERNS_18TensorIteratorBaseEENKUlvE0_clEvENKUlvE2_clEvEUlN3c108BFloat16EE_St5arrayIPcLm2EELi4E23TrivialOffsetCalculatorILi1EjESD_NS0_6memory15LoadWithoutCastENSE_16StoreWithoutCastEEEviT_T0_T2_T3_T4_T5_,"axG",@progbits,_ZN2at6native27unrolled_elementwise_kernelIZZZNS0_16atan_kernel_cudaERNS_18TensorIteratorBaseEENKUlvE0_clEvENKUlvE2_clEvEUlN3c108BFloat16EE_St5arrayIPcLm2EELi4E23TrivialOffsetCalculatorILi1EjESD_NS0_6memory15LoadWithoutCastENSE_16StoreWithoutCastEEEviT_T0_T2_T3_T4_T5_,comdat
.Lfunc_end28:
	.size	_ZN2at6native27unrolled_elementwise_kernelIZZZNS0_16atan_kernel_cudaERNS_18TensorIteratorBaseEENKUlvE0_clEvENKUlvE2_clEvEUlN3c108BFloat16EE_St5arrayIPcLm2EELi4E23TrivialOffsetCalculatorILi1EjESD_NS0_6memory15LoadWithoutCastENSE_16StoreWithoutCastEEEviT_T0_T2_T3_T4_T5_, .Lfunc_end28-_ZN2at6native27unrolled_elementwise_kernelIZZZNS0_16atan_kernel_cudaERNS_18TensorIteratorBaseEENKUlvE0_clEvENKUlvE2_clEvEUlN3c108BFloat16EE_St5arrayIPcLm2EELi4E23TrivialOffsetCalculatorILi1EjESD_NS0_6memory15LoadWithoutCastENSE_16StoreWithoutCastEEEviT_T0_T2_T3_T4_T5_
                                        ; -- End function
	.set _ZN2at6native27unrolled_elementwise_kernelIZZZNS0_16atan_kernel_cudaERNS_18TensorIteratorBaseEENKUlvE0_clEvENKUlvE2_clEvEUlN3c108BFloat16EE_St5arrayIPcLm2EELi4E23TrivialOffsetCalculatorILi1EjESD_NS0_6memory15LoadWithoutCastENSE_16StoreWithoutCastEEEviT_T0_T2_T3_T4_T5_.num_vgpr, 10
	.set _ZN2at6native27unrolled_elementwise_kernelIZZZNS0_16atan_kernel_cudaERNS_18TensorIteratorBaseEENKUlvE0_clEvENKUlvE2_clEvEUlN3c108BFloat16EE_St5arrayIPcLm2EELi4E23TrivialOffsetCalculatorILi1EjESD_NS0_6memory15LoadWithoutCastENSE_16StoreWithoutCastEEEviT_T0_T2_T3_T4_T5_.num_agpr, 0
	.set _ZN2at6native27unrolled_elementwise_kernelIZZZNS0_16atan_kernel_cudaERNS_18TensorIteratorBaseEENKUlvE0_clEvENKUlvE2_clEvEUlN3c108BFloat16EE_St5arrayIPcLm2EELi4E23TrivialOffsetCalculatorILi1EjESD_NS0_6memory15LoadWithoutCastENSE_16StoreWithoutCastEEEviT_T0_T2_T3_T4_T5_.numbered_sgpr, 12
	.set _ZN2at6native27unrolled_elementwise_kernelIZZZNS0_16atan_kernel_cudaERNS_18TensorIteratorBaseEENKUlvE0_clEvENKUlvE2_clEvEUlN3c108BFloat16EE_St5arrayIPcLm2EELi4E23TrivialOffsetCalculatorILi1EjESD_NS0_6memory15LoadWithoutCastENSE_16StoreWithoutCastEEEviT_T0_T2_T3_T4_T5_.num_named_barrier, 0
	.set _ZN2at6native27unrolled_elementwise_kernelIZZZNS0_16atan_kernel_cudaERNS_18TensorIteratorBaseEENKUlvE0_clEvENKUlvE2_clEvEUlN3c108BFloat16EE_St5arrayIPcLm2EELi4E23TrivialOffsetCalculatorILi1EjESD_NS0_6memory15LoadWithoutCastENSE_16StoreWithoutCastEEEviT_T0_T2_T3_T4_T5_.private_seg_size, 0
	.set _ZN2at6native27unrolled_elementwise_kernelIZZZNS0_16atan_kernel_cudaERNS_18TensorIteratorBaseEENKUlvE0_clEvENKUlvE2_clEvEUlN3c108BFloat16EE_St5arrayIPcLm2EELi4E23TrivialOffsetCalculatorILi1EjESD_NS0_6memory15LoadWithoutCastENSE_16StoreWithoutCastEEEviT_T0_T2_T3_T4_T5_.uses_vcc, 1
	.set _ZN2at6native27unrolled_elementwise_kernelIZZZNS0_16atan_kernel_cudaERNS_18TensorIteratorBaseEENKUlvE0_clEvENKUlvE2_clEvEUlN3c108BFloat16EE_St5arrayIPcLm2EELi4E23TrivialOffsetCalculatorILi1EjESD_NS0_6memory15LoadWithoutCastENSE_16StoreWithoutCastEEEviT_T0_T2_T3_T4_T5_.uses_flat_scratch, 0
	.set _ZN2at6native27unrolled_elementwise_kernelIZZZNS0_16atan_kernel_cudaERNS_18TensorIteratorBaseEENKUlvE0_clEvENKUlvE2_clEvEUlN3c108BFloat16EE_St5arrayIPcLm2EELi4E23TrivialOffsetCalculatorILi1EjESD_NS0_6memory15LoadWithoutCastENSE_16StoreWithoutCastEEEviT_T0_T2_T3_T4_T5_.has_dyn_sized_stack, 0
	.set _ZN2at6native27unrolled_elementwise_kernelIZZZNS0_16atan_kernel_cudaERNS_18TensorIteratorBaseEENKUlvE0_clEvENKUlvE2_clEvEUlN3c108BFloat16EE_St5arrayIPcLm2EELi4E23TrivialOffsetCalculatorILi1EjESD_NS0_6memory15LoadWithoutCastENSE_16StoreWithoutCastEEEviT_T0_T2_T3_T4_T5_.has_recursion, 0
	.set _ZN2at6native27unrolled_elementwise_kernelIZZZNS0_16atan_kernel_cudaERNS_18TensorIteratorBaseEENKUlvE0_clEvENKUlvE2_clEvEUlN3c108BFloat16EE_St5arrayIPcLm2EELi4E23TrivialOffsetCalculatorILi1EjESD_NS0_6memory15LoadWithoutCastENSE_16StoreWithoutCastEEEviT_T0_T2_T3_T4_T5_.has_indirect_call, 0
	.section	.AMDGPU.csdata,"",@progbits
; Kernel info:
; codeLenInByte = 1460
; TotalNumSgprs: 14
; NumVgprs: 10
; ScratchSize: 0
; MemoryBound: 0
; FloatMode: 240
; IeeeMode: 1
; LDSByteSize: 0 bytes/workgroup (compile time only)
; SGPRBlocks: 0
; VGPRBlocks: 1
; NumSGPRsForWavesPerEU: 14
; NumVGPRsForWavesPerEU: 10
; Occupancy: 16
; WaveLimiterHint : 0
; COMPUTE_PGM_RSRC2:SCRATCH_EN: 0
; COMPUTE_PGM_RSRC2:USER_SGPR: 6
; COMPUTE_PGM_RSRC2:TRAP_HANDLER: 0
; COMPUTE_PGM_RSRC2:TGID_X_EN: 1
; COMPUTE_PGM_RSRC2:TGID_Y_EN: 0
; COMPUTE_PGM_RSRC2:TGID_Z_EN: 0
; COMPUTE_PGM_RSRC2:TIDIG_COMP_CNT: 0
	.section	.text._ZN2at6native32elementwise_kernel_manual_unrollILi128ELi8EZNS0_22gpu_kernel_impl_nocastIZZZNS0_16atan_kernel_cudaERNS_18TensorIteratorBaseEENKUlvE0_clEvENKUlvE2_clEvEUlN3c108BFloat16EE_EEvS4_RKT_EUlibE_EEviT1_,"axG",@progbits,_ZN2at6native32elementwise_kernel_manual_unrollILi128ELi8EZNS0_22gpu_kernel_impl_nocastIZZZNS0_16atan_kernel_cudaERNS_18TensorIteratorBaseEENKUlvE0_clEvENKUlvE2_clEvEUlN3c108BFloat16EE_EEvS4_RKT_EUlibE_EEviT1_,comdat
	.globl	_ZN2at6native32elementwise_kernel_manual_unrollILi128ELi8EZNS0_22gpu_kernel_impl_nocastIZZZNS0_16atan_kernel_cudaERNS_18TensorIteratorBaseEENKUlvE0_clEvENKUlvE2_clEvEUlN3c108BFloat16EE_EEvS4_RKT_EUlibE_EEviT1_ ; -- Begin function _ZN2at6native32elementwise_kernel_manual_unrollILi128ELi8EZNS0_22gpu_kernel_impl_nocastIZZZNS0_16atan_kernel_cudaERNS_18TensorIteratorBaseEENKUlvE0_clEvENKUlvE2_clEvEUlN3c108BFloat16EE_EEvS4_RKT_EUlibE_EEviT1_
	.p2align	8
	.type	_ZN2at6native32elementwise_kernel_manual_unrollILi128ELi8EZNS0_22gpu_kernel_impl_nocastIZZZNS0_16atan_kernel_cudaERNS_18TensorIteratorBaseEENKUlvE0_clEvENKUlvE2_clEvEUlN3c108BFloat16EE_EEvS4_RKT_EUlibE_EEviT1_,@function
_ZN2at6native32elementwise_kernel_manual_unrollILi128ELi8EZNS0_22gpu_kernel_impl_nocastIZZZNS0_16atan_kernel_cudaERNS_18TensorIteratorBaseEENKUlvE0_clEvENKUlvE2_clEvEUlN3c108BFloat16EE_EEvS4_RKT_EUlibE_EEviT1_: ; @_ZN2at6native32elementwise_kernel_manual_unrollILi128ELi8EZNS0_22gpu_kernel_impl_nocastIZZZNS0_16atan_kernel_cudaERNS_18TensorIteratorBaseEENKUlvE0_clEvENKUlvE2_clEvEUlN3c108BFloat16EE_EEvS4_RKT_EUlibE_EEviT1_
; %bb.0:
	s_clause 0x1
	s_load_dword s22, s[4:5], 0x8
	s_load_dword s27, s[4:5], 0x0
	v_lshl_or_b32 v18, s6, 10, v0
	s_add_u32 s12, s4, 8
	s_addc_u32 s13, s5, 0
	s_mov_b32 s0, exec_lo
	v_or_b32_e32 v24, 0x380, v18
	s_waitcnt lgkmcnt(0)
	s_add_i32 s23, s22, -1
	s_cmp_gt_u32 s23, 1
	s_cselect_b32 s24, -1, 0
	v_cmpx_le_i32_e64 s27, v24
	s_xor_b32 s25, exec_lo, s0
	s_cbranch_execz .LBB29_7
; %bb.1:
	s_clause 0x3
	s_load_dwordx4 s[8:11], s[12:13], 0x4
	s_load_dwordx2 s[14:15], s[12:13], 0x14
	s_load_dwordx4 s[4:7], s[12:13], 0xc4
	s_load_dwordx4 s[0:3], s[12:13], 0x148
	s_cmp_lg_u32 s22, 0
	s_mov_b32 s30, exec_lo
	s_cselect_b32 s29, -1, 0
	s_add_u32 s16, s12, 0xc4
	s_addc_u32 s17, s13, 0
	s_min_u32 s28, s23, 15
	s_cmp_gt_u32 s22, 1
	s_cselect_b32 s26, -1, 0
	v_cmpx_gt_i32_e64 s27, v18
	s_cbranch_execz .LBB29_14
; %bb.2:
	s_andn2_b32 vcc_lo, exec_lo, s24
	s_cbranch_vccnz .LBB29_21
; %bb.3:
	s_andn2_b32 vcc_lo, exec_lo, s29
	s_cbranch_vccnz .LBB29_129
; %bb.4:
	s_add_i32 s33, s28, 1
	s_cmp_eq_u32 s23, 2
	s_cbranch_scc1 .LBB29_131
; %bb.5:
	v_mov_b32_e32 v2, 0
	v_mov_b32_e32 v0, 0
	;; [unrolled: 1-line block ×3, first 2 shown]
	s_and_b32 s31, s33, 28
	s_mov_b32 s34, 0
	s_mov_b64 s[18:19], s[12:13]
	s_mov_b64 s[20:21], s[16:17]
.LBB29_6:                               ; =>This Inner Loop Header: Depth=1
	s_clause 0x1
	s_load_dwordx8 s[36:43], s[18:19], 0x4
	s_load_dwordx4 s[52:55], s[18:19], 0x24
	s_load_dwordx8 s[44:51], s[20:21], 0x0
	s_add_u32 s18, s18, 48
	s_addc_u32 s19, s19, 0
	s_add_i32 s34, s34, 4
	s_add_u32 s20, s20, 32
	s_addc_u32 s21, s21, 0
	s_cmp_lg_u32 s31, s34
	s_waitcnt lgkmcnt(0)
	v_mul_hi_u32 v3, s37, v1
	v_add_nc_u32_e32 v3, v1, v3
	v_lshrrev_b32_e32 v3, s38, v3
	v_mul_hi_u32 v4, s40, v3
	v_mul_lo_u32 v6, v3, s36
	v_add_nc_u32_e32 v4, v3, v4
	v_sub_nc_u32_e32 v1, v1, v6
	v_lshrrev_b32_e32 v4, s41, v4
	v_mul_lo_u32 v6, v1, s44
	v_mul_lo_u32 v8, v1, s45
	v_mul_hi_u32 v5, s43, v4
	v_add_nc_u32_e32 v5, v4, v5
	v_lshrrev_b32_e32 v5, s52, v5
	v_mul_hi_u32 v7, s54, v5
	v_mul_lo_u32 v9, v5, s42
	v_add_nc_u32_e32 v1, v5, v7
	v_mul_lo_u32 v7, v4, s39
	v_sub_nc_u32_e32 v4, v4, v9
	v_lshrrev_b32_e32 v1, s55, v1
	v_mul_lo_u32 v9, v4, s48
	v_mul_lo_u32 v4, v4, s49
	v_sub_nc_u32_e32 v3, v3, v7
	v_mul_lo_u32 v10, v1, s53
	v_mul_lo_u32 v7, v3, s46
	;; [unrolled: 1-line block ×3, first 2 shown]
	v_sub_nc_u32_e32 v5, v5, v10
	v_add3_u32 v0, v6, v0, v7
	v_mul_lo_u32 v10, v5, s50
	v_mul_lo_u32 v5, v5, s51
	v_add3_u32 v2, v8, v2, v3
	v_add3_u32 v0, v9, v0, v10
	v_add3_u32 v2, v4, v2, v5
	s_cbranch_scc1 .LBB29_6
	s_branch .LBB29_132
.LBB29_7:
	s_andn2_saveexec_b32 s0, s25
	s_cbranch_execz .LBB29_221
.LBB29_8:
	v_cndmask_b32_e64 v21, 0, 1, s24
	s_andn2_b32 vcc_lo, exec_lo, s24
	s_cbranch_vccnz .LBB29_20
; %bb.9:
	s_cmp_lg_u32 s22, 0
	s_mov_b32 s4, 0
	s_cbranch_scc0 .LBB29_23
; %bb.10:
	s_min_u32 s6, s23, 15
	s_add_i32 s6, s6, 1
	s_cmp_eq_u32 s23, 2
	s_cbranch_scc1 .LBB29_24
; %bb.11:
	v_mov_b32_e32 v3, 0
	v_mov_b32_e32 v0, 0
	;; [unrolled: 1-line block ×3, first 2 shown]
	s_and_b32 s5, s6, 28
	s_add_u32 s0, s12, 0xc4
	s_addc_u32 s1, s13, 0
	s_mov_b32 s7, 0
	s_mov_b64 s[2:3], s[12:13]
.LBB29_12:                              ; =>This Inner Loop Header: Depth=1
	s_clause 0x1
	s_load_dwordx8 s[24:31], s[2:3], 0x4
	s_load_dwordx4 s[8:11], s[2:3], 0x24
	s_load_dwordx8 s[36:43], s[0:1], 0x0
	s_add_u32 s2, s2, 48
	s_addc_u32 s3, s3, 0
	s_add_i32 s7, s7, 4
	s_add_u32 s0, s0, 32
	s_addc_u32 s1, s1, 0
	s_cmp_lg_u32 s5, s7
	s_waitcnt lgkmcnt(0)
	v_mul_hi_u32 v2, s25, v1
	v_add_nc_u32_e32 v2, v1, v2
	v_lshrrev_b32_e32 v2, s26, v2
	v_mul_hi_u32 v4, s28, v2
	v_mul_lo_u32 v6, v2, s24
	v_add_nc_u32_e32 v4, v2, v4
	v_sub_nc_u32_e32 v1, v1, v6
	v_lshrrev_b32_e32 v4, s29, v4
	v_mul_lo_u32 v6, v1, s36
	v_mul_lo_u32 v8, v1, s37
	v_mul_hi_u32 v5, s31, v4
	v_add_nc_u32_e32 v5, v4, v5
	v_lshrrev_b32_e32 v5, s8, v5
	v_mul_hi_u32 v7, s10, v5
	v_mul_lo_u32 v9, v5, s30
	v_add_nc_u32_e32 v1, v5, v7
	v_mul_lo_u32 v7, v4, s27
	v_sub_nc_u32_e32 v4, v4, v9
	v_lshrrev_b32_e32 v1, s11, v1
	v_mul_lo_u32 v9, v4, s40
	v_mul_lo_u32 v4, v4, s41
	v_sub_nc_u32_e32 v2, v2, v7
	v_mul_lo_u32 v10, v1, s9
	v_mul_lo_u32 v7, v2, s38
	;; [unrolled: 1-line block ×3, first 2 shown]
	v_sub_nc_u32_e32 v5, v5, v10
	v_add3_u32 v0, v6, v0, v7
	v_mul_lo_u32 v10, v5, s42
	v_mul_lo_u32 v5, v5, s43
	v_add3_u32 v2, v8, v3, v2
	v_add3_u32 v0, v9, v0, v10
	;; [unrolled: 1-line block ×3, first 2 shown]
	s_cbranch_scc1 .LBB29_12
; %bb.13:
	s_and_b32 s6, s6, 3
	s_cmp_eq_u32 s6, 0
	s_cbranch_scc0 .LBB29_25
	s_branch .LBB29_27
.LBB29_14:
	s_or_b32 exec_lo, exec_lo, s30
	s_mov_b32 s30, exec_lo
	v_cmpx_gt_i32_e64 s27, v18
	s_cbranch_execz .LBB29_139
.LBB29_15:
	s_andn2_b32 vcc_lo, exec_lo, s24
	s_cbranch_vccnz .LBB29_22
; %bb.16:
	s_andn2_b32 vcc_lo, exec_lo, s29
	s_cbranch_vccnz .LBB29_130
; %bb.17:
	s_add_i32 s33, s28, 1
	s_cmp_eq_u32 s23, 2
	s_cbranch_scc1 .LBB29_147
; %bb.18:
	v_mov_b32_e32 v2, 0
	v_mov_b32_e32 v0, 0
	;; [unrolled: 1-line block ×3, first 2 shown]
	s_and_b32 s31, s33, 28
	s_mov_b32 s34, 0
	s_mov_b64 s[18:19], s[12:13]
	s_mov_b64 s[20:21], s[16:17]
.LBB29_19:                              ; =>This Inner Loop Header: Depth=1
	s_clause 0x1
	s_load_dwordx8 s[36:43], s[18:19], 0x4
	s_load_dwordx4 s[52:55], s[18:19], 0x24
	s_load_dwordx8 s[44:51], s[20:21], 0x0
	s_add_u32 s18, s18, 48
	s_addc_u32 s19, s19, 0
	s_add_i32 s34, s34, 4
	s_add_u32 s20, s20, 32
	s_addc_u32 s21, s21, 0
	s_cmp_eq_u32 s31, s34
	s_waitcnt lgkmcnt(0)
	v_mul_hi_u32 v3, s37, v1
	v_add_nc_u32_e32 v3, v1, v3
	v_lshrrev_b32_e32 v3, s38, v3
	v_mul_hi_u32 v4, s40, v3
	v_mul_lo_u32 v6, v3, s36
	v_add_nc_u32_e32 v4, v3, v4
	v_sub_nc_u32_e32 v1, v1, v6
	v_lshrrev_b32_e32 v4, s41, v4
	v_mul_lo_u32 v6, v1, s44
	v_mul_lo_u32 v8, v1, s45
	v_mul_hi_u32 v5, s43, v4
	v_add_nc_u32_e32 v5, v4, v5
	v_lshrrev_b32_e32 v5, s52, v5
	v_mul_hi_u32 v7, s54, v5
	v_mul_lo_u32 v9, v5, s42
	v_add_nc_u32_e32 v1, v5, v7
	v_mul_lo_u32 v7, v4, s39
	v_sub_nc_u32_e32 v4, v4, v9
	v_lshrrev_b32_e32 v1, s55, v1
	v_mul_lo_u32 v9, v4, s48
	v_mul_lo_u32 v4, v4, s49
	v_sub_nc_u32_e32 v3, v3, v7
	v_mul_lo_u32 v10, v1, s53
	v_mul_lo_u32 v7, v3, s46
	v_mul_lo_u32 v3, v3, s47
	v_sub_nc_u32_e32 v5, v5, v10
	v_add3_u32 v0, v6, v0, v7
	v_mul_lo_u32 v10, v5, s50
	v_mul_lo_u32 v5, v5, s51
	v_add3_u32 v2, v8, v2, v3
	v_add3_u32 v0, v9, v0, v10
	;; [unrolled: 1-line block ×3, first 2 shown]
	s_cbranch_scc0 .LBB29_19
	s_branch .LBB29_148
.LBB29_20:
	s_mov_b32 s4, -1
                                        ; implicit-def: $vgpr0
                                        ; implicit-def: $vgpr3
	s_branch .LBB29_27
.LBB29_21:
                                        ; implicit-def: $vgpr0
                                        ; implicit-def: $vgpr2
	s_branch .LBB29_136
.LBB29_22:
                                        ; implicit-def: $vgpr0
                                        ; implicit-def: $vgpr2
	s_branch .LBB29_152
.LBB29_23:
	v_mov_b32_e32 v0, 0
	v_mov_b32_e32 v3, 0
	s_branch .LBB29_27
.LBB29_24:
	v_mov_b32_e32 v0, 0
	v_mov_b32_e32 v3, 0
	;; [unrolled: 1-line block ×3, first 2 shown]
	s_mov_b32 s5, 0
	s_and_b32 s6, s6, 3
	s_cmp_eq_u32 s6, 0
	s_cbranch_scc1 .LBB29_27
.LBB29_25:
	s_lshl_b32 s0, s5, 3
	s_mul_i32 s2, s5, 12
	s_add_u32 s0, s12, s0
	s_addc_u32 s1, s13, 0
	s_add_u32 s0, s0, 0xc4
	s_addc_u32 s1, s1, 0
	;; [unrolled: 2-line block ×3, first 2 shown]
	.p2align	6
.LBB29_26:                              ; =>This Inner Loop Header: Depth=1
	s_clause 0x1
	s_load_dwordx2 s[8:9], s[2:3], 0x4
	s_load_dword s5, s[2:3], 0xc
	s_load_dwordx2 s[10:11], s[0:1], 0x0
	s_add_u32 s2, s2, 12
	s_addc_u32 s3, s3, 0
	s_add_u32 s0, s0, 8
	s_addc_u32 s1, s1, 0
	s_add_i32 s6, s6, -1
	s_cmp_lg_u32 s6, 0
	s_waitcnt lgkmcnt(0)
	v_mul_hi_u32 v2, s9, v1
	v_add_nc_u32_e32 v2, v1, v2
	v_lshrrev_b32_e32 v2, s5, v2
	v_mul_lo_u32 v4, v2, s8
	v_sub_nc_u32_e32 v4, v1, v4
	v_mad_u64_u32 v[0:1], null, v4, s10, v[0:1]
	v_mad_u64_u32 v[3:4], null, v4, s11, v[3:4]
	v_mov_b32_e32 v1, v2
	s_cbranch_scc1 .LBB29_26
.LBB29_27:
	s_andn2_b32 vcc_lo, exec_lo, s4
	s_cbranch_vccnz .LBB29_30
; %bb.28:
	s_clause 0x1
	s_load_dwordx4 s[0:3], s[12:13], 0x4
	s_load_dwordx2 s[4:5], s[12:13], 0xc4
	s_cmp_lt_u32 s22, 2
	s_waitcnt lgkmcnt(0)
	v_mul_hi_u32 v0, s1, v18
	v_add_nc_u32_e32 v0, v18, v0
	v_lshrrev_b32_e32 v1, s2, v0
	v_mul_lo_u32 v0, v1, s0
	v_sub_nc_u32_e32 v2, v18, v0
	v_mul_lo_u32 v0, v2, s4
	v_mul_lo_u32 v3, v2, s5
	s_cbranch_scc1 .LBB29_30
; %bb.29:
	s_clause 0x1
	s_load_dwordx4 s[0:3], s[12:13], 0x10
	s_load_dwordx2 s[4:5], s[12:13], 0xcc
	s_waitcnt lgkmcnt(0)
	v_mul_hi_u32 v2, s1, v1
	v_add_nc_u32_e32 v2, v1, v2
	v_lshrrev_b32_e32 v2, s2, v2
	v_mul_lo_u32 v2, v2, s0
	v_sub_nc_u32_e32 v2, v1, v2
	v_mad_u64_u32 v[0:1], null, v2, s4, v[0:1]
	v_mad_u64_u32 v[3:4], null, v2, s5, v[3:4]
.LBB29_30:
	v_cmp_ne_u32_e32 vcc_lo, 1, v21
	v_add_nc_u32_e32 v4, 0x80, v18
	s_cbranch_vccnz .LBB29_36
; %bb.31:
	s_cmp_lg_u32 s22, 0
	s_mov_b32 s4, 0
	s_cbranch_scc0 .LBB29_37
; %bb.32:
	s_min_u32 s6, s23, 15
	s_add_i32 s6, s6, 1
	s_cmp_eq_u32 s23, 2
	s_cbranch_scc1 .LBB29_38
; %bb.33:
	v_mov_b32_e32 v6, 0
	v_mov_b32_e32 v1, 0
	;; [unrolled: 1-line block ×3, first 2 shown]
	s_and_b32 s5, s6, 28
	s_add_u32 s0, s12, 0xc4
	s_addc_u32 s1, s13, 0
	s_mov_b32 s7, 0
	s_mov_b64 s[2:3], s[12:13]
.LBB29_34:                              ; =>This Inner Loop Header: Depth=1
	s_clause 0x1
	s_load_dwordx8 s[24:31], s[2:3], 0x4
	s_load_dwordx4 s[8:11], s[2:3], 0x24
	s_load_dwordx8 s[36:43], s[0:1], 0x0
	s_add_u32 s2, s2, 48
	s_addc_u32 s3, s3, 0
	s_add_i32 s7, s7, 4
	s_add_u32 s0, s0, 32
	s_addc_u32 s1, s1, 0
	s_cmp_lg_u32 s5, s7
	s_waitcnt lgkmcnt(0)
	v_mul_hi_u32 v5, s25, v2
	v_add_nc_u32_e32 v5, v2, v5
	v_lshrrev_b32_e32 v5, s26, v5
	v_mul_hi_u32 v7, s28, v5
	v_mul_lo_u32 v9, v5, s24
	v_add_nc_u32_e32 v7, v5, v7
	v_sub_nc_u32_e32 v2, v2, v9
	v_lshrrev_b32_e32 v7, s29, v7
	v_mul_lo_u32 v9, v2, s36
	v_mul_lo_u32 v11, v2, s37
	v_mul_hi_u32 v8, s31, v7
	v_add_nc_u32_e32 v8, v7, v8
	v_lshrrev_b32_e32 v8, s8, v8
	v_mul_hi_u32 v10, s10, v8
	v_mul_lo_u32 v12, v8, s30
	v_add_nc_u32_e32 v2, v8, v10
	v_mul_lo_u32 v10, v7, s27
	v_sub_nc_u32_e32 v7, v7, v12
	v_lshrrev_b32_e32 v2, s11, v2
	v_mul_lo_u32 v12, v7, s40
	v_mul_lo_u32 v7, v7, s41
	v_sub_nc_u32_e32 v5, v5, v10
	v_mul_lo_u32 v13, v2, s9
	v_mul_lo_u32 v10, v5, s38
	;; [unrolled: 1-line block ×3, first 2 shown]
	v_sub_nc_u32_e32 v8, v8, v13
	v_add3_u32 v1, v9, v1, v10
	v_mul_lo_u32 v13, v8, s42
	v_mul_lo_u32 v8, v8, s43
	v_add3_u32 v5, v11, v6, v5
	v_add3_u32 v1, v12, v1, v13
	;; [unrolled: 1-line block ×3, first 2 shown]
	s_cbranch_scc1 .LBB29_34
; %bb.35:
	s_and_b32 s6, s6, 3
	s_cmp_eq_u32 s6, 0
	s_cbranch_scc0 .LBB29_39
	s_branch .LBB29_41
.LBB29_36:
	s_mov_b32 s4, -1
                                        ; implicit-def: $vgpr1
                                        ; implicit-def: $vgpr6
	s_branch .LBB29_41
.LBB29_37:
	v_mov_b32_e32 v1, 0
	v_mov_b32_e32 v6, 0
	s_branch .LBB29_41
.LBB29_38:
	v_mov_b32_e32 v1, 0
	v_mov_b32_e32 v6, 0
	;; [unrolled: 1-line block ×3, first 2 shown]
	s_mov_b32 s5, 0
	s_and_b32 s6, s6, 3
	s_cmp_eq_u32 s6, 0
	s_cbranch_scc1 .LBB29_41
.LBB29_39:
	s_lshl_b32 s0, s5, 3
	s_mul_i32 s2, s5, 12
	s_add_u32 s0, s12, s0
	s_addc_u32 s1, s13, 0
	s_add_u32 s0, s0, 0xc4
	s_addc_u32 s1, s1, 0
	;; [unrolled: 2-line block ×3, first 2 shown]
	.p2align	6
.LBB29_40:                              ; =>This Inner Loop Header: Depth=1
	s_clause 0x1
	s_load_dwordx2 s[8:9], s[2:3], 0x4
	s_load_dword s5, s[2:3], 0xc
	s_load_dwordx2 s[10:11], s[0:1], 0x0
	s_add_u32 s2, s2, 12
	s_addc_u32 s3, s3, 0
	s_add_u32 s0, s0, 8
	s_addc_u32 s1, s1, 0
	s_add_i32 s6, s6, -1
	s_cmp_lg_u32 s6, 0
	s_waitcnt lgkmcnt(0)
	v_mul_hi_u32 v5, s9, v2
	v_add_nc_u32_e32 v5, v2, v5
	v_lshrrev_b32_e32 v5, s5, v5
	v_mul_lo_u32 v7, v5, s8
	v_sub_nc_u32_e32 v7, v2, v7
	v_mad_u64_u32 v[1:2], null, v7, s10, v[1:2]
	v_mad_u64_u32 v[6:7], null, v7, s11, v[6:7]
	v_mov_b32_e32 v2, v5
	s_cbranch_scc1 .LBB29_40
.LBB29_41:
	s_andn2_b32 vcc_lo, exec_lo, s4
	s_cbranch_vccnz .LBB29_44
; %bb.42:
	s_clause 0x1
	s_load_dwordx4 s[0:3], s[12:13], 0x4
	s_load_dwordx2 s[4:5], s[12:13], 0xc4
	s_cmp_lt_u32 s22, 2
	s_waitcnt lgkmcnt(0)
	v_mul_hi_u32 v1, s1, v4
	v_add_nc_u32_e32 v1, v4, v1
	v_lshrrev_b32_e32 v2, s2, v1
	v_mul_lo_u32 v1, v2, s0
	v_sub_nc_u32_e32 v4, v4, v1
	v_mul_lo_u32 v1, v4, s4
	v_mul_lo_u32 v6, v4, s5
	s_cbranch_scc1 .LBB29_44
; %bb.43:
	s_clause 0x1
	s_load_dwordx4 s[0:3], s[12:13], 0x10
	s_load_dwordx2 s[4:5], s[12:13], 0xcc
	s_waitcnt lgkmcnt(0)
	v_mul_hi_u32 v4, s1, v2
	v_add_nc_u32_e32 v4, v2, v4
	v_lshrrev_b32_e32 v4, s2, v4
	v_mul_lo_u32 v4, v4, s0
	v_sub_nc_u32_e32 v4, v2, v4
	v_mad_u64_u32 v[1:2], null, v4, s4, v[1:2]
	v_mad_u64_u32 v[6:7], null, v4, s5, v[6:7]
.LBB29_44:
	v_cmp_ne_u32_e32 vcc_lo, 1, v21
	v_add_nc_u32_e32 v2, 0x100, v18
	s_cbranch_vccnz .LBB29_50
; %bb.45:
	s_cmp_lg_u32 s22, 0
	s_mov_b32 s4, 0
	s_cbranch_scc0 .LBB29_51
; %bb.46:
	s_min_u32 s6, s23, 15
	s_add_i32 s6, s6, 1
	s_cmp_eq_u32 s23, 2
	s_cbranch_scc1 .LBB29_52
; %bb.47:
	v_mov_b32_e32 v9, 0
	v_mov_b32_e32 v4, 0
	;; [unrolled: 1-line block ×3, first 2 shown]
	s_and_b32 s5, s6, 28
	s_add_u32 s0, s12, 0xc4
	s_addc_u32 s1, s13, 0
	s_mov_b32 s7, 0
	s_mov_b64 s[2:3], s[12:13]
.LBB29_48:                              ; =>This Inner Loop Header: Depth=1
	s_clause 0x1
	s_load_dwordx8 s[24:31], s[2:3], 0x4
	s_load_dwordx4 s[8:11], s[2:3], 0x24
	s_load_dwordx8 s[36:43], s[0:1], 0x0
	s_add_u32 s2, s2, 48
	s_addc_u32 s3, s3, 0
	s_add_i32 s7, s7, 4
	s_add_u32 s0, s0, 32
	s_addc_u32 s1, s1, 0
	s_cmp_lg_u32 s5, s7
	s_waitcnt lgkmcnt(0)
	v_mul_hi_u32 v7, s25, v5
	v_add_nc_u32_e32 v7, v5, v7
	v_lshrrev_b32_e32 v7, s26, v7
	v_mul_hi_u32 v8, s28, v7
	v_mul_lo_u32 v11, v7, s24
	v_add_nc_u32_e32 v8, v7, v8
	v_sub_nc_u32_e32 v5, v5, v11
	v_lshrrev_b32_e32 v8, s29, v8
	v_mul_lo_u32 v11, v5, s36
	v_mul_lo_u32 v13, v5, s37
	v_mul_hi_u32 v10, s31, v8
	v_add_nc_u32_e32 v10, v8, v10
	v_lshrrev_b32_e32 v10, s8, v10
	v_mul_hi_u32 v12, s10, v10
	v_mul_lo_u32 v14, v10, s30
	v_add_nc_u32_e32 v5, v10, v12
	v_mul_lo_u32 v12, v8, s27
	v_sub_nc_u32_e32 v8, v8, v14
	v_lshrrev_b32_e32 v5, s11, v5
	v_mul_lo_u32 v14, v8, s40
	v_mul_lo_u32 v8, v8, s41
	v_sub_nc_u32_e32 v7, v7, v12
	v_mul_lo_u32 v15, v5, s9
	v_mul_lo_u32 v12, v7, s38
	v_mul_lo_u32 v7, v7, s39
	v_sub_nc_u32_e32 v10, v10, v15
	v_add3_u32 v4, v11, v4, v12
	v_mul_lo_u32 v15, v10, s42
	v_mul_lo_u32 v10, v10, s43
	v_add3_u32 v7, v13, v9, v7
	v_add3_u32 v4, v14, v4, v15
	v_add3_u32 v9, v8, v7, v10
	s_cbranch_scc1 .LBB29_48
; %bb.49:
	s_and_b32 s6, s6, 3
	s_cmp_eq_u32 s6, 0
	s_cbranch_scc0 .LBB29_53
	s_branch .LBB29_55
.LBB29_50:
	s_mov_b32 s4, -1
                                        ; implicit-def: $vgpr4
                                        ; implicit-def: $vgpr9
	s_branch .LBB29_55
.LBB29_51:
	v_mov_b32_e32 v4, 0
	v_mov_b32_e32 v9, 0
	s_branch .LBB29_55
.LBB29_52:
	v_mov_b32_e32 v4, 0
	v_mov_b32_e32 v9, 0
	;; [unrolled: 1-line block ×3, first 2 shown]
	s_mov_b32 s5, 0
	s_and_b32 s6, s6, 3
	s_cmp_eq_u32 s6, 0
	s_cbranch_scc1 .LBB29_55
.LBB29_53:
	s_lshl_b32 s0, s5, 3
	s_mul_i32 s2, s5, 12
	s_add_u32 s0, s12, s0
	s_addc_u32 s1, s13, 0
	s_add_u32 s0, s0, 0xc4
	s_addc_u32 s1, s1, 0
	;; [unrolled: 2-line block ×3, first 2 shown]
	.p2align	6
.LBB29_54:                              ; =>This Inner Loop Header: Depth=1
	s_clause 0x1
	s_load_dwordx2 s[8:9], s[2:3], 0x4
	s_load_dword s5, s[2:3], 0xc
	s_load_dwordx2 s[10:11], s[0:1], 0x0
	s_add_u32 s2, s2, 12
	s_addc_u32 s3, s3, 0
	s_add_u32 s0, s0, 8
	s_addc_u32 s1, s1, 0
	s_add_i32 s6, s6, -1
	s_cmp_lg_u32 s6, 0
	s_waitcnt lgkmcnt(0)
	v_mul_hi_u32 v7, s9, v5
	v_add_nc_u32_e32 v7, v5, v7
	v_lshrrev_b32_e32 v7, s5, v7
	v_mul_lo_u32 v8, v7, s8
	v_sub_nc_u32_e32 v8, v5, v8
	v_mad_u64_u32 v[4:5], null, v8, s10, v[4:5]
	v_mad_u64_u32 v[9:10], null, v8, s11, v[9:10]
	v_mov_b32_e32 v5, v7
	s_cbranch_scc1 .LBB29_54
.LBB29_55:
	s_andn2_b32 vcc_lo, exec_lo, s4
	s_cbranch_vccnz .LBB29_58
; %bb.56:
	s_clause 0x1
	s_load_dwordx4 s[0:3], s[12:13], 0x4
	s_load_dwordx2 s[4:5], s[12:13], 0xc4
	s_cmp_lt_u32 s22, 2
	s_waitcnt lgkmcnt(0)
	v_mul_hi_u32 v4, s1, v2
	v_add_nc_u32_e32 v4, v2, v4
	v_lshrrev_b32_e32 v5, s2, v4
	v_mul_lo_u32 v4, v5, s0
	v_sub_nc_u32_e32 v2, v2, v4
	v_mul_lo_u32 v4, v2, s4
	v_mul_lo_u32 v9, v2, s5
	s_cbranch_scc1 .LBB29_58
; %bb.57:
	s_clause 0x1
	s_load_dwordx4 s[0:3], s[12:13], 0x10
	s_load_dwordx2 s[4:5], s[12:13], 0xcc
	s_waitcnt lgkmcnt(0)
	v_mul_hi_u32 v2, s1, v5
	v_add_nc_u32_e32 v2, v5, v2
	v_lshrrev_b32_e32 v2, s2, v2
	v_mul_lo_u32 v2, v2, s0
	v_sub_nc_u32_e32 v2, v5, v2
	v_mad_u64_u32 v[4:5], null, v2, s4, v[4:5]
	v_mad_u64_u32 v[9:10], null, v2, s5, v[9:10]
.LBB29_58:
	v_cmp_ne_u32_e32 vcc_lo, 1, v21
	v_add_nc_u32_e32 v2, 0x180, v18
	s_cbranch_vccnz .LBB29_64
; %bb.59:
	s_cmp_lg_u32 s22, 0
	s_mov_b32 s4, 0
	s_cbranch_scc0 .LBB29_65
; %bb.60:
	s_min_u32 s6, s23, 15
	s_add_i32 s6, s6, 1
	s_cmp_eq_u32 s23, 2
	s_cbranch_scc1 .LBB29_66
; %bb.61:
	v_mov_b32_e32 v10, 0
	v_mov_b32_e32 v7, 0
	;; [unrolled: 1-line block ×3, first 2 shown]
	s_and_b32 s5, s6, 28
	s_add_u32 s0, s12, 0xc4
	s_addc_u32 s1, s13, 0
	s_mov_b32 s7, 0
	s_mov_b64 s[2:3], s[12:13]
.LBB29_62:                              ; =>This Inner Loop Header: Depth=1
	s_clause 0x1
	s_load_dwordx8 s[24:31], s[2:3], 0x4
	s_load_dwordx4 s[8:11], s[2:3], 0x24
	s_load_dwordx8 s[36:43], s[0:1], 0x0
	s_add_u32 s2, s2, 48
	s_addc_u32 s3, s3, 0
	s_add_i32 s7, s7, 4
	s_add_u32 s0, s0, 32
	s_addc_u32 s1, s1, 0
	s_cmp_lg_u32 s5, s7
	s_waitcnt lgkmcnt(0)
	v_mul_hi_u32 v8, s25, v5
	v_add_nc_u32_e32 v8, v5, v8
	v_lshrrev_b32_e32 v8, s26, v8
	v_mul_hi_u32 v11, s28, v8
	v_mul_lo_u32 v13, v8, s24
	v_add_nc_u32_e32 v11, v8, v11
	v_sub_nc_u32_e32 v5, v5, v13
	v_lshrrev_b32_e32 v11, s29, v11
	v_mul_lo_u32 v13, v5, s36
	v_mul_lo_u32 v15, v5, s37
	v_mul_hi_u32 v12, s31, v11
	v_add_nc_u32_e32 v12, v11, v12
	v_lshrrev_b32_e32 v12, s8, v12
	v_mul_hi_u32 v14, s10, v12
	v_mul_lo_u32 v16, v12, s30
	v_add_nc_u32_e32 v5, v12, v14
	v_mul_lo_u32 v14, v11, s27
	v_sub_nc_u32_e32 v11, v11, v16
	v_lshrrev_b32_e32 v5, s11, v5
	v_mul_lo_u32 v16, v11, s40
	v_mul_lo_u32 v11, v11, s41
	v_sub_nc_u32_e32 v8, v8, v14
	v_mul_lo_u32 v17, v5, s9
	v_mul_lo_u32 v14, v8, s38
	;; [unrolled: 1-line block ×3, first 2 shown]
	v_sub_nc_u32_e32 v12, v12, v17
	v_add3_u32 v7, v13, v7, v14
	v_mul_lo_u32 v17, v12, s42
	v_mul_lo_u32 v12, v12, s43
	v_add3_u32 v8, v15, v10, v8
	v_add3_u32 v7, v16, v7, v17
	;; [unrolled: 1-line block ×3, first 2 shown]
	s_cbranch_scc1 .LBB29_62
; %bb.63:
	s_and_b32 s6, s6, 3
	s_cmp_eq_u32 s6, 0
	s_cbranch_scc0 .LBB29_67
	s_branch .LBB29_69
.LBB29_64:
	s_mov_b32 s4, -1
                                        ; implicit-def: $vgpr7
                                        ; implicit-def: $vgpr10
	s_branch .LBB29_69
.LBB29_65:
	v_mov_b32_e32 v7, 0
	v_mov_b32_e32 v10, 0
	s_branch .LBB29_69
.LBB29_66:
	v_mov_b32_e32 v7, 0
	v_mov_b32_e32 v10, 0
	;; [unrolled: 1-line block ×3, first 2 shown]
	s_mov_b32 s5, 0
	s_and_b32 s6, s6, 3
	s_cmp_eq_u32 s6, 0
	s_cbranch_scc1 .LBB29_69
.LBB29_67:
	s_lshl_b32 s0, s5, 3
	s_mul_i32 s2, s5, 12
	s_add_u32 s0, s12, s0
	s_addc_u32 s1, s13, 0
	s_add_u32 s0, s0, 0xc4
	s_addc_u32 s1, s1, 0
	;; [unrolled: 2-line block ×3, first 2 shown]
	.p2align	6
.LBB29_68:                              ; =>This Inner Loop Header: Depth=1
	s_clause 0x1
	s_load_dwordx2 s[8:9], s[2:3], 0x4
	s_load_dword s5, s[2:3], 0xc
	s_load_dwordx2 s[10:11], s[0:1], 0x0
	s_add_u32 s2, s2, 12
	s_addc_u32 s3, s3, 0
	s_add_u32 s0, s0, 8
	s_addc_u32 s1, s1, 0
	s_add_i32 s6, s6, -1
	s_cmp_lg_u32 s6, 0
	s_waitcnt lgkmcnt(0)
	v_mul_hi_u32 v8, s9, v5
	v_add_nc_u32_e32 v8, v5, v8
	v_lshrrev_b32_e32 v12, s5, v8
	v_mul_lo_u32 v8, v12, s8
	v_sub_nc_u32_e32 v5, v5, v8
	v_mad_u64_u32 v[7:8], null, v5, s10, v[7:8]
	v_mad_u64_u32 v[10:11], null, v5, s11, v[10:11]
	v_mov_b32_e32 v5, v12
	s_cbranch_scc1 .LBB29_68
.LBB29_69:
	s_andn2_b32 vcc_lo, exec_lo, s4
	s_cbranch_vccnz .LBB29_72
; %bb.70:
	s_clause 0x1
	s_load_dwordx4 s[0:3], s[12:13], 0x4
	s_load_dwordx2 s[4:5], s[12:13], 0xc4
	s_cmp_lt_u32 s22, 2
	s_waitcnt lgkmcnt(0)
	v_mul_hi_u32 v5, s1, v2
	v_add_nc_u32_e32 v5, v2, v5
	v_lshrrev_b32_e32 v5, s2, v5
	v_mul_lo_u32 v7, v5, s0
	v_sub_nc_u32_e32 v2, v2, v7
	v_mul_lo_u32 v7, v2, s4
	v_mul_lo_u32 v10, v2, s5
	s_cbranch_scc1 .LBB29_72
; %bb.71:
	s_clause 0x1
	s_load_dwordx4 s[0:3], s[12:13], 0x10
	s_load_dwordx2 s[4:5], s[12:13], 0xcc
	s_waitcnt lgkmcnt(0)
	v_mul_hi_u32 v2, s1, v5
	v_add_nc_u32_e32 v2, v5, v2
	v_lshrrev_b32_e32 v2, s2, v2
	v_mul_lo_u32 v2, v2, s0
	v_sub_nc_u32_e32 v2, v5, v2
	v_mad_u64_u32 v[7:8], null, v2, s4, v[7:8]
	v_mad_u64_u32 v[10:11], null, v2, s5, v[10:11]
.LBB29_72:
	v_cmp_ne_u32_e32 vcc_lo, 1, v21
	v_add_nc_u32_e32 v2, 0x200, v18
	s_cbranch_vccnz .LBB29_78
; %bb.73:
	s_cmp_lg_u32 s22, 0
	s_mov_b32 s4, 0
	s_cbranch_scc0 .LBB29_79
; %bb.74:
	s_min_u32 s6, s23, 15
	s_add_i32 s6, s6, 1
	s_cmp_eq_u32 s23, 2
	s_cbranch_scc1 .LBB29_80
; %bb.75:
	v_mov_b32_e32 v13, 0
	v_mov_b32_e32 v11, 0
	;; [unrolled: 1-line block ×3, first 2 shown]
	s_and_b32 s5, s6, 28
	s_add_u32 s0, s12, 0xc4
	s_addc_u32 s1, s13, 0
	s_mov_b32 s7, 0
	s_mov_b64 s[2:3], s[12:13]
.LBB29_76:                              ; =>This Inner Loop Header: Depth=1
	s_clause 0x1
	s_load_dwordx8 s[24:31], s[2:3], 0x4
	s_load_dwordx4 s[8:11], s[2:3], 0x24
	s_load_dwordx8 s[36:43], s[0:1], 0x0
	s_add_u32 s2, s2, 48
	s_addc_u32 s3, s3, 0
	s_add_i32 s7, s7, 4
	s_add_u32 s0, s0, 32
	s_addc_u32 s1, s1, 0
	s_cmp_lg_u32 s5, s7
	s_waitcnt lgkmcnt(0)
	v_mul_hi_u32 v8, s25, v5
	v_add_nc_u32_e32 v8, v5, v8
	v_lshrrev_b32_e32 v8, s26, v8
	v_mul_hi_u32 v12, s28, v8
	v_mul_lo_u32 v15, v8, s24
	v_add_nc_u32_e32 v12, v8, v12
	v_sub_nc_u32_e32 v5, v5, v15
	v_lshrrev_b32_e32 v12, s29, v12
	v_mul_lo_u32 v15, v5, s36
	v_mul_lo_u32 v17, v5, s37
	v_mul_hi_u32 v14, s31, v12
	v_add_nc_u32_e32 v14, v12, v14
	v_lshrrev_b32_e32 v14, s8, v14
	v_mul_hi_u32 v16, s10, v14
	v_mul_lo_u32 v19, v14, s30
	v_add_nc_u32_e32 v5, v14, v16
	v_mul_lo_u32 v16, v12, s27
	v_sub_nc_u32_e32 v12, v12, v19
	v_lshrrev_b32_e32 v5, s11, v5
	v_mul_lo_u32 v19, v12, s40
	v_mul_lo_u32 v12, v12, s41
	v_sub_nc_u32_e32 v8, v8, v16
	v_mul_lo_u32 v20, v5, s9
	v_mul_lo_u32 v16, v8, s38
	;; [unrolled: 1-line block ×3, first 2 shown]
	v_sub_nc_u32_e32 v14, v14, v20
	v_add3_u32 v11, v15, v11, v16
	v_mul_lo_u32 v20, v14, s42
	v_mul_lo_u32 v14, v14, s43
	v_add3_u32 v8, v17, v13, v8
	v_add3_u32 v11, v19, v11, v20
	v_add3_u32 v13, v12, v8, v14
	s_cbranch_scc1 .LBB29_76
; %bb.77:
	s_and_b32 s6, s6, 3
	s_cmp_eq_u32 s6, 0
	s_cbranch_scc0 .LBB29_81
	s_branch .LBB29_83
.LBB29_78:
	s_mov_b32 s4, -1
                                        ; implicit-def: $vgpr11
                                        ; implicit-def: $vgpr13
	s_branch .LBB29_83
.LBB29_79:
	v_mov_b32_e32 v11, 0
	v_mov_b32_e32 v13, 0
	s_branch .LBB29_83
.LBB29_80:
	v_mov_b32_e32 v11, 0
	v_mov_b32_e32 v13, 0
	;; [unrolled: 1-line block ×3, first 2 shown]
	s_mov_b32 s5, 0
	s_and_b32 s6, s6, 3
	s_cmp_eq_u32 s6, 0
	s_cbranch_scc1 .LBB29_83
.LBB29_81:
	s_lshl_b32 s0, s5, 3
	s_mul_i32 s2, s5, 12
	s_add_u32 s0, s12, s0
	s_addc_u32 s1, s13, 0
	s_add_u32 s0, s0, 0xc4
	s_addc_u32 s1, s1, 0
	;; [unrolled: 2-line block ×3, first 2 shown]
	.p2align	6
.LBB29_82:                              ; =>This Inner Loop Header: Depth=1
	s_clause 0x1
	s_load_dwordx2 s[8:9], s[2:3], 0x4
	s_load_dword s5, s[2:3], 0xc
	s_load_dwordx2 s[10:11], s[0:1], 0x0
	s_add_u32 s2, s2, 12
	s_addc_u32 s3, s3, 0
	s_add_u32 s0, s0, 8
	s_addc_u32 s1, s1, 0
	s_add_i32 s6, s6, -1
	s_cmp_lg_u32 s6, 0
	s_waitcnt lgkmcnt(0)
	v_mul_hi_u32 v8, s9, v5
	v_add_nc_u32_e32 v8, v5, v8
	v_lshrrev_b32_e32 v8, s5, v8
	v_mul_lo_u32 v12, v8, s8
	v_sub_nc_u32_e32 v5, v5, v12
	v_mad_u64_u32 v[11:12], null, v5, s10, v[11:12]
	v_mad_u64_u32 v[13:14], null, v5, s11, v[13:14]
	v_mov_b32_e32 v5, v8
	s_cbranch_scc1 .LBB29_82
.LBB29_83:
	s_andn2_b32 vcc_lo, exec_lo, s4
	s_cbranch_vccnz .LBB29_86
; %bb.84:
	s_clause 0x1
	s_load_dwordx4 s[0:3], s[12:13], 0x4
	s_load_dwordx2 s[4:5], s[12:13], 0xc4
	s_cmp_lt_u32 s22, 2
	s_waitcnt lgkmcnt(0)
	v_mul_hi_u32 v5, s1, v2
	v_add_nc_u32_e32 v5, v2, v5
	v_lshrrev_b32_e32 v5, s2, v5
	v_mul_lo_u32 v8, v5, s0
	v_sub_nc_u32_e32 v2, v2, v8
	v_mul_lo_u32 v11, v2, s4
	v_mul_lo_u32 v13, v2, s5
	s_cbranch_scc1 .LBB29_86
; %bb.85:
	s_clause 0x1
	s_load_dwordx4 s[0:3], s[12:13], 0x10
	s_load_dwordx2 s[4:5], s[12:13], 0xcc
	s_waitcnt lgkmcnt(0)
	v_mul_hi_u32 v2, s1, v5
	v_add_nc_u32_e32 v2, v5, v2
	v_lshrrev_b32_e32 v2, s2, v2
	v_mul_lo_u32 v2, v2, s0
	v_sub_nc_u32_e32 v2, v5, v2
	v_mad_u64_u32 v[11:12], null, v2, s4, v[11:12]
	v_mad_u64_u32 v[13:14], null, v2, s5, v[13:14]
.LBB29_86:
	v_cmp_ne_u32_e32 vcc_lo, 1, v21
	v_add_nc_u32_e32 v2, 0x280, v18
	s_cbranch_vccnz .LBB29_92
; %bb.87:
	s_cmp_lg_u32 s22, 0
	s_mov_b32 s4, 0
	s_cbranch_scc0 .LBB29_93
; %bb.88:
	s_min_u32 s6, s23, 15
	s_add_i32 s6, s6, 1
	s_cmp_eq_u32 s23, 2
	s_cbranch_scc1 .LBB29_94
; %bb.89:
	v_mov_b32_e32 v16, 0
	v_mov_b32_e32 v14, 0
	;; [unrolled: 1-line block ×3, first 2 shown]
	s_and_b32 s5, s6, 28
	s_add_u32 s0, s12, 0xc4
	s_addc_u32 s1, s13, 0
	s_mov_b32 s7, 0
	s_mov_b64 s[2:3], s[12:13]
.LBB29_90:                              ; =>This Inner Loop Header: Depth=1
	s_clause 0x1
	s_load_dwordx8 s[24:31], s[2:3], 0x4
	s_load_dwordx4 s[8:11], s[2:3], 0x24
	s_load_dwordx8 s[36:43], s[0:1], 0x0
	s_add_u32 s2, s2, 48
	s_addc_u32 s3, s3, 0
	s_add_i32 s7, s7, 4
	s_add_u32 s0, s0, 32
	s_addc_u32 s1, s1, 0
	s_cmp_lg_u32 s5, s7
	s_waitcnt lgkmcnt(0)
	v_mul_hi_u32 v8, s25, v5
	v_add_nc_u32_e32 v8, v5, v8
	v_lshrrev_b32_e32 v8, s26, v8
	v_mul_hi_u32 v12, s28, v8
	v_mul_lo_u32 v17, v8, s24
	v_add_nc_u32_e32 v12, v8, v12
	v_sub_nc_u32_e32 v5, v5, v17
	v_lshrrev_b32_e32 v12, s29, v12
	v_mul_lo_u32 v17, v5, s36
	v_mul_lo_u32 v20, v5, s37
	v_mul_hi_u32 v15, s31, v12
	v_add_nc_u32_e32 v15, v12, v15
	v_lshrrev_b32_e32 v15, s8, v15
	v_mul_hi_u32 v19, s10, v15
	v_mul_lo_u32 v22, v15, s30
	v_add_nc_u32_e32 v5, v15, v19
	v_mul_lo_u32 v19, v12, s27
	v_sub_nc_u32_e32 v12, v12, v22
	v_lshrrev_b32_e32 v5, s11, v5
	v_mul_lo_u32 v22, v12, s40
	v_mul_lo_u32 v12, v12, s41
	v_sub_nc_u32_e32 v8, v8, v19
	v_mul_lo_u32 v23, v5, s9
	v_mul_lo_u32 v19, v8, s38
	v_mul_lo_u32 v8, v8, s39
	v_sub_nc_u32_e32 v15, v15, v23
	v_add3_u32 v14, v17, v14, v19
	v_mul_lo_u32 v23, v15, s42
	v_mul_lo_u32 v15, v15, s43
	v_add3_u32 v8, v20, v16, v8
	v_add3_u32 v14, v22, v14, v23
	;; [unrolled: 1-line block ×3, first 2 shown]
	s_cbranch_scc1 .LBB29_90
; %bb.91:
	s_and_b32 s6, s6, 3
	s_cmp_eq_u32 s6, 0
	s_cbranch_scc0 .LBB29_95
	s_branch .LBB29_97
.LBB29_92:
	s_mov_b32 s4, -1
                                        ; implicit-def: $vgpr14
                                        ; implicit-def: $vgpr16
	s_branch .LBB29_97
.LBB29_93:
	v_mov_b32_e32 v14, 0
	v_mov_b32_e32 v16, 0
	s_branch .LBB29_97
.LBB29_94:
	v_mov_b32_e32 v14, 0
	v_mov_b32_e32 v16, 0
	;; [unrolled: 1-line block ×3, first 2 shown]
	s_mov_b32 s5, 0
	s_and_b32 s6, s6, 3
	s_cmp_eq_u32 s6, 0
	s_cbranch_scc1 .LBB29_97
.LBB29_95:
	s_lshl_b32 s0, s5, 3
	s_mul_i32 s2, s5, 12
	s_add_u32 s0, s12, s0
	s_addc_u32 s1, s13, 0
	s_add_u32 s0, s0, 0xc4
	s_addc_u32 s1, s1, 0
	;; [unrolled: 2-line block ×3, first 2 shown]
	.p2align	6
.LBB29_96:                              ; =>This Inner Loop Header: Depth=1
	s_clause 0x1
	s_load_dwordx2 s[8:9], s[2:3], 0x4
	s_load_dword s5, s[2:3], 0xc
	s_load_dwordx2 s[10:11], s[0:1], 0x0
	s_add_u32 s2, s2, 12
	s_addc_u32 s3, s3, 0
	s_add_u32 s0, s0, 8
	s_addc_u32 s1, s1, 0
	s_add_i32 s6, s6, -1
	s_cmp_lg_u32 s6, 0
	s_waitcnt lgkmcnt(0)
	v_mul_hi_u32 v8, s9, v5
	v_add_nc_u32_e32 v8, v5, v8
	v_lshrrev_b32_e32 v8, s5, v8
	v_mul_lo_u32 v12, v8, s8
	v_sub_nc_u32_e32 v5, v5, v12
	v_mad_u64_u32 v[14:15], null, v5, s10, v[14:15]
	v_mad_u64_u32 v[16:17], null, v5, s11, v[16:17]
	v_mov_b32_e32 v5, v8
	s_cbranch_scc1 .LBB29_96
.LBB29_97:
	s_andn2_b32 vcc_lo, exec_lo, s4
	s_cbranch_vccnz .LBB29_100
; %bb.98:
	s_clause 0x1
	s_load_dwordx4 s[0:3], s[12:13], 0x4
	s_load_dwordx2 s[4:5], s[12:13], 0xc4
	s_cmp_lt_u32 s22, 2
	s_waitcnt lgkmcnt(0)
	v_mul_hi_u32 v5, s1, v2
	v_add_nc_u32_e32 v5, v2, v5
	v_lshrrev_b32_e32 v5, s2, v5
	v_mul_lo_u32 v8, v5, s0
	v_sub_nc_u32_e32 v2, v2, v8
	v_mul_lo_u32 v14, v2, s4
	v_mul_lo_u32 v16, v2, s5
	s_cbranch_scc1 .LBB29_100
; %bb.99:
	s_clause 0x1
	s_load_dwordx4 s[0:3], s[12:13], 0x10
	s_load_dwordx2 s[4:5], s[12:13], 0xcc
	s_waitcnt lgkmcnt(0)
	v_mul_hi_u32 v2, s1, v5
	v_add_nc_u32_e32 v2, v5, v2
	v_lshrrev_b32_e32 v2, s2, v2
	v_mul_lo_u32 v2, v2, s0
	v_sub_nc_u32_e32 v2, v5, v2
	v_mad_u64_u32 v[14:15], null, v2, s4, v[14:15]
	v_mad_u64_u32 v[16:17], null, v2, s5, v[16:17]
.LBB29_100:
	v_cmp_ne_u32_e32 vcc_lo, 1, v21
	v_add_nc_u32_e32 v2, 0x300, v18
	s_cbranch_vccnz .LBB29_106
; %bb.101:
	s_cmp_lg_u32 s22, 0
	s_mov_b32 s4, 0
	s_cbranch_scc0 .LBB29_107
; %bb.102:
	s_min_u32 s6, s23, 15
	s_add_i32 s6, s6, 1
	s_cmp_eq_u32 s23, 2
	s_cbranch_scc1 .LBB29_108
; %bb.103:
	v_mov_b32_e32 v19, 0
	v_mov_b32_e32 v17, 0
	;; [unrolled: 1-line block ×3, first 2 shown]
	s_and_b32 s5, s6, 28
	s_add_u32 s0, s12, 0xc4
	s_addc_u32 s1, s13, 0
	s_mov_b32 s7, 0
	s_mov_b64 s[2:3], s[12:13]
.LBB29_104:                             ; =>This Inner Loop Header: Depth=1
	s_clause 0x1
	s_load_dwordx8 s[24:31], s[2:3], 0x4
	s_load_dwordx4 s[8:11], s[2:3], 0x24
	s_load_dwordx8 s[36:43], s[0:1], 0x0
	s_add_u32 s2, s2, 48
	s_addc_u32 s3, s3, 0
	s_add_i32 s7, s7, 4
	s_add_u32 s0, s0, 32
	s_addc_u32 s1, s1, 0
	s_cmp_lg_u32 s5, s7
	s_waitcnt lgkmcnt(0)
	v_mul_hi_u32 v8, s25, v5
	v_add_nc_u32_e32 v8, v5, v8
	v_lshrrev_b32_e32 v8, s26, v8
	v_mul_hi_u32 v12, s28, v8
	v_mul_lo_u32 v18, v8, s24
	v_add_nc_u32_e32 v12, v8, v12
	v_sub_nc_u32_e32 v5, v5, v18
	v_lshrrev_b32_e32 v12, s29, v12
	v_mul_lo_u32 v18, v5, s36
	v_mul_lo_u32 v22, v5, s37
	v_mul_hi_u32 v15, s31, v12
	v_add_nc_u32_e32 v15, v12, v15
	v_lshrrev_b32_e32 v15, s8, v15
	v_mul_hi_u32 v20, s10, v15
	v_mul_lo_u32 v23, v15, s30
	v_add_nc_u32_e32 v5, v15, v20
	v_mul_lo_u32 v20, v12, s27
	v_sub_nc_u32_e32 v12, v12, v23
	v_lshrrev_b32_e32 v5, s11, v5
	v_mul_lo_u32 v23, v12, s40
	v_mul_lo_u32 v12, v12, s41
	v_sub_nc_u32_e32 v8, v8, v20
	v_mul_lo_u32 v25, v5, s9
	v_mul_lo_u32 v20, v8, s38
	;; [unrolled: 1-line block ×3, first 2 shown]
	v_sub_nc_u32_e32 v15, v15, v25
	v_add3_u32 v17, v18, v17, v20
	v_mul_lo_u32 v25, v15, s42
	v_mul_lo_u32 v15, v15, s43
	v_add3_u32 v8, v22, v19, v8
	v_add3_u32 v17, v23, v17, v25
	;; [unrolled: 1-line block ×3, first 2 shown]
	s_cbranch_scc1 .LBB29_104
; %bb.105:
	s_and_b32 s6, s6, 3
	s_cmp_eq_u32 s6, 0
	s_cbranch_scc0 .LBB29_109
	s_branch .LBB29_111
.LBB29_106:
	s_mov_b32 s4, -1
                                        ; implicit-def: $vgpr17
                                        ; implicit-def: $vgpr19
	s_branch .LBB29_111
.LBB29_107:
	v_mov_b32_e32 v17, 0
	v_mov_b32_e32 v19, 0
	s_branch .LBB29_111
.LBB29_108:
	v_mov_b32_e32 v17, 0
	v_mov_b32_e32 v19, 0
	;; [unrolled: 1-line block ×3, first 2 shown]
	s_mov_b32 s5, 0
	s_and_b32 s6, s6, 3
	s_cmp_eq_u32 s6, 0
	s_cbranch_scc1 .LBB29_111
.LBB29_109:
	s_lshl_b32 s0, s5, 3
	s_mul_i32 s2, s5, 12
	s_add_u32 s0, s12, s0
	s_addc_u32 s1, s13, 0
	s_add_u32 s0, s0, 0xc4
	s_addc_u32 s1, s1, 0
	;; [unrolled: 2-line block ×3, first 2 shown]
	.p2align	6
.LBB29_110:                             ; =>This Inner Loop Header: Depth=1
	s_clause 0x1
	s_load_dwordx2 s[8:9], s[2:3], 0x4
	s_load_dword s5, s[2:3], 0xc
	s_load_dwordx2 s[10:11], s[0:1], 0x0
	s_add_u32 s2, s2, 12
	s_addc_u32 s3, s3, 0
	s_add_u32 s0, s0, 8
	s_addc_u32 s1, s1, 0
	s_add_i32 s6, s6, -1
	s_cmp_lg_u32 s6, 0
	s_waitcnt lgkmcnt(0)
	v_mul_hi_u32 v8, s9, v5
	v_add_nc_u32_e32 v8, v5, v8
	v_lshrrev_b32_e32 v8, s5, v8
	v_mul_lo_u32 v12, v8, s8
	v_sub_nc_u32_e32 v5, v5, v12
	v_mad_u64_u32 v[17:18], null, v5, s10, v[17:18]
	v_mad_u64_u32 v[19:20], null, v5, s11, v[19:20]
	v_mov_b32_e32 v5, v8
	s_cbranch_scc1 .LBB29_110
.LBB29_111:
	s_andn2_b32 vcc_lo, exec_lo, s4
	s_cbranch_vccnz .LBB29_114
; %bb.112:
	s_clause 0x1
	s_load_dwordx4 s[0:3], s[12:13], 0x4
	s_load_dwordx2 s[4:5], s[12:13], 0xc4
	s_cmp_lt_u32 s22, 2
	s_waitcnt lgkmcnt(0)
	v_mul_hi_u32 v5, s1, v2
	v_add_nc_u32_e32 v5, v2, v5
	v_lshrrev_b32_e32 v5, s2, v5
	v_mul_lo_u32 v8, v5, s0
	v_sub_nc_u32_e32 v2, v2, v8
	v_mul_lo_u32 v17, v2, s4
	v_mul_lo_u32 v19, v2, s5
	s_cbranch_scc1 .LBB29_114
; %bb.113:
	s_clause 0x1
	s_load_dwordx4 s[0:3], s[12:13], 0x10
	s_load_dwordx2 s[4:5], s[12:13], 0xcc
	s_waitcnt lgkmcnt(0)
	v_mul_hi_u32 v2, s1, v5
	v_add_nc_u32_e32 v2, v5, v2
	v_lshrrev_b32_e32 v2, s2, v2
	v_mul_lo_u32 v2, v2, s0
	v_sub_nc_u32_e32 v2, v5, v2
	v_mad_u64_u32 v[17:18], null, v2, s4, v[17:18]
	v_mad_u64_u32 v[19:20], null, v2, s5, v[19:20]
.LBB29_114:
	v_cmp_ne_u32_e32 vcc_lo, 1, v21
	s_cbranch_vccnz .LBB29_120
; %bb.115:
	s_cmp_lg_u32 s22, 0
	s_mov_b32 s4, 0
	s_cbranch_scc0 .LBB29_121
; %bb.116:
	s_min_u32 s6, s23, 15
	s_add_i32 s6, s6, 1
	s_cmp_eq_u32 s23, 2
	s_cbranch_scc1 .LBB29_122
; %bb.117:
	v_mov_b32_e32 v22, 0
	v_mov_b32_e32 v20, 0
	;; [unrolled: 1-line block ×3, first 2 shown]
	s_and_b32 s5, s6, 28
	s_add_u32 s0, s12, 0xc4
	s_addc_u32 s1, s13, 0
	s_mov_b32 s7, 0
	s_mov_b64 s[2:3], s[12:13]
.LBB29_118:                             ; =>This Inner Loop Header: Depth=1
	s_clause 0x1
	s_load_dwordx8 s[24:31], s[2:3], 0x4
	s_load_dwordx4 s[8:11], s[2:3], 0x24
	s_load_dwordx8 s[36:43], s[0:1], 0x0
	s_add_u32 s2, s2, 48
	s_addc_u32 s3, s3, 0
	s_add_i32 s7, s7, 4
	s_add_u32 s0, s0, 32
	s_addc_u32 s1, s1, 0
	s_cmp_lg_u32 s5, s7
	s_waitcnt lgkmcnt(0)
	v_mul_hi_u32 v5, s25, v2
	v_add_nc_u32_e32 v5, v2, v5
	v_lshrrev_b32_e32 v5, s26, v5
	v_mul_hi_u32 v8, s28, v5
	v_mul_lo_u32 v15, v5, s24
	v_add_nc_u32_e32 v8, v5, v8
	v_sub_nc_u32_e32 v2, v2, v15
	v_lshrrev_b32_e32 v8, s29, v8
	v_mul_lo_u32 v15, v2, s36
	v_mul_lo_u32 v21, v2, s37
	v_mul_hi_u32 v12, s31, v8
	v_add_nc_u32_e32 v12, v8, v12
	v_lshrrev_b32_e32 v12, s8, v12
	v_mul_hi_u32 v18, s10, v12
	v_mul_lo_u32 v23, v12, s30
	v_add_nc_u32_e32 v2, v12, v18
	v_mul_lo_u32 v18, v8, s27
	v_sub_nc_u32_e32 v8, v8, v23
	v_lshrrev_b32_e32 v2, s11, v2
	v_mul_lo_u32 v23, v8, s40
	v_mul_lo_u32 v8, v8, s41
	v_sub_nc_u32_e32 v5, v5, v18
	v_mul_lo_u32 v25, v2, s9
	v_mul_lo_u32 v18, v5, s38
	;; [unrolled: 1-line block ×3, first 2 shown]
	v_sub_nc_u32_e32 v12, v12, v25
	v_add3_u32 v15, v15, v20, v18
	v_mul_lo_u32 v25, v12, s42
	v_mul_lo_u32 v12, v12, s43
	v_add3_u32 v5, v21, v22, v5
	v_add3_u32 v20, v23, v15, v25
	v_add3_u32 v22, v8, v5, v12
	s_cbranch_scc1 .LBB29_118
; %bb.119:
	s_and_b32 s6, s6, 3
	s_cmp_eq_u32 s6, 0
	s_cbranch_scc0 .LBB29_123
	s_branch .LBB29_125
.LBB29_120:
	s_mov_b32 s4, -1
                                        ; implicit-def: $vgpr20
                                        ; implicit-def: $vgpr22
	s_branch .LBB29_125
.LBB29_121:
	v_mov_b32_e32 v20, 0
	v_mov_b32_e32 v22, 0
	s_branch .LBB29_125
.LBB29_122:
	v_mov_b32_e32 v20, 0
	v_mov_b32_e32 v22, 0
	;; [unrolled: 1-line block ×3, first 2 shown]
	s_mov_b32 s5, 0
	s_and_b32 s6, s6, 3
	s_cmp_eq_u32 s6, 0
	s_cbranch_scc1 .LBB29_125
.LBB29_123:
	s_lshl_b32 s0, s5, 3
	s_mul_i32 s2, s5, 12
	s_add_u32 s0, s12, s0
	s_addc_u32 s1, s13, 0
	s_add_u32 s0, s0, 0xc4
	s_addc_u32 s1, s1, 0
	;; [unrolled: 2-line block ×3, first 2 shown]
	.p2align	6
.LBB29_124:                             ; =>This Inner Loop Header: Depth=1
	s_clause 0x1
	s_load_dwordx2 s[8:9], s[2:3], 0x4
	s_load_dword s5, s[2:3], 0xc
	s_load_dwordx2 s[10:11], s[0:1], 0x0
	s_add_u32 s2, s2, 12
	s_addc_u32 s3, s3, 0
	s_add_u32 s0, s0, 8
	s_addc_u32 s1, s1, 0
	s_add_i32 s6, s6, -1
	s_cmp_lg_u32 s6, 0
	s_waitcnt lgkmcnt(0)
	v_mul_hi_u32 v5, s9, v2
	v_add_nc_u32_e32 v5, v2, v5
	v_lshrrev_b32_e32 v5, s5, v5
	v_mul_lo_u32 v8, v5, s8
	v_sub_nc_u32_e32 v2, v2, v8
	v_mad_u64_u32 v[20:21], null, v2, s10, v[20:21]
	v_mad_u64_u32 v[22:23], null, v2, s11, v[22:23]
	v_mov_b32_e32 v2, v5
	s_cbranch_scc1 .LBB29_124
.LBB29_125:
	s_andn2_b32 vcc_lo, exec_lo, s4
	s_cbranch_vccnz .LBB29_128
; %bb.126:
	s_clause 0x1
	s_load_dwordx4 s[0:3], s[12:13], 0x4
	s_load_dwordx2 s[4:5], s[12:13], 0xc4
	s_cmp_lt_u32 s22, 2
	s_waitcnt lgkmcnt(0)
	v_mul_hi_u32 v2, s1, v24
	v_add_nc_u32_e32 v2, v24, v2
	v_lshrrev_b32_e32 v2, s2, v2
	v_mul_lo_u32 v5, v2, s0
	v_sub_nc_u32_e32 v5, v24, v5
	v_mul_lo_u32 v20, v5, s4
	v_mul_lo_u32 v22, v5, s5
	s_cbranch_scc1 .LBB29_128
; %bb.127:
	s_clause 0x1
	s_load_dwordx4 s[0:3], s[12:13], 0x10
	s_load_dwordx2 s[4:5], s[12:13], 0xcc
	s_waitcnt lgkmcnt(0)
	v_mul_hi_u32 v5, s1, v2
	v_add_nc_u32_e32 v5, v2, v5
	v_lshrrev_b32_e32 v5, s2, v5
	v_mul_lo_u32 v5, v5, s0
	v_sub_nc_u32_e32 v2, v2, v5
	v_mad_u64_u32 v[20:21], null, v2, s4, v[20:21]
	v_mad_u64_u32 v[22:23], null, v2, s5, v[22:23]
.LBB29_128:
	s_load_dwordx4 s[8:11], s[12:13], 0x148
	s_mov_b32 s7, 0x3b2d2a58
	s_waitcnt lgkmcnt(0)
	s_clause 0x7
	global_load_ushort v2, v3, s[10:11]
	global_load_ushort v3, v6, s[10:11]
	;; [unrolled: 1-line block ×8, first 2 shown]
	v_mov_b32_e32 v13, 0x7fc0
	s_waitcnt vmcnt(7)
	v_lshlrev_b32_e32 v2, 16, v2
	s_waitcnt vmcnt(6)
	v_lshlrev_b32_e32 v3, 16, v3
	s_waitcnt vmcnt(5)
	v_lshlrev_b32_e32 v5, 16, v5
	s_waitcnt vmcnt(4)
	v_lshlrev_b32_e32 v6, 16, v6
	s_waitcnt vmcnt(3)
	v_lshlrev_b32_e32 v8, 16, v8
	v_rcp_f32_e64 v15, |v2|
	v_rcp_f32_e64 v16, |v3|
	s_waitcnt vmcnt(0)
	v_lshlrev_b32_e32 v12, 16, v12
	v_cmp_gt_f32_e64 vcc_lo, |v2|, 1.0
	v_rcp_f32_e64 v18, |v5|
	v_cmp_gt_f32_e64 s0, |v3|, 1.0
	v_rcp_f32_e64 v19, |v6|
	v_rcp_f32_e64 v24, |v12|
	v_cmp_gt_f32_e64 s6, |v12|, 1.0
	v_cmp_gt_f32_e64 s1, |v5|, 1.0
	v_cndmask_b32_e64 v15, |v2|, v15, vcc_lo
	v_cndmask_b32_e64 v16, |v3|, v16, s0
	v_lshlrev_b32_e32 v9, 16, v9
	v_rcp_f32_e64 v21, |v8|
	v_cndmask_b32_e64 v18, |v5|, v18, s1
	v_mul_f32_e32 v25, v15, v15
	v_cmp_gt_f32_e64 s2, |v6|, 1.0
	v_cndmask_b32_e64 v24, |v12|, v24, s6
	v_mul_f32_e32 v26, v16, v16
	v_lshlrev_b32_e32 v10, 16, v10
	v_fmaak_f32 v33, s7, v25, 0xbc7a590c
	v_rcp_f32_e64 v22, |v9|
	v_mul_f32_e32 v32, v24, v24
	v_cndmask_b32_e64 v19, |v6|, v19, s2
	v_cmp_gt_f32_e64 s3, |v8|, 1.0
	v_mul_f32_e32 v27, v18, v18
	v_fmaak_f32 v34, s7, v26, 0xbc7a590c
	v_fmaak_f32 v40, s7, v32, 0xbc7a590c
	;; [unrolled: 1-line block ×3, first 2 shown]
	v_rcp_f32_e64 v23, |v10|
	v_cndmask_b32_e64 v21, |v8|, v21, s3
	v_cmp_gt_f32_e64 s4, |v9|, 1.0
	v_fmaak_f32 v40, v32, v40, 0x3d29fb3f
	v_mul_f32_e32 v28, v19, v19
	v_fmaak_f32 v35, s7, v27, 0xbc7a590c
	v_fmaak_f32 v34, v26, v34, 0x3d29fb3f
	;; [unrolled: 1-line block ×4, first 2 shown]
	v_cndmask_b32_e64 v22, |v9|, v22, s4
	v_cmp_gt_f32_e64 s5, |v10|, 1.0
	v_mul_f32_e32 v29, v21, v21
	v_fmaak_f32 v36, s7, v28, 0xbc7a590c
	v_fmaak_f32 v35, v27, v35, 0x3d29fb3f
	;; [unrolled: 1-line block ×5, first 2 shown]
	v_cndmask_b32_e64 v23, |v10|, v23, s5
	v_mul_f32_e32 v30, v22, v22
	v_fmaak_f32 v37, s7, v29, 0xbc7a590c
	v_fmaak_f32 v36, v28, v36, 0x3d29fb3f
	;; [unrolled: 1-line block ×6, first 2 shown]
	v_mul_f32_e32 v31, v23, v23
	v_fmaak_f32 v38, s7, v30, 0xbc7a590c
	v_fmaak_f32 v37, v29, v37, 0x3d29fb3f
	v_fmaak_f32 v36, v28, v36, 0xbd97d4d7
	v_fmaak_f32 v35, v27, v35, 0x3dd931b2
	v_fmaak_f32 v34, v26, v34, 0xbe1160e6
	v_fmaak_f32 v33, v25, v33, 0x3e4cb8bf
	v_fmaak_f32 v40, v32, v40, 0x3e4cb8bf
	v_fmaak_f32 v39, s7, v31, 0xbc7a590c
	v_fmaak_f32 v38, v30, v38, 0x3d29fb3f
	v_fmaak_f32 v37, v29, v37, 0xbd97d4d7
	v_fmaak_f32 v36, v28, v36, 0x3dd931b2
	v_fmaak_f32 v35, v27, v35, 0xbe1160e6
	v_fmaak_f32 v34, v26, v34, 0x3e4cb8bf
	v_fmaak_f32 v33, v25, v33, 0xbeaaaa62
	v_fmaak_f32 v40, v32, v40, 0xbeaaaa62
	v_fmaak_f32 v39, v31, v39, 0x3d29fb3f
	v_fmaak_f32 v38, v30, v38, 0xbd97d4d7
	v_fmaak_f32 v37, v29, v37, 0x3dd931b2
	v_fmaak_f32 v36, v28, v36, 0xbe1160e6
	v_fmaak_f32 v35, v27, v35, 0x3e4cb8bf
	v_fmaak_f32 v34, v26, v34, 0xbeaaaa62
	v_mul_f32_e32 v25, v25, v33
	v_mul_f32_e32 v32, v32, v40
	v_fmaak_f32 v39, v31, v39, 0xbd97d4d7
	v_fmaak_f32 v38, v30, v38, 0x3dd931b2
	;; [unrolled: 1-line block ×5, first 2 shown]
	v_mul_f32_e32 v26, v26, v34
	v_fmac_f32_e32 v15, v15, v25
	v_fmac_f32_e32 v24, v24, v32
	v_fmaak_f32 v39, v31, v39, 0x3dd931b2
	v_fmaak_f32 v38, v30, v38, 0xbe1160e6
	;; [unrolled: 1-line block ×4, first 2 shown]
	v_mul_f32_e32 v27, v27, v35
	v_fmac_f32_e32 v16, v16, v26
	v_sub_f32_e32 v25, 0x3fc90fdb, v15
	v_sub_f32_e32 v32, 0x3fc90fdb, v24
	v_fmaak_f32 v39, v31, v39, 0xbe1160e6
	v_fmaak_f32 v38, v30, v38, 0x3e4cb8bf
	;; [unrolled: 1-line block ×3, first 2 shown]
	v_mul_f32_e32 v28, v28, v36
	v_fmac_f32_e32 v18, v18, v27
	v_sub_f32_e32 v26, 0x3fc90fdb, v16
	v_cndmask_b32_e32 v15, v15, v25, vcc_lo
	v_cndmask_b32_e64 v24, v24, v32, s6
	v_fmaak_f32 v39, v31, v39, 0x3e4cb8bf
	v_fmaak_f32 v38, v30, v38, 0xbeaaaa62
	v_mul_f32_e32 v29, v29, v37
	v_fmac_f32_e32 v19, v19, v28
	v_sub_f32_e32 v27, 0x3fc90fdb, v18
	v_cndmask_b32_e64 v16, v16, v26, s0
	v_bfi_b32 v2, 0x7fffffff, v15, v2
	v_bfi_b32 v12, 0x7fffffff, v24, v12
	v_fmaak_f32 v39, v31, v39, 0xbeaaaa62
	v_mul_f32_e32 v30, v30, v38
	v_fmac_f32_e32 v21, v21, v29
	v_sub_f32_e32 v28, 0x3fc90fdb, v19
	v_cndmask_b32_e64 v18, v18, v27, s1
	v_bfi_b32 v3, 0x7fffffff, v16, v3
	v_bfe_u32 v15, v2, 16, 1
	v_bfe_u32 v24, v12, 16, 1
	v_mul_f32_e32 v31, v31, v39
	v_fmac_f32_e32 v22, v22, v30
	v_sub_f32_e32 v29, 0x3fc90fdb, v21
	v_cndmask_b32_e64 v19, v19, v28, s2
	v_bfi_b32 v5, 0x7fffffff, v18, v5
	v_bfe_u32 v16, v3, 16, 1
	v_cmp_o_f32_e32 vcc_lo, v12, v12
	v_add3_u32 v15, v2, v15, 0x7fff
	v_add3_u32 v12, v12, v24, 0x7fff
	v_fmac_f32_e32 v23, v23, v31
	v_sub_f32_e32 v30, 0x3fc90fdb, v22
	v_cndmask_b32_e64 v21, v21, v29, s3
	v_bfi_b32 v6, 0x7fffffff, v19, v6
	v_bfe_u32 v18, v5, 16, 1
	v_add3_u32 v16, v3, v16, 0x7fff
	v_lshrrev_b32_e32 v15, 16, v15
	v_cndmask_b32_sdwa v12, v13, v12, vcc_lo dst_sel:DWORD dst_unused:UNUSED_PAD src0_sel:DWORD src1_sel:WORD_1
	v_cmp_o_f32_e32 vcc_lo, v2, v2
	v_sub_f32_e32 v31, 0x3fc90fdb, v23
	v_cndmask_b32_e64 v22, v22, v30, s4
	v_bfi_b32 v8, 0x7fffffff, v21, v8
	v_bfe_u32 v19, v6, 16, 1
	v_add3_u32 v18, v5, v18, 0x7fff
	v_lshrrev_b32_e32 v16, 16, v16
	v_cndmask_b32_e32 v2, 0x7fc0, v15, vcc_lo
	v_cmp_o_f32_e32 vcc_lo, v3, v3
	v_cndmask_b32_e64 v23, v23, v31, s5
	v_bfi_b32 v9, 0x7fffffff, v22, v9
	v_bfe_u32 v21, v8, 16, 1
	v_add3_u32 v19, v6, v19, 0x7fff
	v_lshrrev_b32_e32 v18, 16, v18
	v_cndmask_b32_e32 v3, 0x7fc0, v16, vcc_lo
	v_cmp_o_f32_e32 vcc_lo, v5, v5
	v_bfi_b32 v10, 0x7fffffff, v23, v10
	v_bfe_u32 v22, v9, 16, 1
	v_add3_u32 v21, v8, v21, 0x7fff
	v_lshrrev_b32_e32 v19, 16, v19
	v_cndmask_b32_e32 v5, 0x7fc0, v18, vcc_lo
	v_cmp_o_f32_e32 vcc_lo, v6, v6
	v_bfe_u32 v23, v10, 16, 1
	v_add3_u32 v22, v9, v22, 0x7fff
	v_lshrrev_b32_e32 v21, 16, v21
	v_cndmask_b32_e32 v6, 0x7fc0, v19, vcc_lo
	v_cmp_o_f32_e32 vcc_lo, v8, v8
	v_add3_u32 v23, v10, v23, 0x7fff
	v_lshrrev_b32_e32 v22, 16, v22
	v_cndmask_b32_e32 v8, 0x7fc0, v21, vcc_lo
	v_cmp_o_f32_e32 vcc_lo, v9, v9
	v_lshrrev_b32_e32 v23, 16, v23
	v_cndmask_b32_e32 v9, 0x7fc0, v22, vcc_lo
	v_cmp_o_f32_e32 vcc_lo, v10, v10
	v_cndmask_b32_e32 v10, 0x7fc0, v23, vcc_lo
	global_store_short v0, v2, s[8:9]
	global_store_short v1, v3, s[8:9]
	;; [unrolled: 1-line block ×8, first 2 shown]
	s_endpgm
.LBB29_129:
	v_mov_b32_e32 v0, 0
	v_mov_b32_e32 v2, 0
	s_branch .LBB29_135
.LBB29_130:
	v_mov_b32_e32 v0, 0
	v_mov_b32_e32 v2, 0
	s_branch .LBB29_151
.LBB29_131:
	v_mov_b32_e32 v0, 0
	v_mov_b32_e32 v2, 0
	;; [unrolled: 1-line block ×3, first 2 shown]
	s_mov_b32 s31, 0
.LBB29_132:
	s_and_b32 s33, s33, 3
	s_cmp_eq_u32 s33, 0
	s_cbranch_scc1 .LBB29_135
; %bb.133:
	s_lshl_b32 s18, s31, 3
	s_mul_i32 s20, s31, 12
	s_add_u32 s18, s12, s18
	s_addc_u32 s19, s13, 0
	s_add_u32 s18, s18, 0xc4
	s_addc_u32 s19, s19, 0
	;; [unrolled: 2-line block ×3, first 2 shown]
	.p2align	6
.LBB29_134:                             ; =>This Inner Loop Header: Depth=1
	s_clause 0x1
	s_load_dwordx2 s[34:35], s[20:21], 0x4
	s_load_dword s31, s[20:21], 0xc
	s_load_dwordx2 s[36:37], s[18:19], 0x0
	s_add_u32 s20, s20, 12
	s_addc_u32 s21, s21, 0
	s_add_u32 s18, s18, 8
	s_addc_u32 s19, s19, 0
	s_add_i32 s33, s33, -1
	s_cmp_lg_u32 s33, 0
	s_waitcnt lgkmcnt(0)
	v_mul_hi_u32 v3, s35, v1
	v_add_nc_u32_e32 v3, v1, v3
	v_lshrrev_b32_e32 v4, s31, v3
	v_mul_lo_u32 v3, v4, s34
	v_sub_nc_u32_e32 v3, v1, v3
	v_mad_u64_u32 v[0:1], null, v3, s36, v[0:1]
	v_mad_u64_u32 v[2:3], null, v3, s37, v[2:3]
	v_mov_b32_e32 v1, v4
	s_cbranch_scc1 .LBB29_134
.LBB29_135:
	s_cbranch_execnz .LBB29_138
.LBB29_136:
	s_waitcnt lgkmcnt(0)
	v_mul_hi_u32 v0, s9, v18
	s_andn2_b32 vcc_lo, exec_lo, s26
	v_add_nc_u32_e32 v0, v18, v0
	v_lshrrev_b32_e32 v1, s10, v0
	v_mul_lo_u32 v0, v1, s8
	v_sub_nc_u32_e32 v2, v18, v0
	v_mul_lo_u32 v0, v2, s4
	v_mul_lo_u32 v2, v2, s5
	s_cbranch_vccnz .LBB29_138
; %bb.137:
	v_mul_hi_u32 v3, s14, v1
	v_add_nc_u32_e32 v3, v1, v3
	v_lshrrev_b32_e32 v3, s15, v3
	v_mul_lo_u32 v3, v3, s11
	v_sub_nc_u32_e32 v3, v1, v3
	v_mad_u64_u32 v[0:1], null, v3, s6, v[0:1]
	v_mad_u64_u32 v[2:3], null, v3, s7, v[2:3]
.LBB29_138:
	s_waitcnt lgkmcnt(0)
	global_load_ushort v1, v2, s[2:3]
	s_mov_b32 s18, 0x3b2d2a58
	v_add_nc_u32_e32 v18, 0x80, v18
	s_waitcnt vmcnt(0)
	v_lshlrev_b32_e32 v1, 16, v1
	v_rcp_f32_e64 v2, |v1|
	v_cmp_gt_f32_e64 vcc_lo, |v1|, 1.0
	v_cndmask_b32_e64 v2, |v1|, v2, vcc_lo
	v_mul_f32_e32 v3, v2, v2
	v_fmaak_f32 v4, s18, v3, 0xbc7a590c
	v_fmaak_f32 v4, v3, v4, 0x3d29fb3f
	;; [unrolled: 1-line block ×7, first 2 shown]
	v_mul_f32_e32 v3, v3, v4
	v_fmac_f32_e32 v2, v2, v3
	v_sub_f32_e32 v3, 0x3fc90fdb, v2
	v_cndmask_b32_e32 v2, v2, v3, vcc_lo
	v_bfi_b32 v1, 0x7fffffff, v2, v1
	v_bfe_u32 v2, v1, 16, 1
	v_cmp_o_f32_e32 vcc_lo, v1, v1
	v_add3_u32 v1, v1, v2, 0x7fff
	v_mov_b32_e32 v2, 0x7fc0
	v_cndmask_b32_sdwa v1, v2, v1, vcc_lo dst_sel:DWORD dst_unused:UNUSED_PAD src0_sel:DWORD src1_sel:WORD_1
	global_store_short v0, v1, s[0:1]
	s_or_b32 exec_lo, exec_lo, s30
	s_mov_b32 s30, exec_lo
	v_cmpx_gt_i32_e64 s27, v18
	s_cbranch_execnz .LBB29_15
.LBB29_139:
	s_or_b32 exec_lo, exec_lo, s30
	s_mov_b32 s30, exec_lo
	v_cmpx_gt_i32_e64 s27, v18
	s_cbranch_execz .LBB29_155
.LBB29_140:
	s_andn2_b32 vcc_lo, exec_lo, s24
	s_cbranch_vccnz .LBB29_145
; %bb.141:
	s_andn2_b32 vcc_lo, exec_lo, s29
	s_cbranch_vccnz .LBB29_146
; %bb.142:
	s_add_i32 s33, s28, 1
	s_cmp_eq_u32 s23, 2
	s_cbranch_scc1 .LBB29_163
; %bb.143:
	v_mov_b32_e32 v2, 0
	v_mov_b32_e32 v0, 0
	;; [unrolled: 1-line block ×3, first 2 shown]
	s_and_b32 s31, s33, 28
	s_mov_b32 s34, 0
	s_mov_b64 s[18:19], s[12:13]
	s_mov_b64 s[20:21], s[16:17]
.LBB29_144:                             ; =>This Inner Loop Header: Depth=1
	s_clause 0x1
	s_load_dwordx8 s[36:43], s[18:19], 0x4
	s_load_dwordx4 s[52:55], s[18:19], 0x24
	s_load_dwordx8 s[44:51], s[20:21], 0x0
	s_add_u32 s18, s18, 48
	s_addc_u32 s19, s19, 0
	s_add_i32 s34, s34, 4
	s_add_u32 s20, s20, 32
	s_addc_u32 s21, s21, 0
	s_cmp_eq_u32 s31, s34
	s_waitcnt lgkmcnt(0)
	v_mul_hi_u32 v3, s37, v1
	v_add_nc_u32_e32 v3, v1, v3
	v_lshrrev_b32_e32 v3, s38, v3
	v_mul_hi_u32 v4, s40, v3
	v_mul_lo_u32 v6, v3, s36
	v_add_nc_u32_e32 v4, v3, v4
	v_sub_nc_u32_e32 v1, v1, v6
	v_lshrrev_b32_e32 v4, s41, v4
	v_mul_lo_u32 v6, v1, s44
	v_mul_lo_u32 v8, v1, s45
	v_mul_hi_u32 v5, s43, v4
	v_add_nc_u32_e32 v5, v4, v5
	v_lshrrev_b32_e32 v5, s52, v5
	v_mul_hi_u32 v7, s54, v5
	v_mul_lo_u32 v9, v5, s42
	v_add_nc_u32_e32 v1, v5, v7
	v_mul_lo_u32 v7, v4, s39
	v_sub_nc_u32_e32 v4, v4, v9
	v_lshrrev_b32_e32 v1, s55, v1
	v_mul_lo_u32 v9, v4, s48
	v_mul_lo_u32 v4, v4, s49
	v_sub_nc_u32_e32 v3, v3, v7
	v_mul_lo_u32 v10, v1, s53
	v_mul_lo_u32 v7, v3, s46
	;; [unrolled: 1-line block ×3, first 2 shown]
	v_sub_nc_u32_e32 v5, v5, v10
	v_add3_u32 v0, v6, v0, v7
	v_mul_lo_u32 v10, v5, s50
	v_mul_lo_u32 v5, v5, s51
	v_add3_u32 v2, v8, v2, v3
	v_add3_u32 v0, v9, v0, v10
	;; [unrolled: 1-line block ×3, first 2 shown]
	s_cbranch_scc0 .LBB29_144
	s_branch .LBB29_164
.LBB29_145:
                                        ; implicit-def: $vgpr0
                                        ; implicit-def: $vgpr2
	s_branch .LBB29_168
.LBB29_146:
	v_mov_b32_e32 v0, 0
	v_mov_b32_e32 v2, 0
	s_branch .LBB29_167
.LBB29_147:
	v_mov_b32_e32 v0, 0
	v_mov_b32_e32 v2, 0
	;; [unrolled: 1-line block ×3, first 2 shown]
	s_mov_b32 s31, 0
.LBB29_148:
	s_and_b32 s33, s33, 3
	s_cmp_eq_u32 s33, 0
	s_cbranch_scc1 .LBB29_151
; %bb.149:
	s_lshl_b32 s18, s31, 3
	s_mul_i32 s20, s31, 12
	s_add_u32 s18, s12, s18
	s_addc_u32 s19, s13, 0
	s_add_u32 s18, s18, 0xc4
	s_addc_u32 s19, s19, 0
	;; [unrolled: 2-line block ×3, first 2 shown]
	.p2align	6
.LBB29_150:                             ; =>This Inner Loop Header: Depth=1
	s_clause 0x1
	s_load_dwordx2 s[34:35], s[20:21], 0x4
	s_load_dword s31, s[20:21], 0xc
	s_load_dwordx2 s[36:37], s[18:19], 0x0
	s_add_u32 s20, s20, 12
	s_addc_u32 s21, s21, 0
	s_add_u32 s18, s18, 8
	s_addc_u32 s19, s19, 0
	s_add_i32 s33, s33, -1
	s_cmp_lg_u32 s33, 0
	s_waitcnt lgkmcnt(0)
	v_mul_hi_u32 v3, s35, v1
	v_add_nc_u32_e32 v3, v1, v3
	v_lshrrev_b32_e32 v4, s31, v3
	v_mul_lo_u32 v3, v4, s34
	v_sub_nc_u32_e32 v3, v1, v3
	v_mad_u64_u32 v[0:1], null, v3, s36, v[0:1]
	v_mad_u64_u32 v[2:3], null, v3, s37, v[2:3]
	v_mov_b32_e32 v1, v4
	s_cbranch_scc1 .LBB29_150
.LBB29_151:
	s_cbranch_execnz .LBB29_154
.LBB29_152:
	s_waitcnt lgkmcnt(0)
	v_mul_hi_u32 v0, s9, v18
	s_andn2_b32 vcc_lo, exec_lo, s26
	v_add_nc_u32_e32 v0, v18, v0
	v_lshrrev_b32_e32 v1, s10, v0
	v_mul_lo_u32 v0, v1, s8
	v_sub_nc_u32_e32 v2, v18, v0
	v_mul_lo_u32 v0, v2, s4
	v_mul_lo_u32 v2, v2, s5
	s_cbranch_vccnz .LBB29_154
; %bb.153:
	v_mul_hi_u32 v3, s14, v1
	v_add_nc_u32_e32 v3, v1, v3
	v_lshrrev_b32_e32 v3, s15, v3
	v_mul_lo_u32 v3, v3, s11
	v_sub_nc_u32_e32 v3, v1, v3
	v_mad_u64_u32 v[0:1], null, v3, s6, v[0:1]
	v_mad_u64_u32 v[2:3], null, v3, s7, v[2:3]
.LBB29_154:
	s_waitcnt lgkmcnt(0)
	global_load_ushort v1, v2, s[2:3]
	s_mov_b32 s18, 0x3b2d2a58
	v_add_nc_u32_e32 v18, 0x80, v18
	s_waitcnt vmcnt(0)
	v_lshlrev_b32_e32 v1, 16, v1
	v_rcp_f32_e64 v2, |v1|
	v_cmp_gt_f32_e64 vcc_lo, |v1|, 1.0
	v_cndmask_b32_e64 v2, |v1|, v2, vcc_lo
	v_mul_f32_e32 v3, v2, v2
	v_fmaak_f32 v4, s18, v3, 0xbc7a590c
	v_fmaak_f32 v4, v3, v4, 0x3d29fb3f
	;; [unrolled: 1-line block ×7, first 2 shown]
	v_mul_f32_e32 v3, v3, v4
	v_fmac_f32_e32 v2, v2, v3
	v_sub_f32_e32 v3, 0x3fc90fdb, v2
	v_cndmask_b32_e32 v2, v2, v3, vcc_lo
	v_bfi_b32 v1, 0x7fffffff, v2, v1
	v_bfe_u32 v2, v1, 16, 1
	v_cmp_o_f32_e32 vcc_lo, v1, v1
	v_add3_u32 v1, v1, v2, 0x7fff
	v_mov_b32_e32 v2, 0x7fc0
	v_cndmask_b32_sdwa v1, v2, v1, vcc_lo dst_sel:DWORD dst_unused:UNUSED_PAD src0_sel:DWORD src1_sel:WORD_1
	global_store_short v0, v1, s[0:1]
	s_or_b32 exec_lo, exec_lo, s30
	s_mov_b32 s30, exec_lo
	v_cmpx_gt_i32_e64 s27, v18
	s_cbranch_execnz .LBB29_140
.LBB29_155:
	s_or_b32 exec_lo, exec_lo, s30
	s_mov_b32 s30, exec_lo
	v_cmpx_gt_i32_e64 s27, v18
	s_cbranch_execz .LBB29_171
.LBB29_156:
	s_andn2_b32 vcc_lo, exec_lo, s24
	s_cbranch_vccnz .LBB29_161
; %bb.157:
	s_andn2_b32 vcc_lo, exec_lo, s29
	s_cbranch_vccnz .LBB29_162
; %bb.158:
	s_add_i32 s33, s28, 1
	s_cmp_eq_u32 s23, 2
	s_cbranch_scc1 .LBB29_179
; %bb.159:
	v_mov_b32_e32 v2, 0
	v_mov_b32_e32 v0, 0
	;; [unrolled: 1-line block ×3, first 2 shown]
	s_and_b32 s31, s33, 28
	s_mov_b32 s34, 0
	s_mov_b64 s[18:19], s[12:13]
	s_mov_b64 s[20:21], s[16:17]
.LBB29_160:                             ; =>This Inner Loop Header: Depth=1
	s_clause 0x1
	s_load_dwordx8 s[36:43], s[18:19], 0x4
	s_load_dwordx4 s[52:55], s[18:19], 0x24
	s_load_dwordx8 s[44:51], s[20:21], 0x0
	s_add_u32 s18, s18, 48
	s_addc_u32 s19, s19, 0
	s_add_i32 s34, s34, 4
	s_add_u32 s20, s20, 32
	s_addc_u32 s21, s21, 0
	s_cmp_eq_u32 s31, s34
	s_waitcnt lgkmcnt(0)
	v_mul_hi_u32 v3, s37, v1
	v_add_nc_u32_e32 v3, v1, v3
	v_lshrrev_b32_e32 v3, s38, v3
	v_mul_hi_u32 v4, s40, v3
	v_mul_lo_u32 v6, v3, s36
	v_add_nc_u32_e32 v4, v3, v4
	v_sub_nc_u32_e32 v1, v1, v6
	v_lshrrev_b32_e32 v4, s41, v4
	v_mul_lo_u32 v6, v1, s44
	v_mul_lo_u32 v8, v1, s45
	v_mul_hi_u32 v5, s43, v4
	v_add_nc_u32_e32 v5, v4, v5
	v_lshrrev_b32_e32 v5, s52, v5
	v_mul_hi_u32 v7, s54, v5
	v_mul_lo_u32 v9, v5, s42
	v_add_nc_u32_e32 v1, v5, v7
	v_mul_lo_u32 v7, v4, s39
	v_sub_nc_u32_e32 v4, v4, v9
	v_lshrrev_b32_e32 v1, s55, v1
	v_mul_lo_u32 v9, v4, s48
	v_mul_lo_u32 v4, v4, s49
	v_sub_nc_u32_e32 v3, v3, v7
	v_mul_lo_u32 v10, v1, s53
	v_mul_lo_u32 v7, v3, s46
	;; [unrolled: 1-line block ×3, first 2 shown]
	v_sub_nc_u32_e32 v5, v5, v10
	v_add3_u32 v0, v6, v0, v7
	v_mul_lo_u32 v10, v5, s50
	v_mul_lo_u32 v5, v5, s51
	v_add3_u32 v2, v8, v2, v3
	v_add3_u32 v0, v9, v0, v10
	v_add3_u32 v2, v4, v2, v5
	s_cbranch_scc0 .LBB29_160
	s_branch .LBB29_180
.LBB29_161:
                                        ; implicit-def: $vgpr0
                                        ; implicit-def: $vgpr2
	s_branch .LBB29_184
.LBB29_162:
	v_mov_b32_e32 v0, 0
	v_mov_b32_e32 v2, 0
	s_branch .LBB29_183
.LBB29_163:
	v_mov_b32_e32 v0, 0
	v_mov_b32_e32 v2, 0
	v_mov_b32_e32 v1, v18
	s_mov_b32 s31, 0
.LBB29_164:
	s_and_b32 s33, s33, 3
	s_cmp_eq_u32 s33, 0
	s_cbranch_scc1 .LBB29_167
; %bb.165:
	s_lshl_b32 s18, s31, 3
	s_mul_i32 s20, s31, 12
	s_add_u32 s18, s12, s18
	s_addc_u32 s19, s13, 0
	s_add_u32 s18, s18, 0xc4
	s_addc_u32 s19, s19, 0
	;; [unrolled: 2-line block ×3, first 2 shown]
	.p2align	6
.LBB29_166:                             ; =>This Inner Loop Header: Depth=1
	s_clause 0x1
	s_load_dwordx2 s[34:35], s[20:21], 0x4
	s_load_dword s31, s[20:21], 0xc
	s_load_dwordx2 s[36:37], s[18:19], 0x0
	s_add_u32 s20, s20, 12
	s_addc_u32 s21, s21, 0
	s_add_u32 s18, s18, 8
	s_addc_u32 s19, s19, 0
	s_add_i32 s33, s33, -1
	s_cmp_lg_u32 s33, 0
	s_waitcnt lgkmcnt(0)
	v_mul_hi_u32 v3, s35, v1
	v_add_nc_u32_e32 v3, v1, v3
	v_lshrrev_b32_e32 v4, s31, v3
	v_mul_lo_u32 v3, v4, s34
	v_sub_nc_u32_e32 v3, v1, v3
	v_mad_u64_u32 v[0:1], null, v3, s36, v[0:1]
	v_mad_u64_u32 v[2:3], null, v3, s37, v[2:3]
	v_mov_b32_e32 v1, v4
	s_cbranch_scc1 .LBB29_166
.LBB29_167:
	s_cbranch_execnz .LBB29_170
.LBB29_168:
	s_waitcnt lgkmcnt(0)
	v_mul_hi_u32 v0, s9, v18
	s_andn2_b32 vcc_lo, exec_lo, s26
	v_add_nc_u32_e32 v0, v18, v0
	v_lshrrev_b32_e32 v1, s10, v0
	v_mul_lo_u32 v0, v1, s8
	v_sub_nc_u32_e32 v2, v18, v0
	v_mul_lo_u32 v0, v2, s4
	v_mul_lo_u32 v2, v2, s5
	s_cbranch_vccnz .LBB29_170
; %bb.169:
	v_mul_hi_u32 v3, s14, v1
	v_add_nc_u32_e32 v3, v1, v3
	v_lshrrev_b32_e32 v3, s15, v3
	v_mul_lo_u32 v3, v3, s11
	v_sub_nc_u32_e32 v3, v1, v3
	v_mad_u64_u32 v[0:1], null, v3, s6, v[0:1]
	v_mad_u64_u32 v[2:3], null, v3, s7, v[2:3]
.LBB29_170:
	s_waitcnt lgkmcnt(0)
	global_load_ushort v1, v2, s[2:3]
	s_mov_b32 s18, 0x3b2d2a58
	v_add_nc_u32_e32 v18, 0x80, v18
	s_waitcnt vmcnt(0)
	v_lshlrev_b32_e32 v1, 16, v1
	v_rcp_f32_e64 v2, |v1|
	v_cmp_gt_f32_e64 vcc_lo, |v1|, 1.0
	v_cndmask_b32_e64 v2, |v1|, v2, vcc_lo
	v_mul_f32_e32 v3, v2, v2
	v_fmaak_f32 v4, s18, v3, 0xbc7a590c
	v_fmaak_f32 v4, v3, v4, 0x3d29fb3f
	v_fmaak_f32 v4, v3, v4, 0xbd97d4d7
	v_fmaak_f32 v4, v3, v4, 0x3dd931b2
	v_fmaak_f32 v4, v3, v4, 0xbe1160e6
	v_fmaak_f32 v4, v3, v4, 0x3e4cb8bf
	v_fmaak_f32 v4, v3, v4, 0xbeaaaa62
	v_mul_f32_e32 v3, v3, v4
	v_fmac_f32_e32 v2, v2, v3
	v_sub_f32_e32 v3, 0x3fc90fdb, v2
	v_cndmask_b32_e32 v2, v2, v3, vcc_lo
	v_bfi_b32 v1, 0x7fffffff, v2, v1
	v_bfe_u32 v2, v1, 16, 1
	v_cmp_o_f32_e32 vcc_lo, v1, v1
	v_add3_u32 v1, v1, v2, 0x7fff
	v_mov_b32_e32 v2, 0x7fc0
	v_cndmask_b32_sdwa v1, v2, v1, vcc_lo dst_sel:DWORD dst_unused:UNUSED_PAD src0_sel:DWORD src1_sel:WORD_1
	global_store_short v0, v1, s[0:1]
	s_or_b32 exec_lo, exec_lo, s30
	s_mov_b32 s30, exec_lo
	v_cmpx_gt_i32_e64 s27, v18
	s_cbranch_execnz .LBB29_156
.LBB29_171:
	s_or_b32 exec_lo, exec_lo, s30
	s_mov_b32 s30, exec_lo
	v_cmpx_gt_i32_e64 s27, v18
	s_cbranch_execz .LBB29_187
.LBB29_172:
	s_andn2_b32 vcc_lo, exec_lo, s24
	s_cbranch_vccnz .LBB29_177
; %bb.173:
	s_andn2_b32 vcc_lo, exec_lo, s29
	s_cbranch_vccnz .LBB29_178
; %bb.174:
	s_add_i32 s33, s28, 1
	s_cmp_eq_u32 s23, 2
	s_cbranch_scc1 .LBB29_195
; %bb.175:
	v_mov_b32_e32 v2, 0
	v_mov_b32_e32 v0, 0
	;; [unrolled: 1-line block ×3, first 2 shown]
	s_and_b32 s31, s33, 28
	s_mov_b32 s34, 0
	s_mov_b64 s[18:19], s[12:13]
	s_mov_b64 s[20:21], s[16:17]
.LBB29_176:                             ; =>This Inner Loop Header: Depth=1
	s_clause 0x1
	s_load_dwordx8 s[36:43], s[18:19], 0x4
	s_load_dwordx4 s[52:55], s[18:19], 0x24
	s_load_dwordx8 s[44:51], s[20:21], 0x0
	s_add_u32 s18, s18, 48
	s_addc_u32 s19, s19, 0
	s_add_i32 s34, s34, 4
	s_add_u32 s20, s20, 32
	s_addc_u32 s21, s21, 0
	s_cmp_eq_u32 s31, s34
	s_waitcnt lgkmcnt(0)
	v_mul_hi_u32 v3, s37, v1
	v_add_nc_u32_e32 v3, v1, v3
	v_lshrrev_b32_e32 v3, s38, v3
	v_mul_hi_u32 v4, s40, v3
	v_mul_lo_u32 v6, v3, s36
	v_add_nc_u32_e32 v4, v3, v4
	v_sub_nc_u32_e32 v1, v1, v6
	v_lshrrev_b32_e32 v4, s41, v4
	v_mul_lo_u32 v6, v1, s44
	v_mul_lo_u32 v8, v1, s45
	v_mul_hi_u32 v5, s43, v4
	v_add_nc_u32_e32 v5, v4, v5
	v_lshrrev_b32_e32 v5, s52, v5
	v_mul_hi_u32 v7, s54, v5
	v_mul_lo_u32 v9, v5, s42
	v_add_nc_u32_e32 v1, v5, v7
	v_mul_lo_u32 v7, v4, s39
	v_sub_nc_u32_e32 v4, v4, v9
	v_lshrrev_b32_e32 v1, s55, v1
	v_mul_lo_u32 v9, v4, s48
	v_mul_lo_u32 v4, v4, s49
	v_sub_nc_u32_e32 v3, v3, v7
	v_mul_lo_u32 v10, v1, s53
	v_mul_lo_u32 v7, v3, s46
	;; [unrolled: 1-line block ×3, first 2 shown]
	v_sub_nc_u32_e32 v5, v5, v10
	v_add3_u32 v0, v6, v0, v7
	v_mul_lo_u32 v10, v5, s50
	v_mul_lo_u32 v5, v5, s51
	v_add3_u32 v2, v8, v2, v3
	v_add3_u32 v0, v9, v0, v10
	;; [unrolled: 1-line block ×3, first 2 shown]
	s_cbranch_scc0 .LBB29_176
	s_branch .LBB29_196
.LBB29_177:
                                        ; implicit-def: $vgpr0
                                        ; implicit-def: $vgpr2
	s_branch .LBB29_200
.LBB29_178:
	v_mov_b32_e32 v0, 0
	v_mov_b32_e32 v2, 0
	s_branch .LBB29_199
.LBB29_179:
	v_mov_b32_e32 v0, 0
	v_mov_b32_e32 v2, 0
	;; [unrolled: 1-line block ×3, first 2 shown]
	s_mov_b32 s31, 0
.LBB29_180:
	s_and_b32 s33, s33, 3
	s_cmp_eq_u32 s33, 0
	s_cbranch_scc1 .LBB29_183
; %bb.181:
	s_lshl_b32 s18, s31, 3
	s_mul_i32 s20, s31, 12
	s_add_u32 s18, s12, s18
	s_addc_u32 s19, s13, 0
	s_add_u32 s18, s18, 0xc4
	s_addc_u32 s19, s19, 0
	s_add_u32 s20, s12, s20
	s_addc_u32 s21, s13, 0
	.p2align	6
.LBB29_182:                             ; =>This Inner Loop Header: Depth=1
	s_clause 0x1
	s_load_dwordx2 s[34:35], s[20:21], 0x4
	s_load_dword s31, s[20:21], 0xc
	s_load_dwordx2 s[36:37], s[18:19], 0x0
	s_add_u32 s20, s20, 12
	s_addc_u32 s21, s21, 0
	s_add_u32 s18, s18, 8
	s_addc_u32 s19, s19, 0
	s_add_i32 s33, s33, -1
	s_cmp_lg_u32 s33, 0
	s_waitcnt lgkmcnt(0)
	v_mul_hi_u32 v3, s35, v1
	v_add_nc_u32_e32 v3, v1, v3
	v_lshrrev_b32_e32 v4, s31, v3
	v_mul_lo_u32 v3, v4, s34
	v_sub_nc_u32_e32 v3, v1, v3
	v_mad_u64_u32 v[0:1], null, v3, s36, v[0:1]
	v_mad_u64_u32 v[2:3], null, v3, s37, v[2:3]
	v_mov_b32_e32 v1, v4
	s_cbranch_scc1 .LBB29_182
.LBB29_183:
	s_cbranch_execnz .LBB29_186
.LBB29_184:
	s_waitcnt lgkmcnt(0)
	v_mul_hi_u32 v0, s9, v18
	s_andn2_b32 vcc_lo, exec_lo, s26
	v_add_nc_u32_e32 v0, v18, v0
	v_lshrrev_b32_e32 v1, s10, v0
	v_mul_lo_u32 v0, v1, s8
	v_sub_nc_u32_e32 v2, v18, v0
	v_mul_lo_u32 v0, v2, s4
	v_mul_lo_u32 v2, v2, s5
	s_cbranch_vccnz .LBB29_186
; %bb.185:
	v_mul_hi_u32 v3, s14, v1
	v_add_nc_u32_e32 v3, v1, v3
	v_lshrrev_b32_e32 v3, s15, v3
	v_mul_lo_u32 v3, v3, s11
	v_sub_nc_u32_e32 v3, v1, v3
	v_mad_u64_u32 v[0:1], null, v3, s6, v[0:1]
	v_mad_u64_u32 v[2:3], null, v3, s7, v[2:3]
.LBB29_186:
	s_waitcnt lgkmcnt(0)
	global_load_ushort v1, v2, s[2:3]
	s_mov_b32 s18, 0x3b2d2a58
	v_add_nc_u32_e32 v18, 0x80, v18
	s_waitcnt vmcnt(0)
	v_lshlrev_b32_e32 v1, 16, v1
	v_rcp_f32_e64 v2, |v1|
	v_cmp_gt_f32_e64 vcc_lo, |v1|, 1.0
	v_cndmask_b32_e64 v2, |v1|, v2, vcc_lo
	v_mul_f32_e32 v3, v2, v2
	v_fmaak_f32 v4, s18, v3, 0xbc7a590c
	v_fmaak_f32 v4, v3, v4, 0x3d29fb3f
	;; [unrolled: 1-line block ×7, first 2 shown]
	v_mul_f32_e32 v3, v3, v4
	v_fmac_f32_e32 v2, v2, v3
	v_sub_f32_e32 v3, 0x3fc90fdb, v2
	v_cndmask_b32_e32 v2, v2, v3, vcc_lo
	v_bfi_b32 v1, 0x7fffffff, v2, v1
	v_bfe_u32 v2, v1, 16, 1
	v_cmp_o_f32_e32 vcc_lo, v1, v1
	v_add3_u32 v1, v1, v2, 0x7fff
	v_mov_b32_e32 v2, 0x7fc0
	v_cndmask_b32_sdwa v1, v2, v1, vcc_lo dst_sel:DWORD dst_unused:UNUSED_PAD src0_sel:DWORD src1_sel:WORD_1
	global_store_short v0, v1, s[0:1]
	s_or_b32 exec_lo, exec_lo, s30
	s_mov_b32 s30, exec_lo
	v_cmpx_gt_i32_e64 s27, v18
	s_cbranch_execnz .LBB29_172
.LBB29_187:
	s_or_b32 exec_lo, exec_lo, s30
	s_mov_b32 s30, exec_lo
	v_cmpx_gt_i32_e64 s27, v18
	s_cbranch_execz .LBB29_203
.LBB29_188:
	s_andn2_b32 vcc_lo, exec_lo, s24
	s_cbranch_vccnz .LBB29_193
; %bb.189:
	s_andn2_b32 vcc_lo, exec_lo, s29
	s_cbranch_vccnz .LBB29_194
; %bb.190:
	s_add_i32 s33, s28, 1
	s_cmp_eq_u32 s23, 2
	s_cbranch_scc1 .LBB29_211
; %bb.191:
	v_mov_b32_e32 v2, 0
	v_mov_b32_e32 v0, 0
	;; [unrolled: 1-line block ×3, first 2 shown]
	s_and_b32 s31, s33, 28
	s_mov_b32 s34, 0
	s_mov_b64 s[18:19], s[12:13]
	s_mov_b64 s[20:21], s[16:17]
.LBB29_192:                             ; =>This Inner Loop Header: Depth=1
	s_clause 0x1
	s_load_dwordx8 s[36:43], s[18:19], 0x4
	s_load_dwordx4 s[52:55], s[18:19], 0x24
	s_load_dwordx8 s[44:51], s[20:21], 0x0
	s_add_u32 s18, s18, 48
	s_addc_u32 s19, s19, 0
	s_add_i32 s34, s34, 4
	s_add_u32 s20, s20, 32
	s_addc_u32 s21, s21, 0
	s_cmp_eq_u32 s31, s34
	s_waitcnt lgkmcnt(0)
	v_mul_hi_u32 v3, s37, v1
	v_add_nc_u32_e32 v3, v1, v3
	v_lshrrev_b32_e32 v3, s38, v3
	v_mul_hi_u32 v4, s40, v3
	v_mul_lo_u32 v6, v3, s36
	v_add_nc_u32_e32 v4, v3, v4
	v_sub_nc_u32_e32 v1, v1, v6
	v_lshrrev_b32_e32 v4, s41, v4
	v_mul_lo_u32 v6, v1, s44
	v_mul_lo_u32 v8, v1, s45
	v_mul_hi_u32 v5, s43, v4
	v_add_nc_u32_e32 v5, v4, v5
	v_lshrrev_b32_e32 v5, s52, v5
	v_mul_hi_u32 v7, s54, v5
	v_mul_lo_u32 v9, v5, s42
	v_add_nc_u32_e32 v1, v5, v7
	v_mul_lo_u32 v7, v4, s39
	v_sub_nc_u32_e32 v4, v4, v9
	v_lshrrev_b32_e32 v1, s55, v1
	v_mul_lo_u32 v9, v4, s48
	v_mul_lo_u32 v4, v4, s49
	v_sub_nc_u32_e32 v3, v3, v7
	v_mul_lo_u32 v10, v1, s53
	v_mul_lo_u32 v7, v3, s46
	;; [unrolled: 1-line block ×3, first 2 shown]
	v_sub_nc_u32_e32 v5, v5, v10
	v_add3_u32 v0, v6, v0, v7
	v_mul_lo_u32 v10, v5, s50
	v_mul_lo_u32 v5, v5, s51
	v_add3_u32 v2, v8, v2, v3
	v_add3_u32 v0, v9, v0, v10
	;; [unrolled: 1-line block ×3, first 2 shown]
	s_cbranch_scc0 .LBB29_192
	s_branch .LBB29_212
.LBB29_193:
                                        ; implicit-def: $vgpr0
                                        ; implicit-def: $vgpr2
	s_branch .LBB29_216
.LBB29_194:
	v_mov_b32_e32 v0, 0
	v_mov_b32_e32 v2, 0
	s_branch .LBB29_215
.LBB29_195:
	v_mov_b32_e32 v0, 0
	v_mov_b32_e32 v2, 0
	;; [unrolled: 1-line block ×3, first 2 shown]
	s_mov_b32 s31, 0
.LBB29_196:
	s_and_b32 s33, s33, 3
	s_cmp_eq_u32 s33, 0
	s_cbranch_scc1 .LBB29_199
; %bb.197:
	s_lshl_b32 s18, s31, 3
	s_mul_i32 s20, s31, 12
	s_add_u32 s18, s12, s18
	s_addc_u32 s19, s13, 0
	s_add_u32 s18, s18, 0xc4
	s_addc_u32 s19, s19, 0
	;; [unrolled: 2-line block ×3, first 2 shown]
	.p2align	6
.LBB29_198:                             ; =>This Inner Loop Header: Depth=1
	s_clause 0x1
	s_load_dwordx2 s[34:35], s[20:21], 0x4
	s_load_dword s31, s[20:21], 0xc
	s_load_dwordx2 s[36:37], s[18:19], 0x0
	s_add_u32 s20, s20, 12
	s_addc_u32 s21, s21, 0
	s_add_u32 s18, s18, 8
	s_addc_u32 s19, s19, 0
	s_add_i32 s33, s33, -1
	s_cmp_lg_u32 s33, 0
	s_waitcnt lgkmcnt(0)
	v_mul_hi_u32 v3, s35, v1
	v_add_nc_u32_e32 v3, v1, v3
	v_lshrrev_b32_e32 v4, s31, v3
	v_mul_lo_u32 v3, v4, s34
	v_sub_nc_u32_e32 v3, v1, v3
	v_mad_u64_u32 v[0:1], null, v3, s36, v[0:1]
	v_mad_u64_u32 v[2:3], null, v3, s37, v[2:3]
	v_mov_b32_e32 v1, v4
	s_cbranch_scc1 .LBB29_198
.LBB29_199:
	s_cbranch_execnz .LBB29_202
.LBB29_200:
	s_waitcnt lgkmcnt(0)
	v_mul_hi_u32 v0, s9, v18
	s_andn2_b32 vcc_lo, exec_lo, s26
	v_add_nc_u32_e32 v0, v18, v0
	v_lshrrev_b32_e32 v1, s10, v0
	v_mul_lo_u32 v0, v1, s8
	v_sub_nc_u32_e32 v2, v18, v0
	v_mul_lo_u32 v0, v2, s4
	v_mul_lo_u32 v2, v2, s5
	s_cbranch_vccnz .LBB29_202
; %bb.201:
	v_mul_hi_u32 v3, s14, v1
	v_add_nc_u32_e32 v3, v1, v3
	v_lshrrev_b32_e32 v3, s15, v3
	v_mul_lo_u32 v3, v3, s11
	v_sub_nc_u32_e32 v3, v1, v3
	v_mad_u64_u32 v[0:1], null, v3, s6, v[0:1]
	v_mad_u64_u32 v[2:3], null, v3, s7, v[2:3]
.LBB29_202:
	s_waitcnt lgkmcnt(0)
	global_load_ushort v1, v2, s[2:3]
	s_mov_b32 s18, 0x3b2d2a58
	v_add_nc_u32_e32 v18, 0x80, v18
	s_waitcnt vmcnt(0)
	v_lshlrev_b32_e32 v1, 16, v1
	v_rcp_f32_e64 v2, |v1|
	v_cmp_gt_f32_e64 vcc_lo, |v1|, 1.0
	v_cndmask_b32_e64 v2, |v1|, v2, vcc_lo
	v_mul_f32_e32 v3, v2, v2
	v_fmaak_f32 v4, s18, v3, 0xbc7a590c
	v_fmaak_f32 v4, v3, v4, 0x3d29fb3f
	;; [unrolled: 1-line block ×7, first 2 shown]
	v_mul_f32_e32 v3, v3, v4
	v_fmac_f32_e32 v2, v2, v3
	v_sub_f32_e32 v3, 0x3fc90fdb, v2
	v_cndmask_b32_e32 v2, v2, v3, vcc_lo
	v_bfi_b32 v1, 0x7fffffff, v2, v1
	v_bfe_u32 v2, v1, 16, 1
	v_cmp_o_f32_e32 vcc_lo, v1, v1
	v_add3_u32 v1, v1, v2, 0x7fff
	v_mov_b32_e32 v2, 0x7fc0
	v_cndmask_b32_sdwa v1, v2, v1, vcc_lo dst_sel:DWORD dst_unused:UNUSED_PAD src0_sel:DWORD src1_sel:WORD_1
	global_store_short v0, v1, s[0:1]
	s_or_b32 exec_lo, exec_lo, s30
	s_mov_b32 s30, exec_lo
	v_cmpx_gt_i32_e64 s27, v18
	s_cbranch_execnz .LBB29_188
.LBB29_203:
	s_or_b32 exec_lo, exec_lo, s30
	s_mov_b32 s30, exec_lo
	v_cmpx_gt_i32_e64 s27, v18
	s_cbranch_execz .LBB29_219
.LBB29_204:
	s_andn2_b32 vcc_lo, exec_lo, s24
	s_cbranch_vccnz .LBB29_209
; %bb.205:
	s_andn2_b32 vcc_lo, exec_lo, s29
	s_cbranch_vccnz .LBB29_210
; %bb.206:
	s_add_i32 s33, s28, 1
	s_cmp_eq_u32 s23, 2
	s_cbranch_scc1 .LBB29_222
; %bb.207:
	v_mov_b32_e32 v2, 0
	v_mov_b32_e32 v0, 0
	;; [unrolled: 1-line block ×3, first 2 shown]
	s_and_b32 s31, s33, 28
	s_mov_b32 s34, 0
	s_mov_b64 s[18:19], s[12:13]
	s_mov_b64 s[20:21], s[16:17]
.LBB29_208:                             ; =>This Inner Loop Header: Depth=1
	s_clause 0x1
	s_load_dwordx8 s[36:43], s[18:19], 0x4
	s_load_dwordx4 s[52:55], s[18:19], 0x24
	s_load_dwordx8 s[44:51], s[20:21], 0x0
	s_add_u32 s18, s18, 48
	s_addc_u32 s19, s19, 0
	s_add_i32 s34, s34, 4
	s_add_u32 s20, s20, 32
	s_addc_u32 s21, s21, 0
	s_cmp_eq_u32 s31, s34
	s_waitcnt lgkmcnt(0)
	v_mul_hi_u32 v3, s37, v1
	v_add_nc_u32_e32 v3, v1, v3
	v_lshrrev_b32_e32 v3, s38, v3
	v_mul_hi_u32 v4, s40, v3
	v_mul_lo_u32 v6, v3, s36
	v_add_nc_u32_e32 v4, v3, v4
	v_sub_nc_u32_e32 v1, v1, v6
	v_lshrrev_b32_e32 v4, s41, v4
	v_mul_lo_u32 v6, v1, s44
	v_mul_lo_u32 v8, v1, s45
	v_mul_hi_u32 v5, s43, v4
	v_add_nc_u32_e32 v5, v4, v5
	v_lshrrev_b32_e32 v5, s52, v5
	v_mul_hi_u32 v7, s54, v5
	v_mul_lo_u32 v9, v5, s42
	v_add_nc_u32_e32 v1, v5, v7
	v_mul_lo_u32 v7, v4, s39
	v_sub_nc_u32_e32 v4, v4, v9
	v_lshrrev_b32_e32 v1, s55, v1
	v_mul_lo_u32 v9, v4, s48
	v_mul_lo_u32 v4, v4, s49
	v_sub_nc_u32_e32 v3, v3, v7
	v_mul_lo_u32 v10, v1, s53
	v_mul_lo_u32 v7, v3, s46
	;; [unrolled: 1-line block ×3, first 2 shown]
	v_sub_nc_u32_e32 v5, v5, v10
	v_add3_u32 v0, v6, v0, v7
	v_mul_lo_u32 v10, v5, s50
	v_mul_lo_u32 v5, v5, s51
	v_add3_u32 v2, v8, v2, v3
	v_add3_u32 v0, v9, v0, v10
	;; [unrolled: 1-line block ×3, first 2 shown]
	s_cbranch_scc0 .LBB29_208
	s_branch .LBB29_223
.LBB29_209:
                                        ; implicit-def: $vgpr0
                                        ; implicit-def: $vgpr2
	s_branch .LBB29_227
.LBB29_210:
	v_mov_b32_e32 v0, 0
	v_mov_b32_e32 v2, 0
	s_branch .LBB29_226
.LBB29_211:
	v_mov_b32_e32 v0, 0
	v_mov_b32_e32 v2, 0
	;; [unrolled: 1-line block ×3, first 2 shown]
	s_mov_b32 s31, 0
.LBB29_212:
	s_and_b32 s33, s33, 3
	s_cmp_eq_u32 s33, 0
	s_cbranch_scc1 .LBB29_215
; %bb.213:
	s_lshl_b32 s18, s31, 3
	s_mul_i32 s20, s31, 12
	s_add_u32 s18, s12, s18
	s_addc_u32 s19, s13, 0
	s_add_u32 s18, s18, 0xc4
	s_addc_u32 s19, s19, 0
	;; [unrolled: 2-line block ×3, first 2 shown]
	.p2align	6
.LBB29_214:                             ; =>This Inner Loop Header: Depth=1
	s_clause 0x1
	s_load_dwordx2 s[34:35], s[20:21], 0x4
	s_load_dword s31, s[20:21], 0xc
	s_load_dwordx2 s[36:37], s[18:19], 0x0
	s_add_u32 s20, s20, 12
	s_addc_u32 s21, s21, 0
	s_add_u32 s18, s18, 8
	s_addc_u32 s19, s19, 0
	s_add_i32 s33, s33, -1
	s_cmp_lg_u32 s33, 0
	s_waitcnt lgkmcnt(0)
	v_mul_hi_u32 v3, s35, v1
	v_add_nc_u32_e32 v3, v1, v3
	v_lshrrev_b32_e32 v4, s31, v3
	v_mul_lo_u32 v3, v4, s34
	v_sub_nc_u32_e32 v3, v1, v3
	v_mad_u64_u32 v[0:1], null, v3, s36, v[0:1]
	v_mad_u64_u32 v[2:3], null, v3, s37, v[2:3]
	v_mov_b32_e32 v1, v4
	s_cbranch_scc1 .LBB29_214
.LBB29_215:
	s_cbranch_execnz .LBB29_218
.LBB29_216:
	s_waitcnt lgkmcnt(0)
	v_mul_hi_u32 v0, s9, v18
	s_andn2_b32 vcc_lo, exec_lo, s26
	v_add_nc_u32_e32 v0, v18, v0
	v_lshrrev_b32_e32 v1, s10, v0
	v_mul_lo_u32 v0, v1, s8
	v_sub_nc_u32_e32 v2, v18, v0
	v_mul_lo_u32 v0, v2, s4
	v_mul_lo_u32 v2, v2, s5
	s_cbranch_vccnz .LBB29_218
; %bb.217:
	v_mul_hi_u32 v3, s14, v1
	v_add_nc_u32_e32 v3, v1, v3
	v_lshrrev_b32_e32 v3, s15, v3
	v_mul_lo_u32 v3, v3, s11
	v_sub_nc_u32_e32 v3, v1, v3
	v_mad_u64_u32 v[0:1], null, v3, s6, v[0:1]
	v_mad_u64_u32 v[2:3], null, v3, s7, v[2:3]
.LBB29_218:
	s_waitcnt lgkmcnt(0)
	global_load_ushort v1, v2, s[2:3]
	s_mov_b32 s18, 0x3b2d2a58
	v_add_nc_u32_e32 v18, 0x80, v18
	s_waitcnt vmcnt(0)
	v_lshlrev_b32_e32 v1, 16, v1
	v_rcp_f32_e64 v2, |v1|
	v_cmp_gt_f32_e64 vcc_lo, |v1|, 1.0
	v_cndmask_b32_e64 v2, |v1|, v2, vcc_lo
	v_mul_f32_e32 v3, v2, v2
	v_fmaak_f32 v4, s18, v3, 0xbc7a590c
	v_fmaak_f32 v4, v3, v4, 0x3d29fb3f
	;; [unrolled: 1-line block ×7, first 2 shown]
	v_mul_f32_e32 v3, v3, v4
	v_fmac_f32_e32 v2, v2, v3
	v_sub_f32_e32 v3, 0x3fc90fdb, v2
	v_cndmask_b32_e32 v2, v2, v3, vcc_lo
	v_bfi_b32 v1, 0x7fffffff, v2, v1
	v_bfe_u32 v2, v1, 16, 1
	v_cmp_o_f32_e32 vcc_lo, v1, v1
	v_add3_u32 v1, v1, v2, 0x7fff
	v_mov_b32_e32 v2, 0x7fc0
	v_cndmask_b32_sdwa v1, v2, v1, vcc_lo dst_sel:DWORD dst_unused:UNUSED_PAD src0_sel:DWORD src1_sel:WORD_1
	global_store_short v0, v1, s[0:1]
	s_or_b32 exec_lo, exec_lo, s30
	s_mov_b32 s30, exec_lo
	v_cmpx_gt_i32_e64 s27, v18
	s_cbranch_execnz .LBB29_204
.LBB29_219:
	s_or_b32 exec_lo, exec_lo, s30
	s_mov_b32 s20, exec_lo
	v_cmpx_gt_i32_e64 s27, v18
	s_cbranch_execnz .LBB29_230
.LBB29_220:
	s_or_b32 exec_lo, exec_lo, s20
                                        ; implicit-def: $vgpr24
                                        ; implicit-def: $vgpr18
	s_waitcnt lgkmcnt(0)
	s_andn2_saveexec_b32 s0, s25
	s_cbranch_execnz .LBB29_8
.LBB29_221:
	s_endpgm
.LBB29_222:
	v_mov_b32_e32 v0, 0
	v_mov_b32_e32 v2, 0
	;; [unrolled: 1-line block ×3, first 2 shown]
	s_mov_b32 s31, 0
.LBB29_223:
	s_and_b32 s33, s33, 3
	s_cmp_eq_u32 s33, 0
	s_cbranch_scc1 .LBB29_226
; %bb.224:
	s_lshl_b32 s18, s31, 3
	s_mul_i32 s20, s31, 12
	s_add_u32 s18, s12, s18
	s_addc_u32 s19, s13, 0
	s_add_u32 s18, s18, 0xc4
	s_addc_u32 s19, s19, 0
	;; [unrolled: 2-line block ×3, first 2 shown]
	.p2align	6
.LBB29_225:                             ; =>This Inner Loop Header: Depth=1
	s_clause 0x1
	s_load_dwordx2 s[34:35], s[20:21], 0x4
	s_load_dword s31, s[20:21], 0xc
	s_load_dwordx2 s[36:37], s[18:19], 0x0
	s_add_u32 s20, s20, 12
	s_addc_u32 s21, s21, 0
	s_add_u32 s18, s18, 8
	s_addc_u32 s19, s19, 0
	s_add_i32 s33, s33, -1
	s_cmp_lg_u32 s33, 0
	s_waitcnt lgkmcnt(0)
	v_mul_hi_u32 v3, s35, v1
	v_add_nc_u32_e32 v3, v1, v3
	v_lshrrev_b32_e32 v4, s31, v3
	v_mul_lo_u32 v3, v4, s34
	v_sub_nc_u32_e32 v3, v1, v3
	v_mad_u64_u32 v[0:1], null, v3, s36, v[0:1]
	v_mad_u64_u32 v[2:3], null, v3, s37, v[2:3]
	v_mov_b32_e32 v1, v4
	s_cbranch_scc1 .LBB29_225
.LBB29_226:
	s_cbranch_execnz .LBB29_229
.LBB29_227:
	s_waitcnt lgkmcnt(0)
	v_mul_hi_u32 v0, s9, v18
	s_andn2_b32 vcc_lo, exec_lo, s26
	v_add_nc_u32_e32 v0, v18, v0
	v_lshrrev_b32_e32 v1, s10, v0
	v_mul_lo_u32 v0, v1, s8
	v_sub_nc_u32_e32 v2, v18, v0
	v_mul_lo_u32 v0, v2, s4
	v_mul_lo_u32 v2, v2, s5
	s_cbranch_vccnz .LBB29_229
; %bb.228:
	v_mul_hi_u32 v3, s14, v1
	v_add_nc_u32_e32 v3, v1, v3
	v_lshrrev_b32_e32 v3, s15, v3
	v_mul_lo_u32 v3, v3, s11
	v_sub_nc_u32_e32 v3, v1, v3
	v_mad_u64_u32 v[0:1], null, v3, s6, v[0:1]
	v_mad_u64_u32 v[2:3], null, v3, s7, v[2:3]
.LBB29_229:
	s_waitcnt lgkmcnt(0)
	global_load_ushort v1, v2, s[2:3]
	s_mov_b32 s18, 0x3b2d2a58
	v_add_nc_u32_e32 v18, 0x80, v18
	s_waitcnt vmcnt(0)
	v_lshlrev_b32_e32 v1, 16, v1
	v_rcp_f32_e64 v2, |v1|
	v_cmp_gt_f32_e64 vcc_lo, |v1|, 1.0
	v_cndmask_b32_e64 v2, |v1|, v2, vcc_lo
	v_mul_f32_e32 v3, v2, v2
	v_fmaak_f32 v4, s18, v3, 0xbc7a590c
	v_fmaak_f32 v4, v3, v4, 0x3d29fb3f
	;; [unrolled: 1-line block ×7, first 2 shown]
	v_mul_f32_e32 v3, v3, v4
	v_fmac_f32_e32 v2, v2, v3
	v_sub_f32_e32 v3, 0x3fc90fdb, v2
	v_cndmask_b32_e32 v2, v2, v3, vcc_lo
	v_bfi_b32 v1, 0x7fffffff, v2, v1
	v_bfe_u32 v2, v1, 16, 1
	v_cmp_o_f32_e32 vcc_lo, v1, v1
	v_add3_u32 v1, v1, v2, 0x7fff
	v_mov_b32_e32 v2, 0x7fc0
	v_cndmask_b32_sdwa v1, v2, v1, vcc_lo dst_sel:DWORD dst_unused:UNUSED_PAD src0_sel:DWORD src1_sel:WORD_1
	global_store_short v0, v1, s[0:1]
	s_or_b32 exec_lo, exec_lo, s30
	s_mov_b32 s20, exec_lo
	v_cmpx_gt_i32_e64 s27, v18
	s_cbranch_execz .LBB29_220
.LBB29_230:
	s_andn2_b32 vcc_lo, exec_lo, s24
	s_cbranch_vccnz .LBB29_235
; %bb.231:
	s_andn2_b32 vcc_lo, exec_lo, s29
	s_cbranch_vccnz .LBB29_236
; %bb.232:
	s_add_i32 s28, s28, 1
	s_cmp_eq_u32 s23, 2
	s_cbranch_scc1 .LBB29_237
; %bb.233:
	v_mov_b32_e32 v2, 0
	v_mov_b32_e32 v0, 0
	v_mov_b32_e32 v1, v18
	s_and_b32 s21, s28, 28
	s_mov_b32 s27, 0
	s_mov_b64 s[18:19], s[12:13]
.LBB29_234:                             ; =>This Inner Loop Header: Depth=1
	s_clause 0x1
	s_load_dwordx8 s[36:43], s[18:19], 0x4
	s_load_dwordx4 s[52:55], s[18:19], 0x24
	s_load_dwordx8 s[44:51], s[16:17], 0x0
	s_add_u32 s18, s18, 48
	s_addc_u32 s19, s19, 0
	s_add_i32 s27, s27, 4
	s_add_u32 s16, s16, 32
	s_addc_u32 s17, s17, 0
	s_cmp_eq_u32 s21, s27
	s_waitcnt lgkmcnt(0)
	v_mul_hi_u32 v3, s37, v1
	v_add_nc_u32_e32 v3, v1, v3
	v_lshrrev_b32_e32 v3, s38, v3
	v_mul_hi_u32 v4, s40, v3
	v_mul_lo_u32 v6, v3, s36
	v_add_nc_u32_e32 v4, v3, v4
	v_sub_nc_u32_e32 v1, v1, v6
	v_lshrrev_b32_e32 v4, s41, v4
	v_mul_lo_u32 v6, v1, s44
	v_mul_lo_u32 v8, v1, s45
	v_mul_hi_u32 v5, s43, v4
	v_add_nc_u32_e32 v5, v4, v5
	v_lshrrev_b32_e32 v5, s52, v5
	v_mul_hi_u32 v7, s54, v5
	v_mul_lo_u32 v9, v5, s42
	v_add_nc_u32_e32 v1, v5, v7
	v_mul_lo_u32 v7, v4, s39
	v_sub_nc_u32_e32 v4, v4, v9
	v_lshrrev_b32_e32 v1, s55, v1
	v_mul_lo_u32 v9, v4, s48
	v_mul_lo_u32 v4, v4, s49
	v_sub_nc_u32_e32 v3, v3, v7
	v_mul_lo_u32 v10, v1, s53
	v_mul_lo_u32 v7, v3, s46
	;; [unrolled: 1-line block ×3, first 2 shown]
	v_sub_nc_u32_e32 v5, v5, v10
	v_add3_u32 v0, v6, v0, v7
	v_mul_lo_u32 v10, v5, s50
	v_mul_lo_u32 v5, v5, s51
	v_add3_u32 v2, v8, v2, v3
	v_add3_u32 v0, v9, v0, v10
	;; [unrolled: 1-line block ×3, first 2 shown]
	s_cbranch_scc0 .LBB29_234
	s_branch .LBB29_238
.LBB29_235:
                                        ; implicit-def: $vgpr0
                                        ; implicit-def: $vgpr2
	s_branch .LBB29_242
.LBB29_236:
	v_mov_b32_e32 v0, 0
	v_mov_b32_e32 v2, 0
	s_branch .LBB29_241
.LBB29_237:
	v_mov_b32_e32 v0, 0
	v_mov_b32_e32 v2, 0
	;; [unrolled: 1-line block ×3, first 2 shown]
	s_mov_b32 s21, 0
.LBB29_238:
	s_and_b32 s27, s28, 3
	s_cmp_eq_u32 s27, 0
	s_cbranch_scc1 .LBB29_241
; %bb.239:
	s_lshl_b32 s16, s21, 3
	s_mul_i32 s18, s21, 12
	s_add_u32 s16, s12, s16
	s_addc_u32 s17, s13, 0
	s_add_u32 s16, s16, 0xc4
	s_addc_u32 s17, s17, 0
	;; [unrolled: 2-line block ×3, first 2 shown]
	.p2align	6
.LBB29_240:                             ; =>This Inner Loop Header: Depth=1
	s_clause 0x1
	s_load_dwordx2 s[28:29], s[18:19], 0x4
	s_load_dword s21, s[18:19], 0xc
	s_load_dwordx2 s[30:31], s[16:17], 0x0
	s_add_u32 s18, s18, 12
	s_addc_u32 s19, s19, 0
	s_add_u32 s16, s16, 8
	s_addc_u32 s17, s17, 0
	s_add_i32 s27, s27, -1
	s_cmp_lg_u32 s27, 0
	s_waitcnt lgkmcnt(0)
	v_mul_hi_u32 v3, s29, v1
	v_add_nc_u32_e32 v3, v1, v3
	v_lshrrev_b32_e32 v4, s21, v3
	v_mul_lo_u32 v3, v4, s28
	v_sub_nc_u32_e32 v3, v1, v3
	v_mad_u64_u32 v[0:1], null, v3, s30, v[0:1]
	v_mad_u64_u32 v[2:3], null, v3, s31, v[2:3]
	v_mov_b32_e32 v1, v4
	s_cbranch_scc1 .LBB29_240
.LBB29_241:
	s_cbranch_execnz .LBB29_244
.LBB29_242:
	s_waitcnt lgkmcnt(0)
	v_mul_hi_u32 v0, s9, v18
	s_andn2_b32 vcc_lo, exec_lo, s26
	v_add_nc_u32_e32 v0, v18, v0
	v_lshrrev_b32_e32 v1, s10, v0
	v_mul_lo_u32 v0, v1, s8
	v_sub_nc_u32_e32 v2, v18, v0
	v_mul_lo_u32 v0, v2, s4
	v_mul_lo_u32 v2, v2, s5
	s_cbranch_vccnz .LBB29_244
; %bb.243:
	v_mul_hi_u32 v3, s14, v1
	v_add_nc_u32_e32 v3, v1, v3
	v_lshrrev_b32_e32 v3, s15, v3
	v_mul_lo_u32 v3, v3, s11
	v_sub_nc_u32_e32 v3, v1, v3
	v_mad_u64_u32 v[0:1], null, v3, s6, v[0:1]
	v_mad_u64_u32 v[2:3], null, v3, s7, v[2:3]
.LBB29_244:
	s_waitcnt lgkmcnt(0)
	global_load_ushort v1, v2, s[2:3]
	s_mov_b32 s2, 0x3b2d2a58
	s_waitcnt vmcnt(0)
	v_lshlrev_b32_e32 v1, 16, v1
	v_rcp_f32_e64 v2, |v1|
	v_cmp_gt_f32_e64 vcc_lo, |v1|, 1.0
	v_cndmask_b32_e64 v2, |v1|, v2, vcc_lo
	v_mul_f32_e32 v3, v2, v2
	v_fmaak_f32 v4, s2, v3, 0xbc7a590c
	v_fmaak_f32 v4, v3, v4, 0x3d29fb3f
	;; [unrolled: 1-line block ×7, first 2 shown]
	v_mul_f32_e32 v3, v3, v4
	v_fmac_f32_e32 v2, v2, v3
	v_sub_f32_e32 v3, 0x3fc90fdb, v2
	v_cndmask_b32_e32 v2, v2, v3, vcc_lo
	v_bfi_b32 v1, 0x7fffffff, v2, v1
	v_bfe_u32 v2, v1, 16, 1
	v_cmp_o_f32_e32 vcc_lo, v1, v1
	v_add3_u32 v1, v1, v2, 0x7fff
	v_mov_b32_e32 v2, 0x7fc0
	v_cndmask_b32_sdwa v1, v2, v1, vcc_lo dst_sel:DWORD dst_unused:UNUSED_PAD src0_sel:DWORD src1_sel:WORD_1
	global_store_short v0, v1, s[0:1]
	s_or_b32 exec_lo, exec_lo, s20
                                        ; implicit-def: $vgpr24
                                        ; implicit-def: $vgpr18
	s_andn2_saveexec_b32 s0, s25
	s_cbranch_execz .LBB29_221
	s_branch .LBB29_8
	.section	.rodata,"a",@progbits
	.p2align	6, 0x0
	.amdhsa_kernel _ZN2at6native32elementwise_kernel_manual_unrollILi128ELi8EZNS0_22gpu_kernel_impl_nocastIZZZNS0_16atan_kernel_cudaERNS_18TensorIteratorBaseEENKUlvE0_clEvENKUlvE2_clEvEUlN3c108BFloat16EE_EEvS4_RKT_EUlibE_EEviT1_
		.amdhsa_group_segment_fixed_size 0
		.amdhsa_private_segment_fixed_size 0
		.amdhsa_kernarg_size 360
		.amdhsa_user_sgpr_count 6
		.amdhsa_user_sgpr_private_segment_buffer 1
		.amdhsa_user_sgpr_dispatch_ptr 0
		.amdhsa_user_sgpr_queue_ptr 0
		.amdhsa_user_sgpr_kernarg_segment_ptr 1
		.amdhsa_user_sgpr_dispatch_id 0
		.amdhsa_user_sgpr_flat_scratch_init 0
		.amdhsa_user_sgpr_private_segment_size 0
		.amdhsa_wavefront_size32 1
		.amdhsa_uses_dynamic_stack 0
		.amdhsa_system_sgpr_private_segment_wavefront_offset 0
		.amdhsa_system_sgpr_workgroup_id_x 1
		.amdhsa_system_sgpr_workgroup_id_y 0
		.amdhsa_system_sgpr_workgroup_id_z 0
		.amdhsa_system_sgpr_workgroup_info 0
		.amdhsa_system_vgpr_workitem_id 0
		.amdhsa_next_free_vgpr 41
		.amdhsa_next_free_sgpr 56
		.amdhsa_reserve_vcc 1
		.amdhsa_reserve_flat_scratch 0
		.amdhsa_float_round_mode_32 0
		.amdhsa_float_round_mode_16_64 0
		.amdhsa_float_denorm_mode_32 3
		.amdhsa_float_denorm_mode_16_64 3
		.amdhsa_dx10_clamp 1
		.amdhsa_ieee_mode 1
		.amdhsa_fp16_overflow 0
		.amdhsa_workgroup_processor_mode 1
		.amdhsa_memory_ordered 1
		.amdhsa_forward_progress 1
		.amdhsa_shared_vgpr_count 0
		.amdhsa_exception_fp_ieee_invalid_op 0
		.amdhsa_exception_fp_denorm_src 0
		.amdhsa_exception_fp_ieee_div_zero 0
		.amdhsa_exception_fp_ieee_overflow 0
		.amdhsa_exception_fp_ieee_underflow 0
		.amdhsa_exception_fp_ieee_inexact 0
		.amdhsa_exception_int_div_zero 0
	.end_amdhsa_kernel
	.section	.text._ZN2at6native32elementwise_kernel_manual_unrollILi128ELi8EZNS0_22gpu_kernel_impl_nocastIZZZNS0_16atan_kernel_cudaERNS_18TensorIteratorBaseEENKUlvE0_clEvENKUlvE2_clEvEUlN3c108BFloat16EE_EEvS4_RKT_EUlibE_EEviT1_,"axG",@progbits,_ZN2at6native32elementwise_kernel_manual_unrollILi128ELi8EZNS0_22gpu_kernel_impl_nocastIZZZNS0_16atan_kernel_cudaERNS_18TensorIteratorBaseEENKUlvE0_clEvENKUlvE2_clEvEUlN3c108BFloat16EE_EEvS4_RKT_EUlibE_EEviT1_,comdat
.Lfunc_end29:
	.size	_ZN2at6native32elementwise_kernel_manual_unrollILi128ELi8EZNS0_22gpu_kernel_impl_nocastIZZZNS0_16atan_kernel_cudaERNS_18TensorIteratorBaseEENKUlvE0_clEvENKUlvE2_clEvEUlN3c108BFloat16EE_EEvS4_RKT_EUlibE_EEviT1_, .Lfunc_end29-_ZN2at6native32elementwise_kernel_manual_unrollILi128ELi8EZNS0_22gpu_kernel_impl_nocastIZZZNS0_16atan_kernel_cudaERNS_18TensorIteratorBaseEENKUlvE0_clEvENKUlvE2_clEvEUlN3c108BFloat16EE_EEvS4_RKT_EUlibE_EEviT1_
                                        ; -- End function
	.set _ZN2at6native32elementwise_kernel_manual_unrollILi128ELi8EZNS0_22gpu_kernel_impl_nocastIZZZNS0_16atan_kernel_cudaERNS_18TensorIteratorBaseEENKUlvE0_clEvENKUlvE2_clEvEUlN3c108BFloat16EE_EEvS4_RKT_EUlibE_EEviT1_.num_vgpr, 41
	.set _ZN2at6native32elementwise_kernel_manual_unrollILi128ELi8EZNS0_22gpu_kernel_impl_nocastIZZZNS0_16atan_kernel_cudaERNS_18TensorIteratorBaseEENKUlvE0_clEvENKUlvE2_clEvEUlN3c108BFloat16EE_EEvS4_RKT_EUlibE_EEviT1_.num_agpr, 0
	.set _ZN2at6native32elementwise_kernel_manual_unrollILi128ELi8EZNS0_22gpu_kernel_impl_nocastIZZZNS0_16atan_kernel_cudaERNS_18TensorIteratorBaseEENKUlvE0_clEvENKUlvE2_clEvEUlN3c108BFloat16EE_EEvS4_RKT_EUlibE_EEviT1_.numbered_sgpr, 56
	.set _ZN2at6native32elementwise_kernel_manual_unrollILi128ELi8EZNS0_22gpu_kernel_impl_nocastIZZZNS0_16atan_kernel_cudaERNS_18TensorIteratorBaseEENKUlvE0_clEvENKUlvE2_clEvEUlN3c108BFloat16EE_EEvS4_RKT_EUlibE_EEviT1_.num_named_barrier, 0
	.set _ZN2at6native32elementwise_kernel_manual_unrollILi128ELi8EZNS0_22gpu_kernel_impl_nocastIZZZNS0_16atan_kernel_cudaERNS_18TensorIteratorBaseEENKUlvE0_clEvENKUlvE2_clEvEUlN3c108BFloat16EE_EEvS4_RKT_EUlibE_EEviT1_.private_seg_size, 0
	.set _ZN2at6native32elementwise_kernel_manual_unrollILi128ELi8EZNS0_22gpu_kernel_impl_nocastIZZZNS0_16atan_kernel_cudaERNS_18TensorIteratorBaseEENKUlvE0_clEvENKUlvE2_clEvEUlN3c108BFloat16EE_EEvS4_RKT_EUlibE_EEviT1_.uses_vcc, 1
	.set _ZN2at6native32elementwise_kernel_manual_unrollILi128ELi8EZNS0_22gpu_kernel_impl_nocastIZZZNS0_16atan_kernel_cudaERNS_18TensorIteratorBaseEENKUlvE0_clEvENKUlvE2_clEvEUlN3c108BFloat16EE_EEvS4_RKT_EUlibE_EEviT1_.uses_flat_scratch, 0
	.set _ZN2at6native32elementwise_kernel_manual_unrollILi128ELi8EZNS0_22gpu_kernel_impl_nocastIZZZNS0_16atan_kernel_cudaERNS_18TensorIteratorBaseEENKUlvE0_clEvENKUlvE2_clEvEUlN3c108BFloat16EE_EEvS4_RKT_EUlibE_EEviT1_.has_dyn_sized_stack, 0
	.set _ZN2at6native32elementwise_kernel_manual_unrollILi128ELi8EZNS0_22gpu_kernel_impl_nocastIZZZNS0_16atan_kernel_cudaERNS_18TensorIteratorBaseEENKUlvE0_clEvENKUlvE2_clEvEUlN3c108BFloat16EE_EEvS4_RKT_EUlibE_EEviT1_.has_recursion, 0
	.set _ZN2at6native32elementwise_kernel_manual_unrollILi128ELi8EZNS0_22gpu_kernel_impl_nocastIZZZNS0_16atan_kernel_cudaERNS_18TensorIteratorBaseEENKUlvE0_clEvENKUlvE2_clEvEUlN3c108BFloat16EE_EEvS4_RKT_EUlibE_EEviT1_.has_indirect_call, 0
	.section	.AMDGPU.csdata,"",@progbits
; Kernel info:
; codeLenInByte = 14884
; TotalNumSgprs: 58
; NumVgprs: 41
; ScratchSize: 0
; MemoryBound: 0
; FloatMode: 240
; IeeeMode: 1
; LDSByteSize: 0 bytes/workgroup (compile time only)
; SGPRBlocks: 0
; VGPRBlocks: 5
; NumSGPRsForWavesPerEU: 58
; NumVGPRsForWavesPerEU: 41
; Occupancy: 16
; WaveLimiterHint : 1
; COMPUTE_PGM_RSRC2:SCRATCH_EN: 0
; COMPUTE_PGM_RSRC2:USER_SGPR: 6
; COMPUTE_PGM_RSRC2:TRAP_HANDLER: 0
; COMPUTE_PGM_RSRC2:TGID_X_EN: 1
; COMPUTE_PGM_RSRC2:TGID_Y_EN: 0
; COMPUTE_PGM_RSRC2:TGID_Z_EN: 0
; COMPUTE_PGM_RSRC2:TIDIG_COMP_CNT: 0
	.section	.text._ZN2at6native32elementwise_kernel_manual_unrollILi128ELi4EZNS0_15gpu_kernel_implIZZZNS0_16atan_kernel_cudaERNS_18TensorIteratorBaseEENKUlvE0_clEvENKUlvE2_clEvEUlN3c108BFloat16EE_EEvS4_RKT_EUlibE_EEviT1_,"axG",@progbits,_ZN2at6native32elementwise_kernel_manual_unrollILi128ELi4EZNS0_15gpu_kernel_implIZZZNS0_16atan_kernel_cudaERNS_18TensorIteratorBaseEENKUlvE0_clEvENKUlvE2_clEvEUlN3c108BFloat16EE_EEvS4_RKT_EUlibE_EEviT1_,comdat
	.globl	_ZN2at6native32elementwise_kernel_manual_unrollILi128ELi4EZNS0_15gpu_kernel_implIZZZNS0_16atan_kernel_cudaERNS_18TensorIteratorBaseEENKUlvE0_clEvENKUlvE2_clEvEUlN3c108BFloat16EE_EEvS4_RKT_EUlibE_EEviT1_ ; -- Begin function _ZN2at6native32elementwise_kernel_manual_unrollILi128ELi4EZNS0_15gpu_kernel_implIZZZNS0_16atan_kernel_cudaERNS_18TensorIteratorBaseEENKUlvE0_clEvENKUlvE2_clEvEUlN3c108BFloat16EE_EEvS4_RKT_EUlibE_EEviT1_
	.p2align	8
	.type	_ZN2at6native32elementwise_kernel_manual_unrollILi128ELi4EZNS0_15gpu_kernel_implIZZZNS0_16atan_kernel_cudaERNS_18TensorIteratorBaseEENKUlvE0_clEvENKUlvE2_clEvEUlN3c108BFloat16EE_EEvS4_RKT_EUlibE_EEviT1_,@function
_ZN2at6native32elementwise_kernel_manual_unrollILi128ELi4EZNS0_15gpu_kernel_implIZZZNS0_16atan_kernel_cudaERNS_18TensorIteratorBaseEENKUlvE0_clEvENKUlvE2_clEvEUlN3c108BFloat16EE_EEvS4_RKT_EUlibE_EEviT1_: ; @_ZN2at6native32elementwise_kernel_manual_unrollILi128ELi4EZNS0_15gpu_kernel_implIZZZNS0_16atan_kernel_cudaERNS_18TensorIteratorBaseEENKUlvE0_clEvENKUlvE2_clEvEUlN3c108BFloat16EE_EEvS4_RKT_EUlibE_EEviT1_
; %bb.0:
	v_mov_b32_e32 v1, 0
	s_clause 0x2
	s_load_dword s12, s[4:5], 0x0
	s_load_dwordx2 s[2:3], s[4:5], 0x18
	s_load_dwordx4 s[8:11], s[4:5], 0x8
	v_lshl_or_b32 v2, s6, 9, v0
	s_mov_b32 s7, 0
	global_load_ushort v1, v1, s[4:5] offset:33
	s_mov_b32 s4, 0
	v_or_b32_e32 v0, 0x180, v2
	s_waitcnt vmcnt(0)
	v_readfirstlane_b32 s1, v1
	s_and_b32 s0, 0xffff, s1
	s_lshr_b32 s5, s0, 8
	s_mov_b32 s0, exec_lo
	s_waitcnt lgkmcnt(0)
	v_cmpx_le_i32_e64 s12, v0
	s_xor_b32 s6, exec_lo, s0
	s_cbranch_execz .LBB30_1031
; %bb.1:
	s_mov_b32 s17, -1
	s_mov_b32 s15, 0
	s_mov_b32 s13, 0
	s_mov_b32 s14, exec_lo
	v_cmpx_gt_i32_e64 s12, v2
	s_cbranch_execz .LBB30_252
; %bb.2:
	v_mul_lo_u32 v0, v2, s3
	s_and_b32 s0, 0xffff, s5
	s_cmp_lt_i32 s0, 11
	v_ashrrev_i32_e32 v1, 31, v0
	v_add_co_u32 v0, vcc_lo, s10, v0
	v_add_co_ci_u32_e64 v1, null, s11, v1, vcc_lo
	s_cbranch_scc1 .LBB30_9
; %bb.3:
	s_cmp_gt_i32 s0, 25
	s_cbranch_scc0 .LBB30_18
; %bb.4:
	s_cmp_gt_i32 s0, 28
	s_cbranch_scc0 .LBB30_21
	;; [unrolled: 3-line block ×4, first 2 shown]
; %bb.7:
	s_cmp_eq_u32 s0, 46
	s_mov_b32 s16, 0
	s_cbranch_scc0 .LBB30_27
; %bb.8:
	global_load_dword v3, v[0:1], off
	s_mov_b32 s7, -1
	s_branch .LBB30_29
.LBB30_9:
                                        ; implicit-def: $vgpr3
	s_cbranch_execnz .LBB30_202
.LBB30_10:
	s_andn2_b32 vcc_lo, exec_lo, s7
	s_cbranch_vccnz .LBB30_249
.LBB30_11:
	s_waitcnt vmcnt(0)
	v_lshlrev_b32_e32 v0, 16, v3
	s_mov_b32 s0, 0x3b2d2a58
	s_and_b32 s7, s1, 0xff
	s_cmp_lt_i32 s7, 11
	v_rcp_f32_e64 v1, |v0|
	v_cmp_gt_f32_e64 vcc_lo, |v0|, 1.0
	v_cndmask_b32_e64 v1, |v0|, v1, vcc_lo
	v_mul_f32_e32 v3, v1, v1
	v_fmaak_f32 v4, s0, v3, 0xbc7a590c
	v_fmaak_f32 v4, v3, v4, 0x3d29fb3f
	;; [unrolled: 1-line block ×7, first 2 shown]
	v_mul_f32_e32 v3, v3, v4
	v_mov_b32_e32 v4, 0x7fc0
	v_fmac_f32_e32 v1, v1, v3
	v_sub_f32_e32 v3, 0x3fc90fdb, v1
	v_cndmask_b32_e32 v1, v1, v3, vcc_lo
	v_bfi_b32 v0, 0x7fffffff, v1, v0
	v_mul_lo_u32 v1, v2, s2
	v_bfe_u32 v3, v0, 16, 1
	v_cmp_o_f32_e32 vcc_lo, v0, v0
	v_ashrrev_i32_e32 v5, 31, v1
	v_add3_u32 v3, v0, v3, 0x7fff
	v_add_co_u32 v0, s0, s8, v1
	v_add_co_ci_u32_e64 v1, null, s9, v5, s0
	v_cndmask_b32_sdwa v3, v4, v3, vcc_lo dst_sel:DWORD dst_unused:UNUSED_PAD src0_sel:DWORD src1_sel:WORD_1
	s_cbranch_scc1 .LBB30_19
; %bb.12:
	s_and_b32 s16, 0xffff, s7
	s_cmp_gt_i32 s16, 25
	s_cbranch_scc0 .LBB30_22
; %bb.13:
	s_cmp_gt_i32 s16, 28
	s_cbranch_scc0 .LBB30_24
; %bb.14:
	;; [unrolled: 3-line block ×4, first 2 shown]
	s_mov_b32 s18, 0
	s_mov_b32 s0, -1
	s_cmp_eq_u32 s16, 46
	s_mov_b32 s17, 0
	s_cbranch_scc0 .LBB30_33
; %bb.17:
	v_and_b32_e32 v4, 0xffff, v3
	s_mov_b32 s17, -1
	s_mov_b32 s0, 0
	global_store_dword v[0:1], v4, off
	s_branch .LBB30_33
.LBB30_18:
                                        ; implicit-def: $vgpr3
	s_cbranch_execnz .LBB30_167
	s_branch .LBB30_201
.LBB30_19:
	s_mov_b32 s0, 0
	s_mov_b32 s17, 0
	s_cbranch_execnz .LBB30_102
.LBB30_20:
	s_andn2_b32 vcc_lo, exec_lo, s17
	s_cbranch_vccnz .LBB30_250
	s_branch .LBB30_140
.LBB30_21:
	s_mov_b32 s16, -1
                                        ; implicit-def: $vgpr3
	s_branch .LBB30_148
.LBB30_22:
	s_mov_b32 s18, -1
	s_mov_b32 s0, 0
	s_mov_b32 s17, 0
	s_branch .LBB30_60
.LBB30_23:
	s_mov_b32 s16, -1
                                        ; implicit-def: $vgpr3
	s_branch .LBB30_143
.LBB30_24:
	s_mov_b32 s18, -1
	s_mov_b32 s0, 0
	s_mov_b32 s17, 0
	s_branch .LBB30_43
.LBB30_25:
	s_mov_b32 s16, -1
	s_branch .LBB30_28
.LBB30_26:
	s_mov_b32 s18, -1
	s_mov_b32 s0, 0
	s_mov_b32 s17, 0
	s_branch .LBB30_39
.LBB30_27:
	s_mov_b32 s13, -1
.LBB30_28:
                                        ; implicit-def: $vgpr3
.LBB30_29:
	s_and_b32 vcc_lo, exec_lo, s16
	s_cbranch_vccz .LBB30_142
; %bb.30:
	s_cmp_eq_u32 s0, 44
	s_cbranch_scc0 .LBB30_141
; %bb.31:
	global_load_ubyte v3, v[0:1], off
	s_mov_b32 s13, 0
	s_mov_b32 s7, -1
	s_waitcnt vmcnt(0)
	v_lshlrev_b32_e32 v4, 23, v3
	v_cmp_ne_u32_e32 vcc_lo, 0xff, v3
	v_cndmask_b32_e32 v4, 0x7f800001, v4, vcc_lo
	v_cmp_ne_u32_e32 vcc_lo, 0, v3
	v_cndmask_b32_e32 v3, 0x400000, v4, vcc_lo
	v_mov_b32_e32 v4, 0x7fc0
	v_cmp_o_f32_e32 vcc_lo, v3, v3
	v_add_nc_u32_e32 v3, 0x7fff, v3
	v_cndmask_b32_sdwa v3, v4, v3, vcc_lo dst_sel:DWORD dst_unused:UNUSED_PAD src0_sel:DWORD src1_sel:WORD_1
	s_branch .LBB30_142
.LBB30_32:
	s_mov_b32 s18, -1
	s_mov_b32 s0, 0
	s_mov_b32 s17, 0
.LBB30_33:
	s_and_b32 vcc_lo, exec_lo, s18
	s_cbranch_vccz .LBB30_38
; %bb.34:
	s_cmp_eq_u32 s16, 44
	s_mov_b32 s0, -1
	s_cbranch_scc0 .LBB30_38
; %bb.35:
	v_and_b32_e32 v4, 0xffff, v3
	v_mov_b32_e32 v5, 0xff
	s_mov_b32 s17, exec_lo
	v_bfe_u32 v6, v4, 7, 8
	v_cmpx_ne_u32_e32 0xff, v6
	s_cbranch_execz .LBB30_37
; %bb.36:
	v_lshlrev_b32_e32 v5, 16, v4
	v_and_b32_e32 v7, 64, v4
	v_lshrrev_b32_e32 v4, 7, v4
	v_and_or_b32 v5, 0x3f0000, v5, v6
	v_cmp_ne_u32_e32 vcc_lo, 0, v7
	v_cmp_ne_u32_e64 s0, 0, v5
	s_and_b32 s0, vcc_lo, s0
	v_cndmask_b32_e64 v5, 0, 1, s0
	v_add_nc_u32_e32 v5, v4, v5
.LBB30_37:
	s_or_b32 exec_lo, exec_lo, s17
	s_mov_b32 s17, -1
	s_mov_b32 s0, 0
	global_store_byte v[0:1], v5, off
.LBB30_38:
	s_mov_b32 s18, 0
.LBB30_39:
	s_and_b32 vcc_lo, exec_lo, s18
	s_cbranch_vccz .LBB30_42
; %bb.40:
	s_cmp_eq_u32 s16, 29
	s_mov_b32 s0, -1
	s_cbranch_scc0 .LBB30_42
; %bb.41:
	v_lshlrev_b32_e32 v4, 16, v3
	s_mov_b32 s17, -1
	s_mov_b32 s0, 0
	s_mov_b32 s18, 0
	v_trunc_f32_e32 v4, v4
	v_mul_f32_e32 v5, 0x2f800000, v4
	v_floor_f32_e32 v5, v5
	v_fmamk_f32 v4, v5, 0xcf800000, v4
	v_cvt_u32_f32_e32 v5, v5
	v_cvt_u32_f32_e32 v4, v4
	global_store_dwordx2 v[0:1], v[4:5], off
	s_branch .LBB30_43
.LBB30_42:
	s_mov_b32 s18, 0
.LBB30_43:
	s_and_b32 vcc_lo, exec_lo, s18
	s_cbranch_vccz .LBB30_59
; %bb.44:
	s_cmp_lt_i32 s16, 27
	s_mov_b32 s17, -1
	s_cbranch_scc1 .LBB30_50
; %bb.45:
	s_cmp_gt_i32 s16, 27
	s_cbranch_scc0 .LBB30_47
; %bb.46:
	v_lshlrev_b32_e32 v4, 16, v3
	s_mov_b32 s17, 0
	v_cvt_u32_f32_e32 v4, v4
	global_store_dword v[0:1], v4, off
.LBB30_47:
	s_andn2_b32 vcc_lo, exec_lo, s17
	s_cbranch_vccnz .LBB30_49
; %bb.48:
	v_lshlrev_b32_e32 v4, 16, v3
	v_cvt_u32_f32_e32 v4, v4
	global_store_short v[0:1], v4, off
.LBB30_49:
	s_mov_b32 s17, 0
.LBB30_50:
	s_andn2_b32 vcc_lo, exec_lo, s17
	s_cbranch_vccnz .LBB30_58
; %bb.51:
	v_lshlrev_b32_e32 v6, 16, v3
	v_mov_b32_e32 v7, 0x80
	s_mov_b32 s17, exec_lo
	v_and_b32_e32 v5, 0x7fffffff, v6
	v_cmpx_gt_u32_e32 0x43800000, v5
	s_cbranch_execz .LBB30_57
; %bb.52:
	v_and_b32_e32 v4, 0xffff, v3
	v_cmp_lt_u32_e32 vcc_lo, 0x3bffffff, v5
	s_mov_b32 s18, 0
                                        ; implicit-def: $vgpr5
	s_and_saveexec_b32 s19, vcc_lo
	s_xor_b32 s19, exec_lo, s19
	s_cbranch_execz .LBB30_279
; %bb.53:
	v_bfe_u32 v5, v4, 4, 1
	s_mov_b32 s18, exec_lo
	v_add3_u32 v5, v6, v5, 0x487ffff
                                        ; implicit-def: $vgpr6
	v_lshrrev_b32_e32 v5, 20, v5
	s_andn2_saveexec_b32 s19, s19
	s_cbranch_execnz .LBB30_280
.LBB30_54:
	s_or_b32 exec_lo, exec_lo, s19
	v_mov_b32_e32 v7, 0
	s_and_saveexec_b32 s19, s18
.LBB30_55:
	v_lshrrev_b32_e32 v4, 8, v4
	v_and_or_b32 v7, 0x80, v4, v5
.LBB30_56:
	s_or_b32 exec_lo, exec_lo, s19
.LBB30_57:
	s_or_b32 exec_lo, exec_lo, s17
	global_store_byte v[0:1], v7, off
.LBB30_58:
	s_mov_b32 s17, -1
.LBB30_59:
	s_mov_b32 s18, 0
.LBB30_60:
	s_and_b32 vcc_lo, exec_lo, s18
	s_cbranch_vccz .LBB30_101
; %bb.61:
	s_cmp_gt_i32 s16, 22
	s_mov_b32 s18, -1
	s_cbranch_scc0 .LBB30_93
; %bb.62:
	s_cmp_lt_i32 s16, 24
	s_mov_b32 s17, -1
	s_cbranch_scc1 .LBB30_82
; %bb.63:
	s_cmp_gt_i32 s16, 24
	s_cbranch_scc0 .LBB30_71
; %bb.64:
	v_lshlrev_b32_e32 v6, 16, v3
	v_mov_b32_e32 v7, 0x80
	s_mov_b32 s17, exec_lo
	v_and_b32_e32 v5, 0x7fffffff, v6
	v_cmpx_gt_u32_e32 0x47800000, v5
	s_cbranch_execz .LBB30_70
; %bb.65:
	v_and_b32_e32 v4, 0xffff, v3
	v_cmp_lt_u32_e32 vcc_lo, 0x37ffffff, v5
	s_mov_b32 s18, 0
                                        ; implicit-def: $vgpr5
	s_and_saveexec_b32 s19, vcc_lo
	s_xor_b32 s19, exec_lo, s19
	s_cbranch_execz .LBB30_283
; %bb.66:
	v_bfe_u32 v5, v4, 5, 1
	s_mov_b32 s18, exec_lo
	v_add3_u32 v5, v6, v5, 0x88fffff
                                        ; implicit-def: $vgpr6
	v_lshrrev_b32_e32 v5, 21, v5
	s_andn2_saveexec_b32 s19, s19
	s_cbranch_execnz .LBB30_284
.LBB30_67:
	s_or_b32 exec_lo, exec_lo, s19
	v_mov_b32_e32 v7, 0
	s_and_saveexec_b32 s19, s18
.LBB30_68:
	v_lshrrev_b32_e32 v4, 8, v4
	v_and_or_b32 v7, 0x80, v4, v5
.LBB30_69:
	s_or_b32 exec_lo, exec_lo, s19
.LBB30_70:
	s_or_b32 exec_lo, exec_lo, s17
	s_mov_b32 s17, 0
	global_store_byte v[0:1], v7, off
.LBB30_71:
	s_and_b32 vcc_lo, exec_lo, s17
	s_cbranch_vccz .LBB30_81
; %bb.72:
	v_lshlrev_b32_e32 v6, 16, v3
	v_and_b32_e32 v4, 0xffff, v3
	s_mov_b32 s17, exec_lo
                                        ; implicit-def: $vgpr5
	v_and_b32_e32 v7, 0x7fffffff, v6
	v_cmpx_gt_u32_e32 0x43f00000, v7
	s_xor_b32 s17, exec_lo, s17
	s_cbranch_execz .LBB30_78
; %bb.73:
	s_mov_b32 s18, exec_lo
                                        ; implicit-def: $vgpr5
	v_cmpx_lt_u32_e32 0x3c7fffff, v7
	s_xor_b32 s18, exec_lo, s18
; %bb.74:
	v_bfe_u32 v5, v4, 4, 1
	v_add3_u32 v5, v6, v5, 0x407ffff
	v_and_b32_e32 v6, 0xff00000, v5
	v_lshrrev_b32_e32 v5, 20, v5
	v_cmp_ne_u32_e32 vcc_lo, 0x7f00000, v6
                                        ; implicit-def: $vgpr6
	v_cndmask_b32_e32 v5, 0x7e, v5, vcc_lo
; %bb.75:
	s_andn2_saveexec_b32 s18, s18
; %bb.76:
	v_add_f32_e64 v5, 0x46800000, |v6|
; %bb.77:
	s_or_b32 exec_lo, exec_lo, s18
                                        ; implicit-def: $vgpr7
.LBB30_78:
	s_andn2_saveexec_b32 s17, s17
; %bb.79:
	v_mov_b32_e32 v5, 0x7f
	v_cmp_lt_u32_e32 vcc_lo, 0x7f800000, v7
	v_cndmask_b32_e32 v5, 0x7e, v5, vcc_lo
; %bb.80:
	s_or_b32 exec_lo, exec_lo, s17
	v_lshrrev_b32_e32 v4, 8, v4
	v_and_or_b32 v4, 0x80, v4, v5
	global_store_byte v[0:1], v4, off
.LBB30_81:
	s_mov_b32 s17, 0
.LBB30_82:
	s_andn2_b32 vcc_lo, exec_lo, s17
	s_cbranch_vccnz .LBB30_92
; %bb.83:
	v_lshlrev_b32_e32 v6, 16, v3
	v_and_b32_e32 v4, 0xffff, v3
	s_mov_b32 s17, exec_lo
                                        ; implicit-def: $vgpr5
	v_and_b32_e32 v7, 0x7fffffff, v6
	v_cmpx_gt_u32_e32 0x47800000, v7
	s_xor_b32 s17, exec_lo, s17
	s_cbranch_execz .LBB30_89
; %bb.84:
	s_mov_b32 s18, exec_lo
                                        ; implicit-def: $vgpr5
	v_cmpx_lt_u32_e32 0x387fffff, v7
	s_xor_b32 s18, exec_lo, s18
; %bb.85:
	v_bfe_u32 v5, v4, 5, 1
	v_add3_u32 v5, v6, v5, 0x80fffff
                                        ; implicit-def: $vgpr6
	v_lshrrev_b32_e32 v5, 21, v5
; %bb.86:
	s_andn2_saveexec_b32 s18, s18
; %bb.87:
	v_add_f32_e64 v5, 0x43000000, |v6|
; %bb.88:
	s_or_b32 exec_lo, exec_lo, s18
                                        ; implicit-def: $vgpr7
.LBB30_89:
	s_andn2_saveexec_b32 s17, s17
; %bb.90:
	v_mov_b32_e32 v5, 0x7f
	v_cmp_lt_u32_e32 vcc_lo, 0x7f800000, v7
	v_cndmask_b32_e32 v5, 0x7c, v5, vcc_lo
; %bb.91:
	s_or_b32 exec_lo, exec_lo, s17
	v_lshrrev_b32_e32 v4, 8, v4
	v_and_or_b32 v4, 0x80, v4, v5
	global_store_byte v[0:1], v4, off
.LBB30_92:
	s_mov_b32 s18, 0
	s_mov_b32 s17, -1
.LBB30_93:
	s_andn2_b32 vcc_lo, exec_lo, s18
	s_cbranch_vccnz .LBB30_101
; %bb.94:
	s_cmp_gt_i32 s16, 14
	s_mov_b32 s18, -1
	s_cbranch_scc0 .LBB30_98
; %bb.95:
	s_cmp_eq_u32 s16, 15
	s_mov_b32 s0, -1
	s_cbranch_scc0 .LBB30_97
; %bb.96:
	s_mov_b32 s17, -1
	s_mov_b32 s0, 0
	global_store_short v[0:1], v3, off
.LBB30_97:
	s_mov_b32 s18, 0
.LBB30_98:
	s_and_b32 vcc_lo, exec_lo, s18
	s_cbranch_vccz .LBB30_101
; %bb.99:
	s_cmp_eq_u32 s16, 11
	s_mov_b32 s0, -1
	s_cbranch_scc0 .LBB30_101
; %bb.100:
	v_and_b32_e32 v4, 0x7fff, v3
	s_mov_b32 s0, 0
	s_mov_b32 s17, -1
	v_cmp_ne_u16_e32 vcc_lo, 0, v4
	v_cndmask_b32_e64 v4, 0, 1, vcc_lo
	global_store_byte v[0:1], v4, off
.LBB30_101:
	s_branch .LBB30_20
.LBB30_102:
	s_and_b32 s7, 0xffff, s7
	s_mov_b32 s16, -1
	s_cmp_lt_i32 s7, 5
	s_cbranch_scc1 .LBB30_123
; %bb.103:
	s_cmp_lt_i32 s7, 8
	s_cbranch_scc1 .LBB30_113
; %bb.104:
	;; [unrolled: 3-line block ×3, first 2 shown]
	s_cmp_gt_i32 s7, 9
	s_cbranch_scc0 .LBB30_107
; %bb.106:
	v_lshlrev_b32_e32 v4, 16, v3
	v_mov_b32_e32 v6, 0
	s_mov_b32 s16, 0
	v_cvt_f64_f32_e32 v[4:5], v4
	v_mov_b32_e32 v7, v6
	global_store_dwordx4 v[0:1], v[4:7], off
.LBB30_107:
	s_andn2_b32 vcc_lo, exec_lo, s16
	s_cbranch_vccnz .LBB30_109
; %bb.108:
	v_lshlrev_b32_e32 v4, 16, v3
	v_mov_b32_e32 v5, 0
	global_store_dwordx2 v[0:1], v[4:5], off
.LBB30_109:
	s_mov_b32 s16, 0
.LBB30_110:
	s_andn2_b32 vcc_lo, exec_lo, s16
	s_cbranch_vccnz .LBB30_112
; %bb.111:
	v_lshlrev_b32_e32 v4, 16, v3
	v_cvt_f16_f32_e32 v4, v4
	v_and_b32_e32 v4, 0xffff, v4
	global_store_dword v[0:1], v4, off
.LBB30_112:
	s_mov_b32 s16, 0
.LBB30_113:
	s_andn2_b32 vcc_lo, exec_lo, s16
	s_cbranch_vccnz .LBB30_122
; %bb.114:
	s_cmp_lt_i32 s7, 6
	s_mov_b32 s16, -1
	s_cbranch_scc1 .LBB30_120
; %bb.115:
	s_cmp_gt_i32 s7, 6
	s_cbranch_scc0 .LBB30_117
; %bb.116:
	v_lshlrev_b32_e32 v4, 16, v3
	s_mov_b32 s16, 0
	v_cvt_f64_f32_e32 v[4:5], v4
	global_store_dwordx2 v[0:1], v[4:5], off
.LBB30_117:
	s_andn2_b32 vcc_lo, exec_lo, s16
	s_cbranch_vccnz .LBB30_119
; %bb.118:
	v_lshlrev_b32_e32 v4, 16, v3
	global_store_dword v[0:1], v4, off
.LBB30_119:
	s_mov_b32 s16, 0
.LBB30_120:
	s_andn2_b32 vcc_lo, exec_lo, s16
	s_cbranch_vccnz .LBB30_122
; %bb.121:
	v_lshlrev_b32_e32 v4, 16, v3
	v_cvt_f16_f32_e32 v4, v4
	global_store_short v[0:1], v4, off
.LBB30_122:
	s_mov_b32 s16, 0
.LBB30_123:
	s_andn2_b32 vcc_lo, exec_lo, s16
	s_cbranch_vccnz .LBB30_139
; %bb.124:
	s_cmp_lt_i32 s7, 2
	s_mov_b32 s16, -1
	s_cbranch_scc1 .LBB30_134
; %bb.125:
	s_cmp_lt_i32 s7, 3
	s_cbranch_scc1 .LBB30_131
; %bb.126:
	s_cmp_gt_i32 s7, 3
	s_cbranch_scc0 .LBB30_128
; %bb.127:
	v_lshlrev_b32_e32 v4, 16, v3
	s_mov_b32 s16, 0
	v_trunc_f32_e32 v4, v4
	v_mul_f32_e64 v5, 0x2f800000, |v4|
	v_ashrrev_i32_e32 v7, 31, v4
	v_floor_f32_e32 v5, v5
	v_fma_f32 v6, 0xcf800000, v5, |v4|
	v_cvt_u32_f32_e32 v5, v5
	v_cvt_u32_f32_e32 v4, v6
	v_xor_b32_e32 v5, v5, v7
	v_xor_b32_e32 v4, v4, v7
	v_sub_co_u32 v4, vcc_lo, v4, v7
	v_sub_co_ci_u32_e64 v5, null, v5, v7, vcc_lo
	global_store_dwordx2 v[0:1], v[4:5], off
.LBB30_128:
	s_andn2_b32 vcc_lo, exec_lo, s16
	s_cbranch_vccnz .LBB30_130
; %bb.129:
	v_lshlrev_b32_e32 v4, 16, v3
	v_cvt_i32_f32_e32 v4, v4
	global_store_dword v[0:1], v4, off
.LBB30_130:
	s_mov_b32 s16, 0
.LBB30_131:
	s_andn2_b32 vcc_lo, exec_lo, s16
	s_cbranch_vccnz .LBB30_133
; %bb.132:
	v_lshlrev_b32_e32 v4, 16, v3
	v_cvt_i32_f32_e32 v4, v4
	global_store_short v[0:1], v4, off
.LBB30_133:
	s_mov_b32 s16, 0
.LBB30_134:
	s_andn2_b32 vcc_lo, exec_lo, s16
	s_cbranch_vccnz .LBB30_139
; %bb.135:
	v_lshlrev_b32_e32 v3, 16, v3
	s_cmp_gt_i32 s7, 0
	s_mov_b32 s7, -1
	s_cbranch_scc0 .LBB30_137
; %bb.136:
	v_cvt_i32_f32_e32 v4, v3
	s_mov_b32 s7, 0
	global_store_byte v[0:1], v4, off
.LBB30_137:
	s_andn2_b32 vcc_lo, exec_lo, s7
	s_cbranch_vccnz .LBB30_139
; %bb.138:
	v_trunc_f32_e32 v3, v3
	v_mul_f32_e64 v4, 0x2f800000, |v3|
	v_floor_f32_e32 v4, v4
	v_fma_f32 v4, 0xcf800000, v4, |v3|
	v_ashrrev_i32_e32 v3, 31, v3
	v_cvt_u32_f32_e32 v4, v4
	v_xor_b32_e32 v4, v4, v3
	v_sub_nc_u32_e32 v3, v4, v3
	global_store_byte v[0:1], v3, off
.LBB30_139:
.LBB30_140:
	v_add_nc_u32_e32 v2, 0x80, v2
	s_mov_b32 s16, -1
	s_branch .LBB30_251
.LBB30_141:
	s_mov_b32 s13, -1
                                        ; implicit-def: $vgpr3
.LBB30_142:
	s_mov_b32 s16, 0
.LBB30_143:
	s_and_b32 vcc_lo, exec_lo, s16
	s_cbranch_vccz .LBB30_147
; %bb.144:
	s_cmp_eq_u32 s0, 29
	s_cbranch_scc0 .LBB30_146
; %bb.145:
	global_load_dwordx2 v[3:4], v[0:1], off
	s_mov_b32 s7, -1
	s_mov_b32 s13, 0
	s_mov_b32 s16, 0
	s_waitcnt vmcnt(0)
	v_ffbh_u32_e32 v5, v4
	v_min_u32_e32 v5, 32, v5
	v_lshlrev_b64 v[3:4], v5, v[3:4]
	v_min_u32_e32 v3, 1, v3
	v_or_b32_e32 v3, v4, v3
	v_sub_nc_u32_e32 v4, 32, v5
	v_cvt_f32_u32_e32 v3, v3
	v_ldexp_f32 v3, v3, v4
	v_bfe_u32 v4, v3, 16, 1
	v_add3_u32 v3, v3, v4, 0x7fff
	v_lshrrev_b32_e32 v3, 16, v3
	s_branch .LBB30_148
.LBB30_146:
	s_mov_b32 s13, -1
                                        ; implicit-def: $vgpr3
.LBB30_147:
	s_mov_b32 s16, 0
.LBB30_148:
	s_and_b32 vcc_lo, exec_lo, s16
	s_cbranch_vccz .LBB30_166
; %bb.149:
	s_cmp_lt_i32 s0, 27
	s_cbranch_scc1 .LBB30_152
; %bb.150:
	s_cmp_gt_i32 s0, 27
	s_cbranch_scc0 .LBB30_153
; %bb.151:
	global_load_dword v3, v[0:1], off
	s_mov_b32 s7, 0
	s_waitcnt vmcnt(0)
	v_cvt_f32_u32_e32 v3, v3
	v_bfe_u32 v4, v3, 16, 1
	v_add3_u32 v3, v3, v4, 0x7fff
	v_lshrrev_b32_e32 v3, 16, v3
	s_branch .LBB30_154
.LBB30_152:
	s_mov_b32 s7, -1
                                        ; implicit-def: $vgpr3
	s_branch .LBB30_157
.LBB30_153:
	s_mov_b32 s7, -1
                                        ; implicit-def: $vgpr3
.LBB30_154:
	s_andn2_b32 vcc_lo, exec_lo, s7
	s_cbranch_vccnz .LBB30_156
; %bb.155:
	global_load_ushort v3, v[0:1], off
	s_waitcnt vmcnt(0)
	v_cvt_f32_u32_e32 v3, v3
	v_bfe_u32 v4, v3, 16, 1
	v_add3_u32 v3, v3, v4, 0x7fff
	v_lshrrev_b32_e32 v3, 16, v3
.LBB30_156:
	s_mov_b32 s7, 0
.LBB30_157:
	s_andn2_b32 vcc_lo, exec_lo, s7
	s_cbranch_vccnz .LBB30_165
; %bb.158:
	global_load_ubyte v3, v[0:1], off
	s_mov_b32 s7, 0
	s_mov_b32 s16, exec_lo
	s_waitcnt vmcnt(0)
	v_cmpx_lt_i16_e32 0x7f, v3
	s_xor_b32 s16, exec_lo, s16
	s_cbranch_execz .LBB30_178
; %bb.159:
	s_mov_b32 s7, -1
	s_mov_b32 s17, exec_lo
	v_cmpx_eq_u16_e32 0x80, v3
; %bb.160:
	s_xor_b32 s7, exec_lo, -1
; %bb.161:
	s_or_b32 exec_lo, exec_lo, s17
	s_and_b32 s7, s7, exec_lo
	s_or_saveexec_b32 s16, s16
	v_mov_b32_e32 v4, 0x7f800001
	s_xor_b32 exec_lo, exec_lo, s16
	s_cbranch_execnz .LBB30_179
.LBB30_162:
	s_or_b32 exec_lo, exec_lo, s16
	s_and_saveexec_b32 s16, s7
	s_cbranch_execz .LBB30_164
.LBB30_163:
	v_and_b32_e32 v4, 0xffff, v3
	v_lshlrev_b32_e32 v3, 24, v3
	v_and_b32_e32 v5, 7, v4
	v_bfe_u32 v8, v4, 3, 4
	v_and_b32_e32 v3, 0x80000000, v3
	v_ffbh_u32_e32 v6, v5
	v_cmp_eq_u32_e32 vcc_lo, 0, v8
	v_min_u32_e32 v6, 32, v6
	v_subrev_nc_u32_e32 v7, 28, v6
	v_sub_nc_u32_e32 v6, 29, v6
	v_lshlrev_b32_e32 v4, v7, v4
	v_cndmask_b32_e32 v6, v8, v6, vcc_lo
	v_and_b32_e32 v4, 7, v4
	v_cndmask_b32_e32 v4, v5, v4, vcc_lo
	v_lshl_add_u32 v5, v6, 23, 0x3b800000
	v_lshlrev_b32_e32 v4, 20, v4
	v_or3_b32 v4, v3, v5, v4
.LBB30_164:
	s_or_b32 exec_lo, exec_lo, s16
	v_bfe_u32 v3, v4, 16, 1
	v_cmp_o_f32_e32 vcc_lo, v4, v4
	v_add3_u32 v3, v4, v3, 0x7fff
	v_mov_b32_e32 v4, 0x7fc0
	v_cndmask_b32_sdwa v3, v4, v3, vcc_lo dst_sel:DWORD dst_unused:UNUSED_PAD src0_sel:DWORD src1_sel:WORD_1
.LBB30_165:
	s_mov_b32 s7, -1
.LBB30_166:
	s_branch .LBB30_201
.LBB30_167:
	s_cmp_gt_i32 s0, 22
	s_cbranch_scc0 .LBB30_177
; %bb.168:
	s_cmp_lt_i32 s0, 24
	s_cbranch_scc1 .LBB30_180
; %bb.169:
	s_cmp_gt_i32 s0, 24
	s_cbranch_scc0 .LBB30_181
; %bb.170:
	global_load_ubyte v3, v[0:1], off
	s_mov_b32 s7, 0
	s_mov_b32 s16, exec_lo
	s_waitcnt vmcnt(0)
	v_cmpx_lt_i16_e32 0x7f, v3
	s_xor_b32 s16, exec_lo, s16
	s_cbranch_execz .LBB30_193
; %bb.171:
	s_mov_b32 s7, -1
	s_mov_b32 s17, exec_lo
	v_cmpx_eq_u16_e32 0x80, v3
; %bb.172:
	s_xor_b32 s7, exec_lo, -1
; %bb.173:
	s_or_b32 exec_lo, exec_lo, s17
	s_and_b32 s7, s7, exec_lo
	s_or_saveexec_b32 s16, s16
	v_mov_b32_e32 v4, 0x7f800001
	s_xor_b32 exec_lo, exec_lo, s16
	s_cbranch_execnz .LBB30_194
.LBB30_174:
	s_or_b32 exec_lo, exec_lo, s16
	s_and_saveexec_b32 s16, s7
	s_cbranch_execz .LBB30_176
.LBB30_175:
	v_and_b32_e32 v4, 0xffff, v3
	v_lshlrev_b32_e32 v3, 24, v3
	v_and_b32_e32 v5, 3, v4
	v_bfe_u32 v8, v4, 2, 5
	v_and_b32_e32 v3, 0x80000000, v3
	v_ffbh_u32_e32 v6, v5
	v_cmp_eq_u32_e32 vcc_lo, 0, v8
	v_min_u32_e32 v6, 32, v6
	v_subrev_nc_u32_e32 v7, 29, v6
	v_sub_nc_u32_e32 v6, 30, v6
	v_lshlrev_b32_e32 v4, v7, v4
	v_cndmask_b32_e32 v6, v8, v6, vcc_lo
	v_and_b32_e32 v4, 3, v4
	v_cndmask_b32_e32 v4, v5, v4, vcc_lo
	v_lshl_add_u32 v5, v6, 23, 0x37800000
	v_lshlrev_b32_e32 v4, 21, v4
	v_or3_b32 v4, v3, v5, v4
.LBB30_176:
	s_or_b32 exec_lo, exec_lo, s16
	v_bfe_u32 v3, v4, 16, 1
	v_cmp_o_f32_e32 vcc_lo, v4, v4
	s_mov_b32 s7, 0
	v_add3_u32 v3, v4, v3, 0x7fff
	v_mov_b32_e32 v4, 0x7fc0
	v_cndmask_b32_sdwa v3, v4, v3, vcc_lo dst_sel:DWORD dst_unused:UNUSED_PAD src0_sel:DWORD src1_sel:WORD_1
	s_branch .LBB30_182
.LBB30_177:
	s_mov_b32 s16, -1
                                        ; implicit-def: $vgpr3
	s_branch .LBB30_188
.LBB30_178:
	s_or_saveexec_b32 s16, s16
	v_mov_b32_e32 v4, 0x7f800001
	s_xor_b32 exec_lo, exec_lo, s16
	s_cbranch_execz .LBB30_162
.LBB30_179:
	v_cmp_ne_u16_e32 vcc_lo, 0, v3
	v_mov_b32_e32 v4, 0
	s_andn2_b32 s7, s7, exec_lo
	s_and_b32 s17, vcc_lo, exec_lo
	s_or_b32 s7, s7, s17
	s_or_b32 exec_lo, exec_lo, s16
	s_and_saveexec_b32 s16, s7
	s_cbranch_execnz .LBB30_163
	s_branch .LBB30_164
.LBB30_180:
	s_mov_b32 s7, -1
                                        ; implicit-def: $vgpr3
	s_branch .LBB30_185
.LBB30_181:
	s_mov_b32 s7, -1
                                        ; implicit-def: $vgpr3
.LBB30_182:
	s_and_b32 vcc_lo, exec_lo, s7
	s_cbranch_vccz .LBB30_184
; %bb.183:
	global_load_ubyte v3, v[0:1], off
	s_waitcnt vmcnt(0)
	v_lshlrev_b32_e32 v3, 24, v3
	v_and_b32_e32 v4, 0x7f000000, v3
	v_ffbh_u32_e32 v5, v4
	v_add_nc_u32_e32 v7, 0x1000000, v4
	v_cmp_ne_u32_e32 vcc_lo, 0, v4
	v_min_u32_e32 v5, 32, v5
	v_sub_nc_u32_e64 v5, v5, 4 clamp
	v_lshlrev_b32_e32 v6, v5, v4
	v_lshlrev_b32_e32 v5, 23, v5
	v_lshrrev_b32_e32 v6, 4, v6
	v_sub_nc_u32_e32 v5, v6, v5
	v_ashrrev_i32_e32 v6, 8, v7
	v_add_nc_u32_e32 v5, 0x3c000000, v5
	v_and_or_b32 v5, 0x7f800000, v6, v5
	v_cndmask_b32_e32 v4, 0, v5, vcc_lo
	v_and_or_b32 v3, 0x80000000, v3, v4
	v_bfe_u32 v4, v4, 16, 1
	v_cmp_o_f32_e32 vcc_lo, v3, v3
	v_add3_u32 v3, v3, v4, 0x7fff
	v_mov_b32_e32 v4, 0x7fc0
	v_cndmask_b32_sdwa v3, v4, v3, vcc_lo dst_sel:DWORD dst_unused:UNUSED_PAD src0_sel:DWORD src1_sel:WORD_1
.LBB30_184:
	s_mov_b32 s7, 0
.LBB30_185:
	s_andn2_b32 vcc_lo, exec_lo, s7
	s_cbranch_vccnz .LBB30_187
; %bb.186:
	global_load_ubyte v3, v[0:1], off
	s_waitcnt vmcnt(0)
	v_lshlrev_b32_e32 v4, 25, v3
	v_lshlrev_b16 v3, 8, v3
	v_lshrrev_b32_e32 v5, 4, v4
	v_and_or_b32 v6, 0x7f00, v3, 0.5
	v_cmp_gt_u32_e32 vcc_lo, 0x8000000, v4
	v_bfe_i32 v3, v3, 0, 16
	v_or_b32_e32 v5, 0x70000000, v5
	v_add_f32_e32 v6, -0.5, v6
	v_mul_f32_e32 v5, 0x7800000, v5
	v_cndmask_b32_e32 v4, v5, v6, vcc_lo
	v_and_or_b32 v3, 0x80000000, v3, v4
	v_bfe_u32 v4, v4, 16, 1
	v_cmp_o_f32_e32 vcc_lo, v3, v3
	v_add3_u32 v3, v3, v4, 0x7fff
	v_mov_b32_e32 v4, 0x7fc0
	v_cndmask_b32_sdwa v3, v4, v3, vcc_lo dst_sel:DWORD dst_unused:UNUSED_PAD src0_sel:DWORD src1_sel:WORD_1
.LBB30_187:
	s_mov_b32 s16, 0
	s_mov_b32 s7, -1
.LBB30_188:
	s_andn2_b32 vcc_lo, exec_lo, s16
	s_cbranch_vccnz .LBB30_201
; %bb.189:
	s_cmp_gt_i32 s0, 14
	s_cbranch_scc0 .LBB30_192
; %bb.190:
	s_cmp_eq_u32 s0, 15
	s_cbranch_scc0 .LBB30_195
; %bb.191:
	global_load_ushort v3, v[0:1], off
	s_mov_b32 s7, -1
	s_mov_b32 s13, 0
	s_branch .LBB30_196
.LBB30_192:
	s_mov_b32 s16, -1
                                        ; implicit-def: $vgpr3
	s_branch .LBB30_197
.LBB30_193:
	s_or_saveexec_b32 s16, s16
	v_mov_b32_e32 v4, 0x7f800001
	s_xor_b32 exec_lo, exec_lo, s16
	s_cbranch_execz .LBB30_174
.LBB30_194:
	v_cmp_ne_u16_e32 vcc_lo, 0, v3
	v_mov_b32_e32 v4, 0
	s_andn2_b32 s7, s7, exec_lo
	s_and_b32 s17, vcc_lo, exec_lo
	s_or_b32 s7, s7, s17
	s_or_b32 exec_lo, exec_lo, s16
	s_and_saveexec_b32 s16, s7
	s_cbranch_execnz .LBB30_175
	s_branch .LBB30_176
.LBB30_195:
	s_mov_b32 s13, -1
                                        ; implicit-def: $vgpr3
.LBB30_196:
	s_mov_b32 s16, 0
.LBB30_197:
	s_and_b32 vcc_lo, exec_lo, s16
	s_cbranch_vccz .LBB30_201
; %bb.198:
	s_cmp_eq_u32 s0, 11
	s_cbranch_scc0 .LBB30_200
; %bb.199:
	global_load_ubyte v3, v[0:1], off
	s_mov_b32 s13, 0
	s_mov_b32 s7, -1
	s_waitcnt vmcnt(0)
	v_cmp_ne_u16_e32 vcc_lo, 0, v3
	v_cndmask_b32_e64 v3, 0, 1.0, vcc_lo
	v_lshrrev_b32_e32 v3, 16, v3
	s_branch .LBB30_201
.LBB30_200:
	s_mov_b32 s13, -1
                                        ; implicit-def: $vgpr3
.LBB30_201:
	s_branch .LBB30_10
.LBB30_202:
	s_cmp_lt_i32 s0, 5
	s_cbranch_scc1 .LBB30_207
; %bb.203:
	s_cmp_lt_i32 s0, 8
	s_cbranch_scc1 .LBB30_208
; %bb.204:
	;; [unrolled: 3-line block ×3, first 2 shown]
	s_cmp_gt_i32 s0, 9
	s_cbranch_scc0 .LBB30_210
; %bb.206:
	global_load_dwordx2 v[3:4], v[0:1], off
	s_mov_b32 s7, 0
	s_waitcnt vmcnt(0)
	v_cvt_f32_f64_e32 v3, v[3:4]
	v_bfe_u32 v4, v3, 16, 1
	v_cmp_o_f32_e32 vcc_lo, v3, v3
	v_add3_u32 v3, v3, v4, 0x7fff
	v_mov_b32_e32 v4, 0x7fc0
	v_cndmask_b32_sdwa v3, v4, v3, vcc_lo dst_sel:DWORD dst_unused:UNUSED_PAD src0_sel:DWORD src1_sel:WORD_1
	s_branch .LBB30_211
.LBB30_207:
                                        ; implicit-def: $vgpr3
	s_branch .LBB30_229
.LBB30_208:
	s_mov_b32 s7, -1
                                        ; implicit-def: $vgpr3
	s_branch .LBB30_217
.LBB30_209:
	s_mov_b32 s7, -1
                                        ; implicit-def: $vgpr3
	s_branch .LBB30_214
.LBB30_210:
	s_mov_b32 s7, -1
                                        ; implicit-def: $vgpr3
.LBB30_211:
	s_andn2_b32 vcc_lo, exec_lo, s7
	s_cbranch_vccnz .LBB30_213
; %bb.212:
	global_load_dword v3, v[0:1], off
	s_waitcnt vmcnt(0)
	v_bfe_u32 v4, v3, 16, 1
	v_cmp_o_f32_e32 vcc_lo, v3, v3
	v_add3_u32 v3, v3, v4, 0x7fff
	v_mov_b32_e32 v4, 0x7fc0
	v_cndmask_b32_sdwa v3, v4, v3, vcc_lo dst_sel:DWORD dst_unused:UNUSED_PAD src0_sel:DWORD src1_sel:WORD_1
.LBB30_213:
	s_mov_b32 s7, 0
.LBB30_214:
	s_andn2_b32 vcc_lo, exec_lo, s7
	s_cbranch_vccnz .LBB30_216
; %bb.215:
	global_load_dword v3, v[0:1], off
	s_waitcnt vmcnt(0)
	v_cvt_f32_f16_e32 v4, v3
	v_cmp_o_f16_e32 vcc_lo, v3, v3
	v_bfe_u32 v5, v4, 16, 1
	v_add3_u32 v3, v4, v5, 0x7fff
	v_mov_b32_e32 v4, 0x7fc0
	v_cndmask_b32_sdwa v3, v4, v3, vcc_lo dst_sel:DWORD dst_unused:UNUSED_PAD src0_sel:DWORD src1_sel:WORD_1
.LBB30_216:
	s_mov_b32 s7, 0
.LBB30_217:
	s_andn2_b32 vcc_lo, exec_lo, s7
	s_cbranch_vccnz .LBB30_228
; %bb.218:
	s_cmp_lt_i32 s0, 6
	s_cbranch_scc1 .LBB30_221
; %bb.219:
	s_cmp_gt_i32 s0, 6
	s_cbranch_scc0 .LBB30_222
; %bb.220:
	global_load_dwordx2 v[3:4], v[0:1], off
	s_mov_b32 s7, 0
	s_waitcnt vmcnt(0)
	v_cvt_f32_f64_e32 v3, v[3:4]
	v_bfe_u32 v4, v3, 16, 1
	v_cmp_o_f32_e32 vcc_lo, v3, v3
	v_add3_u32 v3, v3, v4, 0x7fff
	v_mov_b32_e32 v4, 0x7fc0
	v_cndmask_b32_sdwa v3, v4, v3, vcc_lo dst_sel:DWORD dst_unused:UNUSED_PAD src0_sel:DWORD src1_sel:WORD_1
	s_branch .LBB30_223
.LBB30_221:
	s_mov_b32 s7, -1
                                        ; implicit-def: $vgpr3
	s_branch .LBB30_226
.LBB30_222:
	s_mov_b32 s7, -1
                                        ; implicit-def: $vgpr3
.LBB30_223:
	s_andn2_b32 vcc_lo, exec_lo, s7
	s_cbranch_vccnz .LBB30_225
; %bb.224:
	global_load_dword v3, v[0:1], off
	s_waitcnt vmcnt(0)
	v_bfe_u32 v4, v3, 16, 1
	v_cmp_o_f32_e32 vcc_lo, v3, v3
	v_add3_u32 v3, v3, v4, 0x7fff
	v_mov_b32_e32 v4, 0x7fc0
	v_cndmask_b32_sdwa v3, v4, v3, vcc_lo dst_sel:DWORD dst_unused:UNUSED_PAD src0_sel:DWORD src1_sel:WORD_1
.LBB30_225:
	s_mov_b32 s7, 0
.LBB30_226:
	s_andn2_b32 vcc_lo, exec_lo, s7
	s_cbranch_vccnz .LBB30_228
; %bb.227:
	global_load_ushort v3, v[0:1], off
	s_waitcnt vmcnt(0)
	v_cvt_f32_f16_e32 v4, v3
	v_cmp_o_f16_e32 vcc_lo, v3, v3
	v_bfe_u32 v5, v4, 16, 1
	v_add3_u32 v3, v4, v5, 0x7fff
	v_mov_b32_e32 v4, 0x7fc0
	v_cndmask_b32_sdwa v3, v4, v3, vcc_lo dst_sel:DWORD dst_unused:UNUSED_PAD src0_sel:DWORD src1_sel:WORD_1
.LBB30_228:
	s_cbranch_execnz .LBB30_248
.LBB30_229:
	s_cmp_lt_i32 s0, 2
	s_cbranch_scc1 .LBB30_233
; %bb.230:
	s_cmp_lt_i32 s0, 3
	s_cbranch_scc1 .LBB30_234
; %bb.231:
	s_cmp_gt_i32 s0, 3
	s_cbranch_scc0 .LBB30_235
; %bb.232:
	global_load_dwordx2 v[3:4], v[0:1], off
	s_mov_b32 s7, 0
	s_waitcnt vmcnt(0)
	v_xor_b32_e32 v5, v3, v4
	v_ffbh_i32_e32 v6, v4
	v_ashrrev_i32_e32 v5, 31, v5
	v_add_nc_u32_e32 v6, -1, v6
	v_add_nc_u32_e32 v5, 32, v5
	v_min_u32_e32 v5, v6, v5
	v_lshlrev_b64 v[3:4], v5, v[3:4]
	v_min_u32_e32 v3, 1, v3
	v_or_b32_e32 v3, v4, v3
	v_sub_nc_u32_e32 v4, 32, v5
	v_cvt_f32_i32_e32 v3, v3
	v_ldexp_f32 v3, v3, v4
	v_bfe_u32 v4, v3, 16, 1
	v_add3_u32 v3, v3, v4, 0x7fff
	v_lshrrev_b32_e32 v3, 16, v3
	s_branch .LBB30_236
.LBB30_233:
	s_mov_b32 s7, -1
                                        ; implicit-def: $vgpr3
	s_branch .LBB30_242
.LBB30_234:
	s_mov_b32 s7, -1
                                        ; implicit-def: $vgpr3
	s_branch .LBB30_239
.LBB30_235:
	s_mov_b32 s7, -1
                                        ; implicit-def: $vgpr3
.LBB30_236:
	s_andn2_b32 vcc_lo, exec_lo, s7
	s_cbranch_vccnz .LBB30_238
; %bb.237:
	global_load_dword v3, v[0:1], off
	s_waitcnt vmcnt(0)
	v_cvt_f32_i32_e32 v3, v3
	v_bfe_u32 v4, v3, 16, 1
	v_add3_u32 v3, v3, v4, 0x7fff
	v_lshrrev_b32_e32 v3, 16, v3
.LBB30_238:
	s_mov_b32 s7, 0
.LBB30_239:
	s_andn2_b32 vcc_lo, exec_lo, s7
	s_cbranch_vccnz .LBB30_241
; %bb.240:
	global_load_sshort v3, v[0:1], off
	s_waitcnt vmcnt(0)
	v_cvt_f32_i32_e32 v3, v3
	v_bfe_u32 v4, v3, 16, 1
	v_add3_u32 v3, v3, v4, 0x7fff
	v_lshrrev_b32_e32 v3, 16, v3
.LBB30_241:
	s_mov_b32 s7, 0
.LBB30_242:
	s_andn2_b32 vcc_lo, exec_lo, s7
	s_cbranch_vccnz .LBB30_248
; %bb.243:
	s_cmp_gt_i32 s0, 0
	s_mov_b32 s0, 0
	s_cbranch_scc0 .LBB30_245
; %bb.244:
	global_load_sbyte v3, v[0:1], off
	s_waitcnt vmcnt(0)
	v_cvt_f32_i32_e32 v3, v3
	v_bfe_u32 v4, v3, 16, 1
	v_add3_u32 v3, v3, v4, 0x7fff
	v_lshrrev_b32_e32 v3, 16, v3
	s_branch .LBB30_246
.LBB30_245:
	s_mov_b32 s0, -1
                                        ; implicit-def: $vgpr3
.LBB30_246:
	s_andn2_b32 vcc_lo, exec_lo, s0
	s_cbranch_vccnz .LBB30_248
; %bb.247:
	global_load_ubyte v0, v[0:1], off
	s_waitcnt vmcnt(0)
	v_cvt_f32_ubyte0_e32 v0, v0
	v_bfe_u32 v1, v0, 16, 1
	v_add3_u32 v0, v0, v1, 0x7fff
	v_lshrrev_b32_e32 v3, 16, v0
.LBB30_248:
	s_branch .LBB30_11
.LBB30_249:
	s_mov_b32 s0, 0
.LBB30_250:
	s_mov_b32 s16, 0
                                        ; implicit-def: $vgpr2
.LBB30_251:
	s_and_b32 s7, s0, exec_lo
	s_and_b32 s13, s13, exec_lo
	s_orn2_b32 s17, s16, exec_lo
.LBB30_252:
	s_or_b32 exec_lo, exec_lo, s14
	s_mov_b32 s16, 0
	s_mov_b32 s0, 0
                                        ; implicit-def: $vgpr0_vgpr1
                                        ; implicit-def: $vgpr4
	s_and_saveexec_b32 s14, s17
	s_cbranch_execz .LBB30_261
; %bb.253:
	s_mov_b32 s0, -1
	s_mov_b32 s15, s13
	s_mov_b32 s16, s7
	s_mov_b32 s17, exec_lo
	v_cmpx_gt_i32_e64 s12, v2
	s_cbranch_execz .LBB30_515
; %bb.254:
	v_mul_lo_u32 v0, v2, s3
	s_and_b32 s0, 0xffff, s5
	s_cmp_lt_i32 s0, 11
	v_ashrrev_i32_e32 v1, 31, v0
	v_add_co_u32 v0, vcc_lo, s10, v0
	v_add_co_ci_u32_e64 v1, null, s11, v1, vcc_lo
	s_cbranch_scc1 .LBB30_264
; %bb.255:
	s_cmp_gt_i32 s0, 25
	s_cbranch_scc0 .LBB30_273
; %bb.256:
	s_cmp_gt_i32 s0, 28
	s_cbranch_scc0 .LBB30_275
	;; [unrolled: 3-line block ×4, first 2 shown]
; %bb.259:
	s_cmp_eq_u32 s0, 46
	s_mov_b32 s18, 0
	s_cbranch_scc0 .LBB30_285
; %bb.260:
	global_load_dword v3, v[0:1], off
	s_mov_b32 s16, -1
	s_mov_b32 s15, 0
	s_branch .LBB30_287
.LBB30_261:
	s_or_b32 exec_lo, exec_lo, s14
	s_mov_b32 s12, 0
	s_and_saveexec_b32 s14, s13
	s_cbranch_execnz .LBB30_863
.LBB30_262:
	s_or_b32 exec_lo, exec_lo, s14
	s_and_saveexec_b32 s13, s15
	s_xor_b32 s13, exec_lo, s13
	s_cbranch_execz .LBB30_864
.LBB30_263:
	global_load_ubyte v3, v[0:1], off
	s_or_b32 s0, s0, exec_lo
	s_waitcnt vmcnt(0)
	v_cmp_ne_u16_e32 vcc_lo, 0, v3
	v_cndmask_b32_e64 v3, 0, 1.0, vcc_lo
	v_lshrrev_b32_e32 v4, 16, v3
	s_or_b32 exec_lo, exec_lo, s13
	s_and_saveexec_b32 s13, s16
	s_cbranch_execz .LBB30_910
	s_branch .LBB30_865
.LBB30_264:
	s_mov_b32 s16, 0
	s_mov_b32 s15, s13
                                        ; implicit-def: $vgpr3
	s_cbranch_execnz .LBB30_464
.LBB30_265:
	s_andn2_b32 vcc_lo, exec_lo, s16
	s_cbranch_vccnz .LBB30_512
.LBB30_266:
	s_waitcnt vmcnt(0)
	v_lshlrev_b32_e32 v0, 16, v3
	s_mov_b32 s0, 0x3b2d2a58
	s_and_b32 s16, s1, 0xff
	s_cmp_lt_i32 s16, 11
	v_rcp_f32_e64 v1, |v0|
	v_cmp_gt_f32_e64 vcc_lo, |v0|, 1.0
	v_cndmask_b32_e64 v1, |v0|, v1, vcc_lo
	v_mul_f32_e32 v3, v1, v1
	v_fmaak_f32 v4, s0, v3, 0xbc7a590c
	v_fmaak_f32 v4, v3, v4, 0x3d29fb3f
	v_fmaak_f32 v4, v3, v4, 0xbd97d4d7
	v_fmaak_f32 v4, v3, v4, 0x3dd931b2
	v_fmaak_f32 v4, v3, v4, 0xbe1160e6
	v_fmaak_f32 v4, v3, v4, 0x3e4cb8bf
	v_fmaak_f32 v4, v3, v4, 0xbeaaaa62
	v_mul_f32_e32 v3, v3, v4
	v_mov_b32_e32 v4, 0x7fc0
	v_fmac_f32_e32 v1, v1, v3
	v_sub_f32_e32 v3, 0x3fc90fdb, v1
	v_cndmask_b32_e32 v1, v1, v3, vcc_lo
	v_bfi_b32 v0, 0x7fffffff, v1, v0
	v_mul_lo_u32 v1, v2, s2
	v_bfe_u32 v3, v0, 16, 1
	v_cmp_o_f32_e32 vcc_lo, v0, v0
	v_ashrrev_i32_e32 v5, 31, v1
	v_add3_u32 v3, v0, v3, 0x7fff
	v_add_co_u32 v0, s0, s8, v1
	v_add_co_ci_u32_e64 v1, null, s9, v5, s0
	v_cndmask_b32_sdwa v3, v4, v3, vcc_lo dst_sel:DWORD dst_unused:UNUSED_PAD src0_sel:DWORD src1_sel:WORD_1
	s_cbranch_scc1 .LBB30_274
; %bb.267:
	s_and_b32 s18, 0xffff, s16
	s_cmp_gt_i32 s18, 25
	s_cbranch_scc0 .LBB30_276
; %bb.268:
	s_cmp_gt_i32 s18, 28
	s_cbranch_scc0 .LBB30_278
; %bb.269:
	;; [unrolled: 3-line block ×4, first 2 shown]
	s_mov_b32 s20, 0
	s_mov_b32 s0, -1
	s_cmp_eq_u32 s18, 46
	s_mov_b32 s19, 0
	s_cbranch_scc0 .LBB30_291
; %bb.272:
	v_and_b32_e32 v4, 0xffff, v3
	s_mov_b32 s19, -1
	s_mov_b32 s0, 0
	global_store_dword v[0:1], v4, off
	s_branch .LBB30_291
.LBB30_273:
	s_mov_b32 s18, -1
	s_mov_b32 s16, 0
	s_mov_b32 s15, s13
                                        ; implicit-def: $vgpr3
	s_branch .LBB30_428
.LBB30_274:
	s_mov_b32 s18, -1
	s_mov_b32 s19, 0
	s_mov_b32 s0, s7
	s_branch .LBB30_360
.LBB30_275:
	s_mov_b32 s18, -1
	s_mov_b32 s16, 0
	s_mov_b32 s15, s13
                                        ; implicit-def: $vgpr3
	s_branch .LBB30_409
.LBB30_276:
	s_mov_b32 s20, -1
	s_mov_b32 s19, 0
	s_mov_b32 s0, s7
	s_branch .LBB30_318
.LBB30_277:
	s_mov_b32 s18, -1
	s_mov_b32 s16, 0
	s_mov_b32 s15, s13
                                        ; implicit-def: $vgpr3
	s_branch .LBB30_404
.LBB30_278:
	s_mov_b32 s20, -1
	s_mov_b32 s19, 0
	s_mov_b32 s0, s7
	s_branch .LBB30_301
.LBB30_279:
	s_andn2_saveexec_b32 s19, s19
	s_cbranch_execz .LBB30_54
.LBB30_280:
	v_add_f32_e64 v5, 0x46000000, |v6|
	s_andn2_b32 s18, s18, exec_lo
	v_and_b32_e32 v5, 0xff, v5
	v_cmp_ne_u32_e32 vcc_lo, 0, v5
	s_and_b32 s20, vcc_lo, exec_lo
	s_or_b32 s18, s18, s20
	s_or_b32 exec_lo, exec_lo, s19
	v_mov_b32_e32 v7, 0
	s_and_saveexec_b32 s19, s18
	s_cbranch_execnz .LBB30_55
	s_branch .LBB30_56
.LBB30_281:
	s_mov_b32 s18, -1
	s_mov_b32 s16, 0
	s_mov_b32 s15, s13
	s_branch .LBB30_286
.LBB30_282:
	s_mov_b32 s20, -1
	s_mov_b32 s19, 0
	s_mov_b32 s0, s7
	s_branch .LBB30_297
.LBB30_283:
	s_andn2_saveexec_b32 s19, s19
	s_cbranch_execz .LBB30_67
.LBB30_284:
	v_add_f32_e64 v5, 0x42800000, |v6|
	s_andn2_b32 s18, s18, exec_lo
	v_and_b32_e32 v5, 0xff, v5
	v_cmp_ne_u32_e32 vcc_lo, 0, v5
	s_and_b32 s20, vcc_lo, exec_lo
	s_or_b32 s18, s18, s20
	s_or_b32 exec_lo, exec_lo, s19
	v_mov_b32_e32 v7, 0
	s_and_saveexec_b32 s19, s18
	s_cbranch_execnz .LBB30_68
	s_branch .LBB30_69
.LBB30_285:
	s_mov_b32 s15, -1
	s_mov_b32 s16, 0
.LBB30_286:
                                        ; implicit-def: $vgpr3
.LBB30_287:
	s_and_b32 vcc_lo, exec_lo, s18
	s_cbranch_vccz .LBB30_403
; %bb.288:
	s_cmp_eq_u32 s0, 44
	s_cbranch_scc0 .LBB30_402
; %bb.289:
	global_load_ubyte v3, v[0:1], off
	s_mov_b32 s15, 0
	s_mov_b32 s16, -1
	s_waitcnt vmcnt(0)
	v_lshlrev_b32_e32 v4, 23, v3
	v_cmp_ne_u32_e32 vcc_lo, 0xff, v3
	v_cndmask_b32_e32 v4, 0x7f800001, v4, vcc_lo
	v_cmp_ne_u32_e32 vcc_lo, 0, v3
	v_cndmask_b32_e32 v3, 0x400000, v4, vcc_lo
	v_mov_b32_e32 v4, 0x7fc0
	v_cmp_o_f32_e32 vcc_lo, v3, v3
	v_add_nc_u32_e32 v3, 0x7fff, v3
	v_cndmask_b32_sdwa v3, v4, v3, vcc_lo dst_sel:DWORD dst_unused:UNUSED_PAD src0_sel:DWORD src1_sel:WORD_1
	s_branch .LBB30_403
.LBB30_290:
	s_mov_b32 s20, -1
	s_mov_b32 s19, 0
	s_mov_b32 s0, s7
.LBB30_291:
	s_and_b32 vcc_lo, exec_lo, s20
	s_cbranch_vccz .LBB30_296
; %bb.292:
	s_cmp_eq_u32 s18, 44
	s_mov_b32 s0, -1
	s_cbranch_scc0 .LBB30_296
; %bb.293:
	v_and_b32_e32 v4, 0xffff, v3
	v_mov_b32_e32 v5, 0xff
	s_mov_b32 s19, exec_lo
	v_bfe_u32 v6, v4, 7, 8
	v_cmpx_ne_u32_e32 0xff, v6
	s_cbranch_execz .LBB30_295
; %bb.294:
	v_lshlrev_b32_e32 v5, 16, v4
	v_and_b32_e32 v7, 64, v4
	v_lshrrev_b32_e32 v4, 7, v4
	v_and_or_b32 v5, 0x3f0000, v5, v6
	v_cmp_ne_u32_e32 vcc_lo, 0, v7
	v_cmp_ne_u32_e64 s0, 0, v5
	s_and_b32 s0, vcc_lo, s0
	v_cndmask_b32_e64 v5, 0, 1, s0
	v_add_nc_u32_e32 v5, v4, v5
.LBB30_295:
	s_or_b32 exec_lo, exec_lo, s19
	s_mov_b32 s19, -1
	s_mov_b32 s0, 0
	global_store_byte v[0:1], v5, off
.LBB30_296:
	s_mov_b32 s20, 0
.LBB30_297:
	s_and_b32 vcc_lo, exec_lo, s20
	s_cbranch_vccz .LBB30_300
; %bb.298:
	s_cmp_eq_u32 s18, 29
	s_mov_b32 s0, -1
	s_cbranch_scc0 .LBB30_300
; %bb.299:
	v_lshlrev_b32_e32 v4, 16, v3
	s_mov_b32 s19, -1
	s_mov_b32 s0, 0
	s_mov_b32 s20, 0
	v_trunc_f32_e32 v4, v4
	v_mul_f32_e32 v5, 0x2f800000, v4
	v_floor_f32_e32 v5, v5
	v_fmamk_f32 v4, v5, 0xcf800000, v4
	v_cvt_u32_f32_e32 v5, v5
	v_cvt_u32_f32_e32 v4, v4
	global_store_dwordx2 v[0:1], v[4:5], off
	s_branch .LBB30_301
.LBB30_300:
	s_mov_b32 s20, 0
.LBB30_301:
	s_and_b32 vcc_lo, exec_lo, s20
	s_cbranch_vccz .LBB30_317
; %bb.302:
	s_cmp_lt_i32 s18, 27
	s_mov_b32 s19, -1
	s_cbranch_scc1 .LBB30_308
; %bb.303:
	s_cmp_gt_i32 s18, 27
	s_cbranch_scc0 .LBB30_305
; %bb.304:
	v_lshlrev_b32_e32 v4, 16, v3
	s_mov_b32 s19, 0
	v_cvt_u32_f32_e32 v4, v4
	global_store_dword v[0:1], v4, off
.LBB30_305:
	s_andn2_b32 vcc_lo, exec_lo, s19
	s_cbranch_vccnz .LBB30_307
; %bb.306:
	v_lshlrev_b32_e32 v4, 16, v3
	v_cvt_u32_f32_e32 v4, v4
	global_store_short v[0:1], v4, off
.LBB30_307:
	s_mov_b32 s19, 0
.LBB30_308:
	s_andn2_b32 vcc_lo, exec_lo, s19
	s_cbranch_vccnz .LBB30_316
; %bb.309:
	v_lshlrev_b32_e32 v6, 16, v3
	v_mov_b32_e32 v7, 0x80
	s_mov_b32 s19, exec_lo
	v_and_b32_e32 v5, 0x7fffffff, v6
	v_cmpx_gt_u32_e32 0x43800000, v5
	s_cbranch_execz .LBB30_315
; %bb.310:
	v_and_b32_e32 v4, 0xffff, v3
	v_cmp_lt_u32_e32 vcc_lo, 0x3bffffff, v5
	s_mov_b32 s20, 0
                                        ; implicit-def: $vgpr5
	s_and_saveexec_b32 s21, vcc_lo
	s_xor_b32 s21, exec_lo, s21
	s_cbranch_execz .LBB30_528
; %bb.311:
	v_bfe_u32 v5, v4, 4, 1
	s_mov_b32 s20, exec_lo
	v_add3_u32 v5, v6, v5, 0x487ffff
                                        ; implicit-def: $vgpr6
	v_lshrrev_b32_e32 v5, 20, v5
	s_andn2_saveexec_b32 s21, s21
	s_cbranch_execnz .LBB30_529
.LBB30_312:
	s_or_b32 exec_lo, exec_lo, s21
	v_mov_b32_e32 v7, 0
	s_and_saveexec_b32 s21, s20
.LBB30_313:
	v_lshrrev_b32_e32 v4, 8, v4
	v_and_or_b32 v7, 0x80, v4, v5
.LBB30_314:
	s_or_b32 exec_lo, exec_lo, s21
.LBB30_315:
	s_or_b32 exec_lo, exec_lo, s19
	global_store_byte v[0:1], v7, off
.LBB30_316:
	s_mov_b32 s19, -1
.LBB30_317:
	s_mov_b32 s20, 0
.LBB30_318:
	s_and_b32 vcc_lo, exec_lo, s20
	s_cbranch_vccz .LBB30_359
; %bb.319:
	s_cmp_gt_i32 s18, 22
	s_mov_b32 s20, -1
	s_cbranch_scc0 .LBB30_351
; %bb.320:
	s_cmp_lt_i32 s18, 24
	s_mov_b32 s19, -1
	s_cbranch_scc1 .LBB30_340
; %bb.321:
	s_cmp_gt_i32 s18, 24
	s_cbranch_scc0 .LBB30_329
; %bb.322:
	v_lshlrev_b32_e32 v6, 16, v3
	v_mov_b32_e32 v7, 0x80
	s_mov_b32 s19, exec_lo
	v_and_b32_e32 v5, 0x7fffffff, v6
	v_cmpx_gt_u32_e32 0x47800000, v5
	s_cbranch_execz .LBB30_328
; %bb.323:
	v_and_b32_e32 v4, 0xffff, v3
	v_cmp_lt_u32_e32 vcc_lo, 0x37ffffff, v5
	s_mov_b32 s20, 0
                                        ; implicit-def: $vgpr5
	s_and_saveexec_b32 s21, vcc_lo
	s_xor_b32 s21, exec_lo, s21
	s_cbranch_execz .LBB30_531
; %bb.324:
	v_bfe_u32 v5, v4, 5, 1
	s_mov_b32 s20, exec_lo
	v_add3_u32 v5, v6, v5, 0x88fffff
                                        ; implicit-def: $vgpr6
	v_lshrrev_b32_e32 v5, 21, v5
	s_andn2_saveexec_b32 s21, s21
	s_cbranch_execnz .LBB30_532
.LBB30_325:
	s_or_b32 exec_lo, exec_lo, s21
	v_mov_b32_e32 v7, 0
	s_and_saveexec_b32 s21, s20
.LBB30_326:
	v_lshrrev_b32_e32 v4, 8, v4
	v_and_or_b32 v7, 0x80, v4, v5
.LBB30_327:
	s_or_b32 exec_lo, exec_lo, s21
.LBB30_328:
	s_or_b32 exec_lo, exec_lo, s19
	s_mov_b32 s19, 0
	global_store_byte v[0:1], v7, off
.LBB30_329:
	s_and_b32 vcc_lo, exec_lo, s19
	s_cbranch_vccz .LBB30_339
; %bb.330:
	v_lshlrev_b32_e32 v6, 16, v3
	v_and_b32_e32 v4, 0xffff, v3
	s_mov_b32 s19, exec_lo
                                        ; implicit-def: $vgpr5
	v_and_b32_e32 v7, 0x7fffffff, v6
	v_cmpx_gt_u32_e32 0x43f00000, v7
	s_xor_b32 s19, exec_lo, s19
	s_cbranch_execz .LBB30_336
; %bb.331:
	s_mov_b32 s20, exec_lo
                                        ; implicit-def: $vgpr5
	v_cmpx_lt_u32_e32 0x3c7fffff, v7
	s_xor_b32 s20, exec_lo, s20
; %bb.332:
	v_bfe_u32 v5, v4, 4, 1
	v_add3_u32 v5, v6, v5, 0x407ffff
	v_and_b32_e32 v6, 0xff00000, v5
	v_lshrrev_b32_e32 v5, 20, v5
	v_cmp_ne_u32_e32 vcc_lo, 0x7f00000, v6
                                        ; implicit-def: $vgpr6
	v_cndmask_b32_e32 v5, 0x7e, v5, vcc_lo
; %bb.333:
	s_andn2_saveexec_b32 s20, s20
; %bb.334:
	v_add_f32_e64 v5, 0x46800000, |v6|
; %bb.335:
	s_or_b32 exec_lo, exec_lo, s20
                                        ; implicit-def: $vgpr7
.LBB30_336:
	s_andn2_saveexec_b32 s19, s19
; %bb.337:
	v_mov_b32_e32 v5, 0x7f
	v_cmp_lt_u32_e32 vcc_lo, 0x7f800000, v7
	v_cndmask_b32_e32 v5, 0x7e, v5, vcc_lo
; %bb.338:
	s_or_b32 exec_lo, exec_lo, s19
	v_lshrrev_b32_e32 v4, 8, v4
	v_and_or_b32 v4, 0x80, v4, v5
	global_store_byte v[0:1], v4, off
.LBB30_339:
	s_mov_b32 s19, 0
.LBB30_340:
	s_andn2_b32 vcc_lo, exec_lo, s19
	s_cbranch_vccnz .LBB30_350
; %bb.341:
	v_lshlrev_b32_e32 v6, 16, v3
	v_and_b32_e32 v4, 0xffff, v3
	s_mov_b32 s19, exec_lo
                                        ; implicit-def: $vgpr5
	v_and_b32_e32 v7, 0x7fffffff, v6
	v_cmpx_gt_u32_e32 0x47800000, v7
	s_xor_b32 s19, exec_lo, s19
	s_cbranch_execz .LBB30_347
; %bb.342:
	s_mov_b32 s20, exec_lo
                                        ; implicit-def: $vgpr5
	v_cmpx_lt_u32_e32 0x387fffff, v7
	s_xor_b32 s20, exec_lo, s20
; %bb.343:
	v_bfe_u32 v5, v4, 5, 1
	v_add3_u32 v5, v6, v5, 0x80fffff
                                        ; implicit-def: $vgpr6
	v_lshrrev_b32_e32 v5, 21, v5
; %bb.344:
	s_andn2_saveexec_b32 s20, s20
; %bb.345:
	v_add_f32_e64 v5, 0x43000000, |v6|
; %bb.346:
	s_or_b32 exec_lo, exec_lo, s20
                                        ; implicit-def: $vgpr7
.LBB30_347:
	s_andn2_saveexec_b32 s19, s19
; %bb.348:
	v_mov_b32_e32 v5, 0x7f
	v_cmp_lt_u32_e32 vcc_lo, 0x7f800000, v7
	v_cndmask_b32_e32 v5, 0x7c, v5, vcc_lo
; %bb.349:
	s_or_b32 exec_lo, exec_lo, s19
	v_lshrrev_b32_e32 v4, 8, v4
	v_and_or_b32 v4, 0x80, v4, v5
	global_store_byte v[0:1], v4, off
.LBB30_350:
	s_mov_b32 s20, 0
	s_mov_b32 s19, -1
.LBB30_351:
	s_andn2_b32 vcc_lo, exec_lo, s20
	s_cbranch_vccnz .LBB30_359
; %bb.352:
	s_cmp_gt_i32 s18, 14
	s_mov_b32 s20, -1
	s_cbranch_scc0 .LBB30_356
; %bb.353:
	s_cmp_eq_u32 s18, 15
	s_mov_b32 s0, -1
	s_cbranch_scc0 .LBB30_355
; %bb.354:
	s_mov_b32 s19, -1
	s_mov_b32 s0, 0
	global_store_short v[0:1], v3, off
.LBB30_355:
	s_mov_b32 s20, 0
.LBB30_356:
	s_and_b32 vcc_lo, exec_lo, s20
	s_cbranch_vccz .LBB30_359
; %bb.357:
	s_cmp_eq_u32 s18, 11
	s_mov_b32 s0, -1
	s_cbranch_scc0 .LBB30_359
; %bb.358:
	v_and_b32_e32 v4, 0x7fff, v3
	s_mov_b32 s0, 0
	s_mov_b32 s19, -1
	v_cmp_ne_u16_e32 vcc_lo, 0, v4
	v_cndmask_b32_e64 v4, 0, 1, vcc_lo
	global_store_byte v[0:1], v4, off
.LBB30_359:
	s_mov_b32 s18, 0
.LBB30_360:
	s_and_b32 vcc_lo, exec_lo, s18
	s_cbranch_vccz .LBB30_399
; %bb.361:
	s_and_b32 s16, 0xffff, s16
	s_mov_b32 s18, -1
	s_cmp_lt_i32 s16, 5
	s_cbranch_scc1 .LBB30_382
; %bb.362:
	s_cmp_lt_i32 s16, 8
	s_cbranch_scc1 .LBB30_372
; %bb.363:
	;; [unrolled: 3-line block ×3, first 2 shown]
	s_cmp_gt_i32 s16, 9
	s_cbranch_scc0 .LBB30_366
; %bb.365:
	v_lshlrev_b32_e32 v4, 16, v3
	v_mov_b32_e32 v6, 0
	s_mov_b32 s18, 0
	v_cvt_f64_f32_e32 v[4:5], v4
	v_mov_b32_e32 v7, v6
	global_store_dwordx4 v[0:1], v[4:7], off
.LBB30_366:
	s_andn2_b32 vcc_lo, exec_lo, s18
	s_cbranch_vccnz .LBB30_368
; %bb.367:
	v_lshlrev_b32_e32 v4, 16, v3
	v_mov_b32_e32 v5, 0
	global_store_dwordx2 v[0:1], v[4:5], off
.LBB30_368:
	s_mov_b32 s18, 0
.LBB30_369:
	s_andn2_b32 vcc_lo, exec_lo, s18
	s_cbranch_vccnz .LBB30_371
; %bb.370:
	v_lshlrev_b32_e32 v4, 16, v3
	v_cvt_f16_f32_e32 v4, v4
	v_and_b32_e32 v4, 0xffff, v4
	global_store_dword v[0:1], v4, off
.LBB30_371:
	s_mov_b32 s18, 0
.LBB30_372:
	s_andn2_b32 vcc_lo, exec_lo, s18
	s_cbranch_vccnz .LBB30_381
; %bb.373:
	s_cmp_lt_i32 s16, 6
	s_mov_b32 s18, -1
	s_cbranch_scc1 .LBB30_379
; %bb.374:
	s_cmp_gt_i32 s16, 6
	s_cbranch_scc0 .LBB30_376
; %bb.375:
	v_lshlrev_b32_e32 v4, 16, v3
	s_mov_b32 s18, 0
	v_cvt_f64_f32_e32 v[4:5], v4
	global_store_dwordx2 v[0:1], v[4:5], off
.LBB30_376:
	s_andn2_b32 vcc_lo, exec_lo, s18
	s_cbranch_vccnz .LBB30_378
; %bb.377:
	v_lshlrev_b32_e32 v4, 16, v3
	global_store_dword v[0:1], v4, off
.LBB30_378:
	s_mov_b32 s18, 0
.LBB30_379:
	s_andn2_b32 vcc_lo, exec_lo, s18
	s_cbranch_vccnz .LBB30_381
; %bb.380:
	v_lshlrev_b32_e32 v4, 16, v3
	v_cvt_f16_f32_e32 v4, v4
	global_store_short v[0:1], v4, off
.LBB30_381:
	s_mov_b32 s18, 0
.LBB30_382:
	s_andn2_b32 vcc_lo, exec_lo, s18
	s_cbranch_vccnz .LBB30_398
; %bb.383:
	s_cmp_lt_i32 s16, 2
	s_mov_b32 s18, -1
	s_cbranch_scc1 .LBB30_393
; %bb.384:
	s_cmp_lt_i32 s16, 3
	s_cbranch_scc1 .LBB30_390
; %bb.385:
	s_cmp_gt_i32 s16, 3
	s_cbranch_scc0 .LBB30_387
; %bb.386:
	v_lshlrev_b32_e32 v4, 16, v3
	s_mov_b32 s18, 0
	v_trunc_f32_e32 v4, v4
	v_mul_f32_e64 v5, 0x2f800000, |v4|
	v_ashrrev_i32_e32 v7, 31, v4
	v_floor_f32_e32 v5, v5
	v_fma_f32 v6, 0xcf800000, v5, |v4|
	v_cvt_u32_f32_e32 v5, v5
	v_cvt_u32_f32_e32 v4, v6
	v_xor_b32_e32 v5, v5, v7
	v_xor_b32_e32 v4, v4, v7
	v_sub_co_u32 v4, vcc_lo, v4, v7
	v_sub_co_ci_u32_e64 v5, null, v5, v7, vcc_lo
	global_store_dwordx2 v[0:1], v[4:5], off
.LBB30_387:
	s_andn2_b32 vcc_lo, exec_lo, s18
	s_cbranch_vccnz .LBB30_389
; %bb.388:
	v_lshlrev_b32_e32 v4, 16, v3
	v_cvt_i32_f32_e32 v4, v4
	global_store_dword v[0:1], v4, off
.LBB30_389:
	s_mov_b32 s18, 0
.LBB30_390:
	s_andn2_b32 vcc_lo, exec_lo, s18
	s_cbranch_vccnz .LBB30_392
; %bb.391:
	v_lshlrev_b32_e32 v4, 16, v3
	v_cvt_i32_f32_e32 v4, v4
	global_store_short v[0:1], v4, off
.LBB30_392:
	s_mov_b32 s18, 0
.LBB30_393:
	s_andn2_b32 vcc_lo, exec_lo, s18
	s_cbranch_vccnz .LBB30_398
; %bb.394:
	v_lshlrev_b32_e32 v3, 16, v3
	s_cmp_gt_i32 s16, 0
	s_mov_b32 s16, -1
	s_cbranch_scc0 .LBB30_396
; %bb.395:
	v_cvt_i32_f32_e32 v4, v3
	s_mov_b32 s16, 0
	global_store_byte v[0:1], v4, off
.LBB30_396:
	s_andn2_b32 vcc_lo, exec_lo, s16
	s_cbranch_vccnz .LBB30_398
; %bb.397:
	v_trunc_f32_e32 v3, v3
	v_mul_f32_e64 v4, 0x2f800000, |v3|
	v_floor_f32_e32 v4, v4
	v_fma_f32 v4, 0xcf800000, v4, |v3|
	v_ashrrev_i32_e32 v3, 31, v3
	v_cvt_u32_f32_e32 v4, v4
	v_xor_b32_e32 v4, v4, v3
	v_sub_nc_u32_e32 v3, v4, v3
	global_store_byte v[0:1], v3, off
.LBB30_398:
	s_mov_b32 s19, -1
.LBB30_399:
	s_andn2_b32 vcc_lo, exec_lo, s19
	s_cbranch_vccnz .LBB30_401
; %bb.400:
	v_add_nc_u32_e32 v2, 0x80, v2
	s_mov_b32 s18, -1
	s_branch .LBB30_514
.LBB30_401:
	s_mov_b32 s18, 0
	s_branch .LBB30_513
.LBB30_402:
	s_mov_b32 s15, -1
                                        ; implicit-def: $vgpr3
.LBB30_403:
	s_mov_b32 s18, 0
.LBB30_404:
	s_and_b32 vcc_lo, exec_lo, s18
	s_cbranch_vccz .LBB30_408
; %bb.405:
	s_cmp_eq_u32 s0, 29
	s_cbranch_scc0 .LBB30_407
; %bb.406:
	global_load_dwordx2 v[3:4], v[0:1], off
	s_mov_b32 s16, -1
	s_mov_b32 s15, 0
	s_mov_b32 s18, 0
	s_waitcnt vmcnt(0)
	v_ffbh_u32_e32 v5, v4
	v_min_u32_e32 v5, 32, v5
	v_lshlrev_b64 v[3:4], v5, v[3:4]
	v_min_u32_e32 v3, 1, v3
	v_or_b32_e32 v3, v4, v3
	v_sub_nc_u32_e32 v4, 32, v5
	v_cvt_f32_u32_e32 v3, v3
	v_ldexp_f32 v3, v3, v4
	v_bfe_u32 v4, v3, 16, 1
	v_add3_u32 v3, v3, v4, 0x7fff
	v_lshrrev_b32_e32 v3, 16, v3
	s_branch .LBB30_409
.LBB30_407:
	s_mov_b32 s15, -1
                                        ; implicit-def: $vgpr3
.LBB30_408:
	s_mov_b32 s18, 0
.LBB30_409:
	s_and_b32 vcc_lo, exec_lo, s18
	s_cbranch_vccz .LBB30_427
; %bb.410:
	s_cmp_lt_i32 s0, 27
	s_cbranch_scc1 .LBB30_413
; %bb.411:
	s_cmp_gt_i32 s0, 27
	s_cbranch_scc0 .LBB30_414
; %bb.412:
	global_load_dword v3, v[0:1], off
	s_mov_b32 s16, 0
	s_waitcnt vmcnt(0)
	v_cvt_f32_u32_e32 v3, v3
	v_bfe_u32 v4, v3, 16, 1
	v_add3_u32 v3, v3, v4, 0x7fff
	v_lshrrev_b32_e32 v3, 16, v3
	s_branch .LBB30_415
.LBB30_413:
	s_mov_b32 s16, -1
                                        ; implicit-def: $vgpr3
	s_branch .LBB30_418
.LBB30_414:
	s_mov_b32 s16, -1
                                        ; implicit-def: $vgpr3
.LBB30_415:
	s_andn2_b32 vcc_lo, exec_lo, s16
	s_cbranch_vccnz .LBB30_417
; %bb.416:
	global_load_ushort v3, v[0:1], off
	s_waitcnt vmcnt(0)
	v_cvt_f32_u32_e32 v3, v3
	v_bfe_u32 v4, v3, 16, 1
	v_add3_u32 v3, v3, v4, 0x7fff
	v_lshrrev_b32_e32 v3, 16, v3
.LBB30_417:
	s_mov_b32 s16, 0
.LBB30_418:
	s_andn2_b32 vcc_lo, exec_lo, s16
	s_cbranch_vccnz .LBB30_426
; %bb.419:
	global_load_ubyte v3, v[0:1], off
	s_mov_b32 s16, 0
	s_mov_b32 s18, exec_lo
	s_waitcnt vmcnt(0)
	v_cmpx_lt_i16_e32 0x7f, v3
	s_xor_b32 s18, exec_lo, s18
	s_cbranch_execz .LBB30_440
; %bb.420:
	s_mov_b32 s16, -1
	s_mov_b32 s19, exec_lo
	v_cmpx_eq_u16_e32 0x80, v3
; %bb.421:
	s_xor_b32 s16, exec_lo, -1
; %bb.422:
	s_or_b32 exec_lo, exec_lo, s19
	s_and_b32 s16, s16, exec_lo
	s_or_saveexec_b32 s18, s18
	v_mov_b32_e32 v4, 0x7f800001
	s_xor_b32 exec_lo, exec_lo, s18
	s_cbranch_execnz .LBB30_441
.LBB30_423:
	s_or_b32 exec_lo, exec_lo, s18
	s_and_saveexec_b32 s18, s16
	s_cbranch_execz .LBB30_425
.LBB30_424:
	v_and_b32_e32 v4, 0xffff, v3
	v_lshlrev_b32_e32 v3, 24, v3
	v_and_b32_e32 v5, 7, v4
	v_bfe_u32 v8, v4, 3, 4
	v_and_b32_e32 v3, 0x80000000, v3
	v_ffbh_u32_e32 v6, v5
	v_cmp_eq_u32_e32 vcc_lo, 0, v8
	v_min_u32_e32 v6, 32, v6
	v_subrev_nc_u32_e32 v7, 28, v6
	v_sub_nc_u32_e32 v6, 29, v6
	v_lshlrev_b32_e32 v4, v7, v4
	v_cndmask_b32_e32 v6, v8, v6, vcc_lo
	v_and_b32_e32 v4, 7, v4
	v_cndmask_b32_e32 v4, v5, v4, vcc_lo
	v_lshl_add_u32 v5, v6, 23, 0x3b800000
	v_lshlrev_b32_e32 v4, 20, v4
	v_or3_b32 v4, v3, v5, v4
.LBB30_425:
	s_or_b32 exec_lo, exec_lo, s18
	v_bfe_u32 v3, v4, 16, 1
	v_cmp_o_f32_e32 vcc_lo, v4, v4
	v_add3_u32 v3, v4, v3, 0x7fff
	v_mov_b32_e32 v4, 0x7fc0
	v_cndmask_b32_sdwa v3, v4, v3, vcc_lo dst_sel:DWORD dst_unused:UNUSED_PAD src0_sel:DWORD src1_sel:WORD_1
.LBB30_426:
	s_mov_b32 s16, -1
.LBB30_427:
	s_mov_b32 s18, 0
.LBB30_428:
	s_and_b32 vcc_lo, exec_lo, s18
	s_cbranch_vccz .LBB30_463
; %bb.429:
	s_cmp_gt_i32 s0, 22
	s_cbranch_scc0 .LBB30_439
; %bb.430:
	s_cmp_lt_i32 s0, 24
	s_cbranch_scc1 .LBB30_442
; %bb.431:
	s_cmp_gt_i32 s0, 24
	s_cbranch_scc0 .LBB30_443
; %bb.432:
	global_load_ubyte v3, v[0:1], off
	s_mov_b32 s16, 0
	s_mov_b32 s18, exec_lo
	s_waitcnt vmcnt(0)
	v_cmpx_lt_i16_e32 0x7f, v3
	s_xor_b32 s18, exec_lo, s18
	s_cbranch_execz .LBB30_455
; %bb.433:
	s_mov_b32 s16, -1
	s_mov_b32 s19, exec_lo
	v_cmpx_eq_u16_e32 0x80, v3
; %bb.434:
	s_xor_b32 s16, exec_lo, -1
; %bb.435:
	s_or_b32 exec_lo, exec_lo, s19
	s_and_b32 s16, s16, exec_lo
	s_or_saveexec_b32 s18, s18
	v_mov_b32_e32 v4, 0x7f800001
	s_xor_b32 exec_lo, exec_lo, s18
	s_cbranch_execnz .LBB30_456
.LBB30_436:
	s_or_b32 exec_lo, exec_lo, s18
	s_and_saveexec_b32 s18, s16
	s_cbranch_execz .LBB30_438
.LBB30_437:
	v_and_b32_e32 v4, 0xffff, v3
	v_lshlrev_b32_e32 v3, 24, v3
	v_and_b32_e32 v5, 3, v4
	v_bfe_u32 v8, v4, 2, 5
	v_and_b32_e32 v3, 0x80000000, v3
	v_ffbh_u32_e32 v6, v5
	v_cmp_eq_u32_e32 vcc_lo, 0, v8
	v_min_u32_e32 v6, 32, v6
	v_subrev_nc_u32_e32 v7, 29, v6
	v_sub_nc_u32_e32 v6, 30, v6
	v_lshlrev_b32_e32 v4, v7, v4
	v_cndmask_b32_e32 v6, v8, v6, vcc_lo
	v_and_b32_e32 v4, 3, v4
	v_cndmask_b32_e32 v4, v5, v4, vcc_lo
	v_lshl_add_u32 v5, v6, 23, 0x37800000
	v_lshlrev_b32_e32 v4, 21, v4
	v_or3_b32 v4, v3, v5, v4
.LBB30_438:
	s_or_b32 exec_lo, exec_lo, s18
	v_bfe_u32 v3, v4, 16, 1
	v_cmp_o_f32_e32 vcc_lo, v4, v4
	s_mov_b32 s16, 0
	v_add3_u32 v3, v4, v3, 0x7fff
	v_mov_b32_e32 v4, 0x7fc0
	v_cndmask_b32_sdwa v3, v4, v3, vcc_lo dst_sel:DWORD dst_unused:UNUSED_PAD src0_sel:DWORD src1_sel:WORD_1
	s_branch .LBB30_444
.LBB30_439:
	s_mov_b32 s18, -1
                                        ; implicit-def: $vgpr3
	s_branch .LBB30_450
.LBB30_440:
	s_or_saveexec_b32 s18, s18
	v_mov_b32_e32 v4, 0x7f800001
	s_xor_b32 exec_lo, exec_lo, s18
	s_cbranch_execz .LBB30_423
.LBB30_441:
	v_cmp_ne_u16_e32 vcc_lo, 0, v3
	v_mov_b32_e32 v4, 0
	s_andn2_b32 s16, s16, exec_lo
	s_and_b32 s19, vcc_lo, exec_lo
	s_or_b32 s16, s16, s19
	s_or_b32 exec_lo, exec_lo, s18
	s_and_saveexec_b32 s18, s16
	s_cbranch_execnz .LBB30_424
	s_branch .LBB30_425
.LBB30_442:
	s_mov_b32 s16, -1
                                        ; implicit-def: $vgpr3
	s_branch .LBB30_447
.LBB30_443:
	s_mov_b32 s16, -1
                                        ; implicit-def: $vgpr3
.LBB30_444:
	s_and_b32 vcc_lo, exec_lo, s16
	s_cbranch_vccz .LBB30_446
; %bb.445:
	global_load_ubyte v3, v[0:1], off
	s_waitcnt vmcnt(0)
	v_lshlrev_b32_e32 v3, 24, v3
	v_and_b32_e32 v4, 0x7f000000, v3
	v_ffbh_u32_e32 v5, v4
	v_add_nc_u32_e32 v7, 0x1000000, v4
	v_cmp_ne_u32_e32 vcc_lo, 0, v4
	v_min_u32_e32 v5, 32, v5
	v_sub_nc_u32_e64 v5, v5, 4 clamp
	v_lshlrev_b32_e32 v6, v5, v4
	v_lshlrev_b32_e32 v5, 23, v5
	v_lshrrev_b32_e32 v6, 4, v6
	v_sub_nc_u32_e32 v5, v6, v5
	v_ashrrev_i32_e32 v6, 8, v7
	v_add_nc_u32_e32 v5, 0x3c000000, v5
	v_and_or_b32 v5, 0x7f800000, v6, v5
	v_cndmask_b32_e32 v4, 0, v5, vcc_lo
	v_and_or_b32 v3, 0x80000000, v3, v4
	v_bfe_u32 v4, v4, 16, 1
	v_cmp_o_f32_e32 vcc_lo, v3, v3
	v_add3_u32 v3, v3, v4, 0x7fff
	v_mov_b32_e32 v4, 0x7fc0
	v_cndmask_b32_sdwa v3, v4, v3, vcc_lo dst_sel:DWORD dst_unused:UNUSED_PAD src0_sel:DWORD src1_sel:WORD_1
.LBB30_446:
	s_mov_b32 s16, 0
.LBB30_447:
	s_andn2_b32 vcc_lo, exec_lo, s16
	s_cbranch_vccnz .LBB30_449
; %bb.448:
	global_load_ubyte v3, v[0:1], off
	s_waitcnt vmcnt(0)
	v_lshlrev_b32_e32 v4, 25, v3
	v_lshlrev_b16 v3, 8, v3
	v_lshrrev_b32_e32 v5, 4, v4
	v_and_or_b32 v6, 0x7f00, v3, 0.5
	v_cmp_gt_u32_e32 vcc_lo, 0x8000000, v4
	v_bfe_i32 v3, v3, 0, 16
	v_or_b32_e32 v5, 0x70000000, v5
	v_add_f32_e32 v6, -0.5, v6
	v_mul_f32_e32 v5, 0x7800000, v5
	v_cndmask_b32_e32 v4, v5, v6, vcc_lo
	v_and_or_b32 v3, 0x80000000, v3, v4
	v_bfe_u32 v4, v4, 16, 1
	v_cmp_o_f32_e32 vcc_lo, v3, v3
	v_add3_u32 v3, v3, v4, 0x7fff
	v_mov_b32_e32 v4, 0x7fc0
	v_cndmask_b32_sdwa v3, v4, v3, vcc_lo dst_sel:DWORD dst_unused:UNUSED_PAD src0_sel:DWORD src1_sel:WORD_1
.LBB30_449:
	s_mov_b32 s18, 0
	s_mov_b32 s16, -1
.LBB30_450:
	s_andn2_b32 vcc_lo, exec_lo, s18
	s_cbranch_vccnz .LBB30_463
; %bb.451:
	s_cmp_gt_i32 s0, 14
	s_cbranch_scc0 .LBB30_454
; %bb.452:
	s_cmp_eq_u32 s0, 15
	s_cbranch_scc0 .LBB30_457
; %bb.453:
	global_load_ushort v3, v[0:1], off
	s_mov_b32 s16, -1
	s_mov_b32 s15, 0
	s_branch .LBB30_458
.LBB30_454:
	s_mov_b32 s18, -1
                                        ; implicit-def: $vgpr3
	s_branch .LBB30_459
.LBB30_455:
	s_or_saveexec_b32 s18, s18
	v_mov_b32_e32 v4, 0x7f800001
	s_xor_b32 exec_lo, exec_lo, s18
	s_cbranch_execz .LBB30_436
.LBB30_456:
	v_cmp_ne_u16_e32 vcc_lo, 0, v3
	v_mov_b32_e32 v4, 0
	s_andn2_b32 s16, s16, exec_lo
	s_and_b32 s19, vcc_lo, exec_lo
	s_or_b32 s16, s16, s19
	s_or_b32 exec_lo, exec_lo, s18
	s_and_saveexec_b32 s18, s16
	s_cbranch_execnz .LBB30_437
	s_branch .LBB30_438
.LBB30_457:
	s_mov_b32 s15, -1
                                        ; implicit-def: $vgpr3
.LBB30_458:
	s_mov_b32 s18, 0
.LBB30_459:
	s_and_b32 vcc_lo, exec_lo, s18
	s_cbranch_vccz .LBB30_463
; %bb.460:
	s_cmp_eq_u32 s0, 11
	s_cbranch_scc0 .LBB30_462
; %bb.461:
	global_load_ubyte v3, v[0:1], off
	s_mov_b32 s15, 0
	s_mov_b32 s16, -1
	s_waitcnt vmcnt(0)
	v_cmp_ne_u16_e32 vcc_lo, 0, v3
	v_cndmask_b32_e64 v3, 0, 1.0, vcc_lo
	v_lshrrev_b32_e32 v3, 16, v3
	s_branch .LBB30_463
.LBB30_462:
	s_mov_b32 s15, -1
                                        ; implicit-def: $vgpr3
.LBB30_463:
	s_branch .LBB30_265
.LBB30_464:
	s_cmp_lt_i32 s0, 5
	s_cbranch_scc1 .LBB30_469
; %bb.465:
	s_cmp_lt_i32 s0, 8
	s_cbranch_scc1 .LBB30_470
; %bb.466:
	;; [unrolled: 3-line block ×3, first 2 shown]
	s_cmp_gt_i32 s0, 9
	s_cbranch_scc0 .LBB30_472
; %bb.468:
	global_load_dwordx2 v[3:4], v[0:1], off
	s_mov_b32 s16, 0
	s_waitcnt vmcnt(0)
	v_cvt_f32_f64_e32 v3, v[3:4]
	v_bfe_u32 v4, v3, 16, 1
	v_cmp_o_f32_e32 vcc_lo, v3, v3
	v_add3_u32 v3, v3, v4, 0x7fff
	v_mov_b32_e32 v4, 0x7fc0
	v_cndmask_b32_sdwa v3, v4, v3, vcc_lo dst_sel:DWORD dst_unused:UNUSED_PAD src0_sel:DWORD src1_sel:WORD_1
	s_branch .LBB30_473
.LBB30_469:
	s_mov_b32 s16, -1
                                        ; implicit-def: $vgpr3
	s_branch .LBB30_491
.LBB30_470:
	s_mov_b32 s16, -1
                                        ; implicit-def: $vgpr3
	s_branch .LBB30_479
.LBB30_471:
	s_mov_b32 s16, -1
                                        ; implicit-def: $vgpr3
	s_branch .LBB30_476
.LBB30_472:
	s_mov_b32 s16, -1
                                        ; implicit-def: $vgpr3
.LBB30_473:
	s_andn2_b32 vcc_lo, exec_lo, s16
	s_cbranch_vccnz .LBB30_475
; %bb.474:
	global_load_dword v3, v[0:1], off
	s_waitcnt vmcnt(0)
	v_bfe_u32 v4, v3, 16, 1
	v_cmp_o_f32_e32 vcc_lo, v3, v3
	v_add3_u32 v3, v3, v4, 0x7fff
	v_mov_b32_e32 v4, 0x7fc0
	v_cndmask_b32_sdwa v3, v4, v3, vcc_lo dst_sel:DWORD dst_unused:UNUSED_PAD src0_sel:DWORD src1_sel:WORD_1
.LBB30_475:
	s_mov_b32 s16, 0
.LBB30_476:
	s_andn2_b32 vcc_lo, exec_lo, s16
	s_cbranch_vccnz .LBB30_478
; %bb.477:
	global_load_dword v3, v[0:1], off
	s_waitcnt vmcnt(0)
	v_cvt_f32_f16_e32 v4, v3
	v_cmp_o_f16_e32 vcc_lo, v3, v3
	v_bfe_u32 v5, v4, 16, 1
	v_add3_u32 v3, v4, v5, 0x7fff
	v_mov_b32_e32 v4, 0x7fc0
	v_cndmask_b32_sdwa v3, v4, v3, vcc_lo dst_sel:DWORD dst_unused:UNUSED_PAD src0_sel:DWORD src1_sel:WORD_1
.LBB30_478:
	s_mov_b32 s16, 0
.LBB30_479:
	s_andn2_b32 vcc_lo, exec_lo, s16
	s_cbranch_vccnz .LBB30_490
; %bb.480:
	s_cmp_lt_i32 s0, 6
	s_cbranch_scc1 .LBB30_483
; %bb.481:
	s_cmp_gt_i32 s0, 6
	s_cbranch_scc0 .LBB30_484
; %bb.482:
	global_load_dwordx2 v[3:4], v[0:1], off
	s_mov_b32 s16, 0
	s_waitcnt vmcnt(0)
	v_cvt_f32_f64_e32 v3, v[3:4]
	v_bfe_u32 v4, v3, 16, 1
	v_cmp_o_f32_e32 vcc_lo, v3, v3
	v_add3_u32 v3, v3, v4, 0x7fff
	v_mov_b32_e32 v4, 0x7fc0
	v_cndmask_b32_sdwa v3, v4, v3, vcc_lo dst_sel:DWORD dst_unused:UNUSED_PAD src0_sel:DWORD src1_sel:WORD_1
	s_branch .LBB30_485
.LBB30_483:
	s_mov_b32 s16, -1
                                        ; implicit-def: $vgpr3
	s_branch .LBB30_488
.LBB30_484:
	s_mov_b32 s16, -1
                                        ; implicit-def: $vgpr3
.LBB30_485:
	s_andn2_b32 vcc_lo, exec_lo, s16
	s_cbranch_vccnz .LBB30_487
; %bb.486:
	global_load_dword v3, v[0:1], off
	s_waitcnt vmcnt(0)
	v_bfe_u32 v4, v3, 16, 1
	v_cmp_o_f32_e32 vcc_lo, v3, v3
	v_add3_u32 v3, v3, v4, 0x7fff
	v_mov_b32_e32 v4, 0x7fc0
	v_cndmask_b32_sdwa v3, v4, v3, vcc_lo dst_sel:DWORD dst_unused:UNUSED_PAD src0_sel:DWORD src1_sel:WORD_1
.LBB30_487:
	s_mov_b32 s16, 0
.LBB30_488:
	s_andn2_b32 vcc_lo, exec_lo, s16
	s_cbranch_vccnz .LBB30_490
; %bb.489:
	global_load_ushort v3, v[0:1], off
	s_waitcnt vmcnt(0)
	v_cvt_f32_f16_e32 v4, v3
	v_cmp_o_f16_e32 vcc_lo, v3, v3
	v_bfe_u32 v5, v4, 16, 1
	v_add3_u32 v3, v4, v5, 0x7fff
	v_mov_b32_e32 v4, 0x7fc0
	v_cndmask_b32_sdwa v3, v4, v3, vcc_lo dst_sel:DWORD dst_unused:UNUSED_PAD src0_sel:DWORD src1_sel:WORD_1
.LBB30_490:
	s_mov_b32 s16, 0
.LBB30_491:
	s_andn2_b32 vcc_lo, exec_lo, s16
	s_cbranch_vccnz .LBB30_511
; %bb.492:
	s_cmp_lt_i32 s0, 2
	s_cbranch_scc1 .LBB30_496
; %bb.493:
	s_cmp_lt_i32 s0, 3
	s_cbranch_scc1 .LBB30_497
; %bb.494:
	s_cmp_gt_i32 s0, 3
	s_cbranch_scc0 .LBB30_498
; %bb.495:
	global_load_dwordx2 v[3:4], v[0:1], off
	s_mov_b32 s16, 0
	s_waitcnt vmcnt(0)
	v_xor_b32_e32 v5, v3, v4
	v_ffbh_i32_e32 v6, v4
	v_ashrrev_i32_e32 v5, 31, v5
	v_add_nc_u32_e32 v6, -1, v6
	v_add_nc_u32_e32 v5, 32, v5
	v_min_u32_e32 v5, v6, v5
	v_lshlrev_b64 v[3:4], v5, v[3:4]
	v_min_u32_e32 v3, 1, v3
	v_or_b32_e32 v3, v4, v3
	v_sub_nc_u32_e32 v4, 32, v5
	v_cvt_f32_i32_e32 v3, v3
	v_ldexp_f32 v3, v3, v4
	v_bfe_u32 v4, v3, 16, 1
	v_add3_u32 v3, v3, v4, 0x7fff
	v_lshrrev_b32_e32 v3, 16, v3
	s_branch .LBB30_499
.LBB30_496:
	s_mov_b32 s16, -1
                                        ; implicit-def: $vgpr3
	s_branch .LBB30_505
.LBB30_497:
	s_mov_b32 s16, -1
                                        ; implicit-def: $vgpr3
	s_branch .LBB30_502
.LBB30_498:
	s_mov_b32 s16, -1
                                        ; implicit-def: $vgpr3
.LBB30_499:
	s_andn2_b32 vcc_lo, exec_lo, s16
	s_cbranch_vccnz .LBB30_501
; %bb.500:
	global_load_dword v3, v[0:1], off
	s_waitcnt vmcnt(0)
	v_cvt_f32_i32_e32 v3, v3
	v_bfe_u32 v4, v3, 16, 1
	v_add3_u32 v3, v3, v4, 0x7fff
	v_lshrrev_b32_e32 v3, 16, v3
.LBB30_501:
	s_mov_b32 s16, 0
.LBB30_502:
	s_andn2_b32 vcc_lo, exec_lo, s16
	s_cbranch_vccnz .LBB30_504
; %bb.503:
	global_load_sshort v3, v[0:1], off
	s_waitcnt vmcnt(0)
	v_cvt_f32_i32_e32 v3, v3
	v_bfe_u32 v4, v3, 16, 1
	v_add3_u32 v3, v3, v4, 0x7fff
	v_lshrrev_b32_e32 v3, 16, v3
.LBB30_504:
	s_mov_b32 s16, 0
.LBB30_505:
	s_andn2_b32 vcc_lo, exec_lo, s16
	s_cbranch_vccnz .LBB30_511
; %bb.506:
	s_cmp_gt_i32 s0, 0
	s_mov_b32 s0, 0
	s_cbranch_scc0 .LBB30_508
; %bb.507:
	global_load_sbyte v3, v[0:1], off
	s_waitcnt vmcnt(0)
	v_cvt_f32_i32_e32 v3, v3
	v_bfe_u32 v4, v3, 16, 1
	v_add3_u32 v3, v3, v4, 0x7fff
	v_lshrrev_b32_e32 v3, 16, v3
	s_branch .LBB30_509
.LBB30_508:
	s_mov_b32 s0, -1
                                        ; implicit-def: $vgpr3
.LBB30_509:
	s_andn2_b32 vcc_lo, exec_lo, s0
	s_cbranch_vccnz .LBB30_511
; %bb.510:
	global_load_ubyte v0, v[0:1], off
	s_waitcnt vmcnt(0)
	v_cvt_f32_ubyte0_e32 v0, v0
	v_bfe_u32 v1, v0, 16, 1
	v_add3_u32 v0, v0, v1, 0x7fff
	v_lshrrev_b32_e32 v3, 16, v0
.LBB30_511:
	s_branch .LBB30_266
.LBB30_512:
	s_mov_b32 s18, 0
	s_mov_b32 s0, s7
.LBB30_513:
                                        ; implicit-def: $vgpr2
.LBB30_514:
	s_andn2_b32 s16, s7, exec_lo
	s_and_b32 s0, s0, exec_lo
	s_andn2_b32 s19, s13, exec_lo
	s_and_b32 s15, s15, exec_lo
	s_or_b32 s16, s16, s0
	s_or_b32 s15, s19, s15
	s_orn2_b32 s0, s18, exec_lo
.LBB30_515:
	s_or_b32 exec_lo, exec_lo, s17
	s_mov_b32 s18, 0
	s_mov_b32 s19, 0
	;; [unrolled: 1-line block ×3, first 2 shown]
                                        ; implicit-def: $vgpr0_vgpr1
                                        ; implicit-def: $vgpr4
	s_and_saveexec_b32 s17, s0
	s_cbranch_execz .LBB30_862
; %bb.516:
	s_mov_b32 s20, -1
	s_mov_b32 s0, s15
	s_mov_b32 s19, s16
	s_mov_b32 s18, exec_lo
	v_cmpx_gt_i32_e64 s12, v2
	s_cbranch_execz .LBB30_776
; %bb.517:
	v_mul_lo_u32 v0, v2, s3
	s_and_b32 s0, 0xffff, s5
	s_cmp_lt_i32 s0, 11
	v_ashrrev_i32_e32 v1, 31, v0
	v_add_co_u32 v0, vcc_lo, s10, v0
	v_add_co_ci_u32_e64 v1, null, s11, v1, vcc_lo
	s_cbranch_scc1 .LBB30_524
; %bb.518:
	s_cmp_gt_i32 s0, 25
	s_cbranch_scc0 .LBB30_525
; %bb.519:
	s_cmp_gt_i32 s0, 28
	s_cbranch_scc0 .LBB30_526
	;; [unrolled: 3-line block ×4, first 2 shown]
; %bb.522:
	s_cmp_eq_u32 s0, 46
	s_mov_b32 s21, 0
	s_cbranch_scc0 .LBB30_533
; %bb.523:
	global_load_dword v3, v[0:1], off
	s_mov_b32 s19, 0
	s_branch .LBB30_535
.LBB30_524:
	s_mov_b32 s21, -1
	s_mov_b32 s20, 0
	s_mov_b32 s19, s15
                                        ; implicit-def: $vgpr3
	s_branch .LBB30_600
.LBB30_525:
	s_mov_b32 s21, -1
	s_mov_b32 s20, 0
	s_mov_b32 s19, s15
                                        ; implicit-def: $vgpr3
	s_branch .LBB30_564
.LBB30_526:
	s_mov_b32 s21, -1
	s_mov_b32 s20, 0
	s_mov_b32 s19, s15
                                        ; implicit-def: $vgpr3
	s_branch .LBB30_545
.LBB30_527:
	s_mov_b32 s21, -1
	s_mov_b32 s20, 0
	s_mov_b32 s19, s15
                                        ; implicit-def: $vgpr3
	s_branch .LBB30_540
.LBB30_528:
	s_andn2_saveexec_b32 s21, s21
	s_cbranch_execz .LBB30_312
.LBB30_529:
	v_add_f32_e64 v5, 0x46000000, |v6|
	s_andn2_b32 s20, s20, exec_lo
	v_and_b32_e32 v5, 0xff, v5
	v_cmp_ne_u32_e32 vcc_lo, 0, v5
	s_and_b32 s22, vcc_lo, exec_lo
	s_or_b32 s20, s20, s22
	s_or_b32 exec_lo, exec_lo, s21
	v_mov_b32_e32 v7, 0
	s_and_saveexec_b32 s21, s20
	s_cbranch_execnz .LBB30_313
	s_branch .LBB30_314
.LBB30_530:
	s_mov_b32 s21, -1
	s_mov_b32 s20, 0
	s_mov_b32 s19, s15
	s_branch .LBB30_534
.LBB30_531:
	s_andn2_saveexec_b32 s21, s21
	s_cbranch_execz .LBB30_325
.LBB30_532:
	v_add_f32_e64 v5, 0x42800000, |v6|
	s_andn2_b32 s20, s20, exec_lo
	v_and_b32_e32 v5, 0xff, v5
	v_cmp_ne_u32_e32 vcc_lo, 0, v5
	s_and_b32 s22, vcc_lo, exec_lo
	s_or_b32 s20, s20, s22
	s_or_b32 exec_lo, exec_lo, s21
	v_mov_b32_e32 v7, 0
	s_and_saveexec_b32 s21, s20
	s_cbranch_execnz .LBB30_326
	s_branch .LBB30_327
.LBB30_533:
	s_mov_b32 s19, -1
	s_mov_b32 s20, 0
.LBB30_534:
                                        ; implicit-def: $vgpr3
.LBB30_535:
	s_and_b32 vcc_lo, exec_lo, s21
	s_cbranch_vccz .LBB30_539
; %bb.536:
	s_cmp_eq_u32 s0, 44
	s_cbranch_scc0 .LBB30_538
; %bb.537:
	global_load_ubyte v3, v[0:1], off
	s_mov_b32 s19, 0
	s_mov_b32 s20, -1
	s_waitcnt vmcnt(0)
	v_lshlrev_b32_e32 v4, 23, v3
	v_cmp_ne_u32_e32 vcc_lo, 0xff, v3
	v_cndmask_b32_e32 v4, 0x7f800001, v4, vcc_lo
	v_cmp_ne_u32_e32 vcc_lo, 0, v3
	v_cndmask_b32_e32 v3, 0x400000, v4, vcc_lo
	v_mov_b32_e32 v4, 0x7fc0
	v_cmp_o_f32_e32 vcc_lo, v3, v3
	v_add_nc_u32_e32 v3, 0x7fff, v3
	v_cndmask_b32_sdwa v3, v4, v3, vcc_lo dst_sel:DWORD dst_unused:UNUSED_PAD src0_sel:DWORD src1_sel:WORD_1
	s_branch .LBB30_539
.LBB30_538:
	s_mov_b32 s19, -1
                                        ; implicit-def: $vgpr3
.LBB30_539:
	s_mov_b32 s21, 0
.LBB30_540:
	s_and_b32 vcc_lo, exec_lo, s21
	s_cbranch_vccz .LBB30_544
; %bb.541:
	s_cmp_eq_u32 s0, 29
	s_cbranch_scc0 .LBB30_543
; %bb.542:
	global_load_dwordx2 v[3:4], v[0:1], off
	s_mov_b32 s20, -1
	s_mov_b32 s19, 0
	s_mov_b32 s21, 0
	s_waitcnt vmcnt(0)
	v_ffbh_u32_e32 v5, v4
	v_min_u32_e32 v5, 32, v5
	v_lshlrev_b64 v[3:4], v5, v[3:4]
	v_min_u32_e32 v3, 1, v3
	v_or_b32_e32 v3, v4, v3
	v_sub_nc_u32_e32 v4, 32, v5
	v_cvt_f32_u32_e32 v3, v3
	v_ldexp_f32 v3, v3, v4
	v_bfe_u32 v4, v3, 16, 1
	v_add3_u32 v3, v3, v4, 0x7fff
	v_lshrrev_b32_e32 v3, 16, v3
	s_branch .LBB30_545
.LBB30_543:
	s_mov_b32 s19, -1
                                        ; implicit-def: $vgpr3
.LBB30_544:
	s_mov_b32 s21, 0
.LBB30_545:
	s_and_b32 vcc_lo, exec_lo, s21
	s_cbranch_vccz .LBB30_563
; %bb.546:
	s_cmp_lt_i32 s0, 27
	s_cbranch_scc1 .LBB30_549
; %bb.547:
	s_cmp_gt_i32 s0, 27
	s_cbranch_scc0 .LBB30_550
; %bb.548:
	global_load_dword v3, v[0:1], off
	s_mov_b32 s20, 0
	s_waitcnt vmcnt(0)
	v_cvt_f32_u32_e32 v3, v3
	v_bfe_u32 v4, v3, 16, 1
	v_add3_u32 v3, v3, v4, 0x7fff
	v_lshrrev_b32_e32 v3, 16, v3
	s_branch .LBB30_551
.LBB30_549:
	s_mov_b32 s20, -1
                                        ; implicit-def: $vgpr3
	s_branch .LBB30_554
.LBB30_550:
	s_mov_b32 s20, -1
                                        ; implicit-def: $vgpr3
.LBB30_551:
	s_andn2_b32 vcc_lo, exec_lo, s20
	s_cbranch_vccnz .LBB30_553
; %bb.552:
	global_load_ushort v3, v[0:1], off
	s_waitcnt vmcnt(0)
	v_cvt_f32_u32_e32 v3, v3
	v_bfe_u32 v4, v3, 16, 1
	v_add3_u32 v3, v3, v4, 0x7fff
	v_lshrrev_b32_e32 v3, 16, v3
.LBB30_553:
	s_mov_b32 s20, 0
.LBB30_554:
	s_andn2_b32 vcc_lo, exec_lo, s20
	s_cbranch_vccnz .LBB30_562
; %bb.555:
	global_load_ubyte v3, v[0:1], off
	s_mov_b32 s20, 0
	s_mov_b32 s21, exec_lo
	s_waitcnt vmcnt(0)
	v_cmpx_lt_i16_e32 0x7f, v3
	s_xor_b32 s21, exec_lo, s21
	s_cbranch_execz .LBB30_576
; %bb.556:
	s_mov_b32 s20, -1
	s_mov_b32 s22, exec_lo
	v_cmpx_eq_u16_e32 0x80, v3
; %bb.557:
	s_xor_b32 s20, exec_lo, -1
; %bb.558:
	s_or_b32 exec_lo, exec_lo, s22
	s_and_b32 s20, s20, exec_lo
	s_or_saveexec_b32 s21, s21
	v_mov_b32_e32 v4, 0x7f800001
	s_xor_b32 exec_lo, exec_lo, s21
	s_cbranch_execnz .LBB30_577
.LBB30_559:
	s_or_b32 exec_lo, exec_lo, s21
	s_and_saveexec_b32 s21, s20
	s_cbranch_execz .LBB30_561
.LBB30_560:
	v_and_b32_e32 v4, 0xffff, v3
	v_lshlrev_b32_e32 v3, 24, v3
	v_and_b32_e32 v5, 7, v4
	v_bfe_u32 v8, v4, 3, 4
	v_and_b32_e32 v3, 0x80000000, v3
	v_ffbh_u32_e32 v6, v5
	v_cmp_eq_u32_e32 vcc_lo, 0, v8
	v_min_u32_e32 v6, 32, v6
	v_subrev_nc_u32_e32 v7, 28, v6
	v_sub_nc_u32_e32 v6, 29, v6
	v_lshlrev_b32_e32 v4, v7, v4
	v_cndmask_b32_e32 v6, v8, v6, vcc_lo
	v_and_b32_e32 v4, 7, v4
	v_cndmask_b32_e32 v4, v5, v4, vcc_lo
	v_lshl_add_u32 v5, v6, 23, 0x3b800000
	v_lshlrev_b32_e32 v4, 20, v4
	v_or3_b32 v4, v3, v5, v4
.LBB30_561:
	s_or_b32 exec_lo, exec_lo, s21
	v_bfe_u32 v3, v4, 16, 1
	v_cmp_o_f32_e32 vcc_lo, v4, v4
	v_add3_u32 v3, v4, v3, 0x7fff
	v_mov_b32_e32 v4, 0x7fc0
	v_cndmask_b32_sdwa v3, v4, v3, vcc_lo dst_sel:DWORD dst_unused:UNUSED_PAD src0_sel:DWORD src1_sel:WORD_1
.LBB30_562:
	s_mov_b32 s20, -1
.LBB30_563:
	s_mov_b32 s21, 0
.LBB30_564:
	s_and_b32 vcc_lo, exec_lo, s21
	s_cbranch_vccz .LBB30_599
; %bb.565:
	s_cmp_gt_i32 s0, 22
	s_cbranch_scc0 .LBB30_575
; %bb.566:
	s_cmp_lt_i32 s0, 24
	s_cbranch_scc1 .LBB30_578
; %bb.567:
	s_cmp_gt_i32 s0, 24
	s_cbranch_scc0 .LBB30_579
; %bb.568:
	global_load_ubyte v3, v[0:1], off
	s_mov_b32 s20, 0
	s_mov_b32 s21, exec_lo
	s_waitcnt vmcnt(0)
	v_cmpx_lt_i16_e32 0x7f, v3
	s_xor_b32 s21, exec_lo, s21
	s_cbranch_execz .LBB30_591
; %bb.569:
	s_mov_b32 s20, -1
	s_mov_b32 s22, exec_lo
	v_cmpx_eq_u16_e32 0x80, v3
; %bb.570:
	s_xor_b32 s20, exec_lo, -1
; %bb.571:
	s_or_b32 exec_lo, exec_lo, s22
	s_and_b32 s20, s20, exec_lo
	s_or_saveexec_b32 s21, s21
	v_mov_b32_e32 v4, 0x7f800001
	s_xor_b32 exec_lo, exec_lo, s21
	s_cbranch_execnz .LBB30_592
.LBB30_572:
	s_or_b32 exec_lo, exec_lo, s21
	s_and_saveexec_b32 s21, s20
	s_cbranch_execz .LBB30_574
.LBB30_573:
	v_and_b32_e32 v4, 0xffff, v3
	v_lshlrev_b32_e32 v3, 24, v3
	v_and_b32_e32 v5, 3, v4
	v_bfe_u32 v8, v4, 2, 5
	v_and_b32_e32 v3, 0x80000000, v3
	v_ffbh_u32_e32 v6, v5
	v_cmp_eq_u32_e32 vcc_lo, 0, v8
	v_min_u32_e32 v6, 32, v6
	v_subrev_nc_u32_e32 v7, 29, v6
	v_sub_nc_u32_e32 v6, 30, v6
	v_lshlrev_b32_e32 v4, v7, v4
	v_cndmask_b32_e32 v6, v8, v6, vcc_lo
	v_and_b32_e32 v4, 3, v4
	v_cndmask_b32_e32 v4, v5, v4, vcc_lo
	v_lshl_add_u32 v5, v6, 23, 0x37800000
	v_lshlrev_b32_e32 v4, 21, v4
	v_or3_b32 v4, v3, v5, v4
.LBB30_574:
	s_or_b32 exec_lo, exec_lo, s21
	v_bfe_u32 v3, v4, 16, 1
	v_cmp_o_f32_e32 vcc_lo, v4, v4
	s_mov_b32 s20, 0
	v_add3_u32 v3, v4, v3, 0x7fff
	v_mov_b32_e32 v4, 0x7fc0
	v_cndmask_b32_sdwa v3, v4, v3, vcc_lo dst_sel:DWORD dst_unused:UNUSED_PAD src0_sel:DWORD src1_sel:WORD_1
	s_branch .LBB30_580
.LBB30_575:
	s_mov_b32 s21, -1
                                        ; implicit-def: $vgpr3
	s_branch .LBB30_586
.LBB30_576:
	s_or_saveexec_b32 s21, s21
	v_mov_b32_e32 v4, 0x7f800001
	s_xor_b32 exec_lo, exec_lo, s21
	s_cbranch_execz .LBB30_559
.LBB30_577:
	v_cmp_ne_u16_e32 vcc_lo, 0, v3
	v_mov_b32_e32 v4, 0
	s_andn2_b32 s20, s20, exec_lo
	s_and_b32 s22, vcc_lo, exec_lo
	s_or_b32 s20, s20, s22
	s_or_b32 exec_lo, exec_lo, s21
	s_and_saveexec_b32 s21, s20
	s_cbranch_execnz .LBB30_560
	s_branch .LBB30_561
.LBB30_578:
	s_mov_b32 s20, -1
                                        ; implicit-def: $vgpr3
	s_branch .LBB30_583
.LBB30_579:
	s_mov_b32 s20, -1
                                        ; implicit-def: $vgpr3
.LBB30_580:
	s_and_b32 vcc_lo, exec_lo, s20
	s_cbranch_vccz .LBB30_582
; %bb.581:
	global_load_ubyte v3, v[0:1], off
	s_waitcnt vmcnt(0)
	v_lshlrev_b32_e32 v3, 24, v3
	v_and_b32_e32 v4, 0x7f000000, v3
	v_ffbh_u32_e32 v5, v4
	v_add_nc_u32_e32 v7, 0x1000000, v4
	v_cmp_ne_u32_e32 vcc_lo, 0, v4
	v_min_u32_e32 v5, 32, v5
	v_sub_nc_u32_e64 v5, v5, 4 clamp
	v_lshlrev_b32_e32 v6, v5, v4
	v_lshlrev_b32_e32 v5, 23, v5
	v_lshrrev_b32_e32 v6, 4, v6
	v_sub_nc_u32_e32 v5, v6, v5
	v_ashrrev_i32_e32 v6, 8, v7
	v_add_nc_u32_e32 v5, 0x3c000000, v5
	v_and_or_b32 v5, 0x7f800000, v6, v5
	v_cndmask_b32_e32 v4, 0, v5, vcc_lo
	v_and_or_b32 v3, 0x80000000, v3, v4
	v_bfe_u32 v4, v4, 16, 1
	v_cmp_o_f32_e32 vcc_lo, v3, v3
	v_add3_u32 v3, v3, v4, 0x7fff
	v_mov_b32_e32 v4, 0x7fc0
	v_cndmask_b32_sdwa v3, v4, v3, vcc_lo dst_sel:DWORD dst_unused:UNUSED_PAD src0_sel:DWORD src1_sel:WORD_1
.LBB30_582:
	s_mov_b32 s20, 0
.LBB30_583:
	s_andn2_b32 vcc_lo, exec_lo, s20
	s_cbranch_vccnz .LBB30_585
; %bb.584:
	global_load_ubyte v3, v[0:1], off
	s_waitcnt vmcnt(0)
	v_lshlrev_b32_e32 v4, 25, v3
	v_lshlrev_b16 v3, 8, v3
	v_lshrrev_b32_e32 v5, 4, v4
	v_and_or_b32 v6, 0x7f00, v3, 0.5
	v_cmp_gt_u32_e32 vcc_lo, 0x8000000, v4
	v_bfe_i32 v3, v3, 0, 16
	v_or_b32_e32 v5, 0x70000000, v5
	v_add_f32_e32 v6, -0.5, v6
	v_mul_f32_e32 v5, 0x7800000, v5
	v_cndmask_b32_e32 v4, v5, v6, vcc_lo
	v_and_or_b32 v3, 0x80000000, v3, v4
	v_bfe_u32 v4, v4, 16, 1
	v_cmp_o_f32_e32 vcc_lo, v3, v3
	v_add3_u32 v3, v3, v4, 0x7fff
	v_mov_b32_e32 v4, 0x7fc0
	v_cndmask_b32_sdwa v3, v4, v3, vcc_lo dst_sel:DWORD dst_unused:UNUSED_PAD src0_sel:DWORD src1_sel:WORD_1
.LBB30_585:
	s_mov_b32 s21, 0
	s_mov_b32 s20, -1
.LBB30_586:
	s_andn2_b32 vcc_lo, exec_lo, s21
	s_cbranch_vccnz .LBB30_599
; %bb.587:
	s_cmp_gt_i32 s0, 14
	s_cbranch_scc0 .LBB30_590
; %bb.588:
	s_cmp_eq_u32 s0, 15
	s_cbranch_scc0 .LBB30_593
; %bb.589:
	global_load_ushort v3, v[0:1], off
	s_mov_b32 s20, -1
	s_mov_b32 s19, 0
	s_branch .LBB30_594
.LBB30_590:
	s_mov_b32 s21, -1
                                        ; implicit-def: $vgpr3
	s_branch .LBB30_595
.LBB30_591:
	s_or_saveexec_b32 s21, s21
	v_mov_b32_e32 v4, 0x7f800001
	s_xor_b32 exec_lo, exec_lo, s21
	s_cbranch_execz .LBB30_572
.LBB30_592:
	v_cmp_ne_u16_e32 vcc_lo, 0, v3
	v_mov_b32_e32 v4, 0
	s_andn2_b32 s20, s20, exec_lo
	s_and_b32 s22, vcc_lo, exec_lo
	s_or_b32 s20, s20, s22
	s_or_b32 exec_lo, exec_lo, s21
	s_and_saveexec_b32 s21, s20
	s_cbranch_execnz .LBB30_573
	s_branch .LBB30_574
.LBB30_593:
	s_mov_b32 s19, -1
                                        ; implicit-def: $vgpr3
.LBB30_594:
	s_mov_b32 s21, 0
.LBB30_595:
	s_and_b32 vcc_lo, exec_lo, s21
	s_cbranch_vccz .LBB30_599
; %bb.596:
	s_cmp_eq_u32 s0, 11
	s_cbranch_scc0 .LBB30_598
; %bb.597:
	global_load_ubyte v3, v[0:1], off
	s_mov_b32 s19, 0
	s_mov_b32 s20, -1
	s_waitcnt vmcnt(0)
	v_cmp_ne_u16_e32 vcc_lo, 0, v3
	v_cndmask_b32_e64 v3, 0, 1.0, vcc_lo
	v_lshrrev_b32_e32 v3, 16, v3
	s_branch .LBB30_599
.LBB30_598:
	s_mov_b32 s19, -1
                                        ; implicit-def: $vgpr3
.LBB30_599:
	s_mov_b32 s21, 0
.LBB30_600:
	s_and_b32 vcc_lo, exec_lo, s21
	s_cbranch_vccz .LBB30_649
; %bb.601:
	s_cmp_lt_i32 s0, 5
	s_cbranch_scc1 .LBB30_606
; %bb.602:
	s_cmp_lt_i32 s0, 8
	s_cbranch_scc1 .LBB30_607
	;; [unrolled: 3-line block ×3, first 2 shown]
; %bb.604:
	s_cmp_gt_i32 s0, 9
	s_cbranch_scc0 .LBB30_609
; %bb.605:
	global_load_dwordx2 v[3:4], v[0:1], off
	s_mov_b32 s20, 0
	s_waitcnt vmcnt(0)
	v_cvt_f32_f64_e32 v3, v[3:4]
	v_bfe_u32 v4, v3, 16, 1
	v_cmp_o_f32_e32 vcc_lo, v3, v3
	v_add3_u32 v3, v3, v4, 0x7fff
	v_mov_b32_e32 v4, 0x7fc0
	v_cndmask_b32_sdwa v3, v4, v3, vcc_lo dst_sel:DWORD dst_unused:UNUSED_PAD src0_sel:DWORD src1_sel:WORD_1
	s_branch .LBB30_610
.LBB30_606:
	s_mov_b32 s20, -1
                                        ; implicit-def: $vgpr3
	s_branch .LBB30_628
.LBB30_607:
	s_mov_b32 s20, -1
                                        ; implicit-def: $vgpr3
	s_branch .LBB30_616
.LBB30_608:
	s_mov_b32 s20, -1
                                        ; implicit-def: $vgpr3
	s_branch .LBB30_613
.LBB30_609:
	s_mov_b32 s20, -1
                                        ; implicit-def: $vgpr3
.LBB30_610:
	s_andn2_b32 vcc_lo, exec_lo, s20
	s_cbranch_vccnz .LBB30_612
; %bb.611:
	global_load_dword v3, v[0:1], off
	s_waitcnt vmcnt(0)
	v_bfe_u32 v4, v3, 16, 1
	v_cmp_o_f32_e32 vcc_lo, v3, v3
	v_add3_u32 v3, v3, v4, 0x7fff
	v_mov_b32_e32 v4, 0x7fc0
	v_cndmask_b32_sdwa v3, v4, v3, vcc_lo dst_sel:DWORD dst_unused:UNUSED_PAD src0_sel:DWORD src1_sel:WORD_1
.LBB30_612:
	s_mov_b32 s20, 0
.LBB30_613:
	s_andn2_b32 vcc_lo, exec_lo, s20
	s_cbranch_vccnz .LBB30_615
; %bb.614:
	global_load_dword v3, v[0:1], off
	s_waitcnt vmcnt(0)
	v_cvt_f32_f16_e32 v4, v3
	v_cmp_o_f16_e32 vcc_lo, v3, v3
	v_bfe_u32 v5, v4, 16, 1
	v_add3_u32 v3, v4, v5, 0x7fff
	v_mov_b32_e32 v4, 0x7fc0
	v_cndmask_b32_sdwa v3, v4, v3, vcc_lo dst_sel:DWORD dst_unused:UNUSED_PAD src0_sel:DWORD src1_sel:WORD_1
.LBB30_615:
	s_mov_b32 s20, 0
.LBB30_616:
	s_andn2_b32 vcc_lo, exec_lo, s20
	s_cbranch_vccnz .LBB30_627
; %bb.617:
	s_cmp_lt_i32 s0, 6
	s_cbranch_scc1 .LBB30_620
; %bb.618:
	s_cmp_gt_i32 s0, 6
	s_cbranch_scc0 .LBB30_621
; %bb.619:
	global_load_dwordx2 v[3:4], v[0:1], off
	s_mov_b32 s20, 0
	s_waitcnt vmcnt(0)
	v_cvt_f32_f64_e32 v3, v[3:4]
	v_bfe_u32 v4, v3, 16, 1
	v_cmp_o_f32_e32 vcc_lo, v3, v3
	v_add3_u32 v3, v3, v4, 0x7fff
	v_mov_b32_e32 v4, 0x7fc0
	v_cndmask_b32_sdwa v3, v4, v3, vcc_lo dst_sel:DWORD dst_unused:UNUSED_PAD src0_sel:DWORD src1_sel:WORD_1
	s_branch .LBB30_622
.LBB30_620:
	s_mov_b32 s20, -1
                                        ; implicit-def: $vgpr3
	s_branch .LBB30_625
.LBB30_621:
	s_mov_b32 s20, -1
                                        ; implicit-def: $vgpr3
.LBB30_622:
	s_andn2_b32 vcc_lo, exec_lo, s20
	s_cbranch_vccnz .LBB30_624
; %bb.623:
	global_load_dword v3, v[0:1], off
	s_waitcnt vmcnt(0)
	v_bfe_u32 v4, v3, 16, 1
	v_cmp_o_f32_e32 vcc_lo, v3, v3
	v_add3_u32 v3, v3, v4, 0x7fff
	v_mov_b32_e32 v4, 0x7fc0
	v_cndmask_b32_sdwa v3, v4, v3, vcc_lo dst_sel:DWORD dst_unused:UNUSED_PAD src0_sel:DWORD src1_sel:WORD_1
.LBB30_624:
	s_mov_b32 s20, 0
.LBB30_625:
	s_andn2_b32 vcc_lo, exec_lo, s20
	s_cbranch_vccnz .LBB30_627
; %bb.626:
	global_load_ushort v3, v[0:1], off
	s_waitcnt vmcnt(0)
	v_cvt_f32_f16_e32 v4, v3
	v_cmp_o_f16_e32 vcc_lo, v3, v3
	v_bfe_u32 v5, v4, 16, 1
	v_add3_u32 v3, v4, v5, 0x7fff
	v_mov_b32_e32 v4, 0x7fc0
	v_cndmask_b32_sdwa v3, v4, v3, vcc_lo dst_sel:DWORD dst_unused:UNUSED_PAD src0_sel:DWORD src1_sel:WORD_1
.LBB30_627:
	s_mov_b32 s20, 0
.LBB30_628:
	s_andn2_b32 vcc_lo, exec_lo, s20
	s_cbranch_vccnz .LBB30_648
; %bb.629:
	s_cmp_lt_i32 s0, 2
	s_cbranch_scc1 .LBB30_633
; %bb.630:
	s_cmp_lt_i32 s0, 3
	s_cbranch_scc1 .LBB30_634
; %bb.631:
	s_cmp_gt_i32 s0, 3
	s_cbranch_scc0 .LBB30_635
; %bb.632:
	global_load_dwordx2 v[3:4], v[0:1], off
	s_mov_b32 s20, 0
	s_waitcnt vmcnt(0)
	v_xor_b32_e32 v5, v3, v4
	v_ffbh_i32_e32 v6, v4
	v_ashrrev_i32_e32 v5, 31, v5
	v_add_nc_u32_e32 v6, -1, v6
	v_add_nc_u32_e32 v5, 32, v5
	v_min_u32_e32 v5, v6, v5
	v_lshlrev_b64 v[3:4], v5, v[3:4]
	v_min_u32_e32 v3, 1, v3
	v_or_b32_e32 v3, v4, v3
	v_sub_nc_u32_e32 v4, 32, v5
	v_cvt_f32_i32_e32 v3, v3
	v_ldexp_f32 v3, v3, v4
	v_bfe_u32 v4, v3, 16, 1
	v_add3_u32 v3, v3, v4, 0x7fff
	v_lshrrev_b32_e32 v3, 16, v3
	s_branch .LBB30_636
.LBB30_633:
	s_mov_b32 s20, -1
                                        ; implicit-def: $vgpr3
	s_branch .LBB30_642
.LBB30_634:
	s_mov_b32 s20, -1
                                        ; implicit-def: $vgpr3
	s_branch .LBB30_639
.LBB30_635:
	s_mov_b32 s20, -1
                                        ; implicit-def: $vgpr3
.LBB30_636:
	s_andn2_b32 vcc_lo, exec_lo, s20
	s_cbranch_vccnz .LBB30_638
; %bb.637:
	global_load_dword v3, v[0:1], off
	s_waitcnt vmcnt(0)
	v_cvt_f32_i32_e32 v3, v3
	v_bfe_u32 v4, v3, 16, 1
	v_add3_u32 v3, v3, v4, 0x7fff
	v_lshrrev_b32_e32 v3, 16, v3
.LBB30_638:
	s_mov_b32 s20, 0
.LBB30_639:
	s_andn2_b32 vcc_lo, exec_lo, s20
	s_cbranch_vccnz .LBB30_641
; %bb.640:
	global_load_sshort v3, v[0:1], off
	s_waitcnt vmcnt(0)
	v_cvt_f32_i32_e32 v3, v3
	v_bfe_u32 v4, v3, 16, 1
	v_add3_u32 v3, v3, v4, 0x7fff
	v_lshrrev_b32_e32 v3, 16, v3
.LBB30_641:
	s_mov_b32 s20, 0
.LBB30_642:
	s_andn2_b32 vcc_lo, exec_lo, s20
	s_cbranch_vccnz .LBB30_648
; %bb.643:
	s_cmp_gt_i32 s0, 0
	s_mov_b32 s0, 0
	s_cbranch_scc0 .LBB30_645
; %bb.644:
	global_load_sbyte v3, v[0:1], off
	s_waitcnt vmcnt(0)
	v_cvt_f32_i32_e32 v3, v3
	v_bfe_u32 v4, v3, 16, 1
	v_add3_u32 v3, v3, v4, 0x7fff
	v_lshrrev_b32_e32 v3, 16, v3
	s_branch .LBB30_646
.LBB30_645:
	s_mov_b32 s0, -1
                                        ; implicit-def: $vgpr3
.LBB30_646:
	s_andn2_b32 vcc_lo, exec_lo, s0
	s_cbranch_vccnz .LBB30_648
; %bb.647:
	global_load_ubyte v0, v[0:1], off
	s_waitcnt vmcnt(0)
	v_cvt_f32_ubyte0_e32 v0, v0
	v_bfe_u32 v1, v0, 16, 1
	v_add3_u32 v0, v0, v1, 0x7fff
	v_lshrrev_b32_e32 v3, 16, v0
.LBB30_648:
	s_mov_b32 s20, -1
.LBB30_649:
	s_andn2_b32 vcc_lo, exec_lo, s20
	s_cbranch_vccnz .LBB30_657
; %bb.650:
	s_waitcnt vmcnt(0)
	v_lshlrev_b32_e32 v0, 16, v3
	s_mov_b32 s0, 0x3b2d2a58
	s_and_b32 s20, s1, 0xff
	s_cmp_lt_i32 s20, 11
	v_rcp_f32_e64 v1, |v0|
	v_cmp_gt_f32_e64 vcc_lo, |v0|, 1.0
	v_cndmask_b32_e64 v1, |v0|, v1, vcc_lo
	v_mul_f32_e32 v3, v1, v1
	v_fmaak_f32 v4, s0, v3, 0xbc7a590c
	v_fmaak_f32 v4, v3, v4, 0x3d29fb3f
	;; [unrolled: 1-line block ×7, first 2 shown]
	v_mul_f32_e32 v3, v3, v4
	v_mov_b32_e32 v4, 0x7fc0
	v_fmac_f32_e32 v1, v1, v3
	v_sub_f32_e32 v3, 0x3fc90fdb, v1
	v_cndmask_b32_e32 v1, v1, v3, vcc_lo
	v_bfi_b32 v0, 0x7fffffff, v1, v0
	v_mul_lo_u32 v1, v2, s2
	v_bfe_u32 v3, v0, 16, 1
	v_cmp_o_f32_e32 vcc_lo, v0, v0
	v_ashrrev_i32_e32 v5, 31, v1
	v_add3_u32 v3, v0, v3, 0x7fff
	v_add_co_u32 v0, s0, s8, v1
	v_add_co_ci_u32_e64 v1, null, s9, v5, s0
	v_cndmask_b32_sdwa v3, v4, v3, vcc_lo dst_sel:DWORD dst_unused:UNUSED_PAD src0_sel:DWORD src1_sel:WORD_1
	s_cbranch_scc1 .LBB30_658
; %bb.651:
	s_and_b32 s21, 0xffff, s20
	s_cmp_gt_i32 s21, 25
	s_cbranch_scc0 .LBB30_659
; %bb.652:
	s_cmp_gt_i32 s21, 28
	s_cbranch_scc0 .LBB30_660
; %bb.653:
	;; [unrolled: 3-line block ×4, first 2 shown]
	s_mov_b32 s23, 0
	s_mov_b32 s0, -1
	s_cmp_eq_u32 s21, 46
	s_mov_b32 s22, 0
	s_cbranch_scc0 .LBB30_663
; %bb.656:
	v_and_b32_e32 v4, 0xffff, v3
	s_mov_b32 s22, -1
	s_mov_b32 s0, 0
	global_store_dword v[0:1], v4, off
	s_branch .LBB30_663
.LBB30_657:
	s_mov_b32 s20, 0
	s_mov_b32 s0, s16
	s_branch .LBB30_774
.LBB30_658:
	s_mov_b32 s21, -1
	s_mov_b32 s22, 0
	s_mov_b32 s0, s16
	s_branch .LBB30_732
.LBB30_659:
	s_mov_b32 s23, -1
	s_mov_b32 s22, 0
	s_mov_b32 s0, s16
	s_branch .LBB30_690
.LBB30_660:
	s_mov_b32 s23, -1
	s_mov_b32 s22, 0
	s_mov_b32 s0, s16
	s_branch .LBB30_673
.LBB30_661:
	s_mov_b32 s23, -1
	s_mov_b32 s22, 0
	s_mov_b32 s0, s16
	s_branch .LBB30_669
.LBB30_662:
	s_mov_b32 s23, -1
	s_mov_b32 s22, 0
	s_mov_b32 s0, s16
.LBB30_663:
	s_and_b32 vcc_lo, exec_lo, s23
	s_cbranch_vccz .LBB30_668
; %bb.664:
	s_cmp_eq_u32 s21, 44
	s_mov_b32 s0, -1
	s_cbranch_scc0 .LBB30_668
; %bb.665:
	v_and_b32_e32 v4, 0xffff, v3
	v_mov_b32_e32 v5, 0xff
	s_mov_b32 s22, exec_lo
	v_bfe_u32 v6, v4, 7, 8
	v_cmpx_ne_u32_e32 0xff, v6
	s_cbranch_execz .LBB30_667
; %bb.666:
	v_lshlrev_b32_e32 v5, 16, v4
	v_and_b32_e32 v7, 64, v4
	v_lshrrev_b32_e32 v4, 7, v4
	v_and_or_b32 v5, 0x3f0000, v5, v6
	v_cmp_ne_u32_e32 vcc_lo, 0, v7
	v_cmp_ne_u32_e64 s0, 0, v5
	s_and_b32 s0, vcc_lo, s0
	v_cndmask_b32_e64 v5, 0, 1, s0
	v_add_nc_u32_e32 v5, v4, v5
.LBB30_667:
	s_or_b32 exec_lo, exec_lo, s22
	s_mov_b32 s22, -1
	s_mov_b32 s0, 0
	global_store_byte v[0:1], v5, off
.LBB30_668:
	s_mov_b32 s23, 0
.LBB30_669:
	s_and_b32 vcc_lo, exec_lo, s23
	s_cbranch_vccz .LBB30_672
; %bb.670:
	s_cmp_eq_u32 s21, 29
	s_mov_b32 s0, -1
	s_cbranch_scc0 .LBB30_672
; %bb.671:
	v_lshlrev_b32_e32 v4, 16, v3
	s_mov_b32 s22, -1
	s_mov_b32 s0, 0
	s_mov_b32 s23, 0
	v_trunc_f32_e32 v4, v4
	v_mul_f32_e32 v5, 0x2f800000, v4
	v_floor_f32_e32 v5, v5
	v_fmamk_f32 v4, v5, 0xcf800000, v4
	v_cvt_u32_f32_e32 v5, v5
	v_cvt_u32_f32_e32 v4, v4
	global_store_dwordx2 v[0:1], v[4:5], off
	s_branch .LBB30_673
.LBB30_672:
	s_mov_b32 s23, 0
.LBB30_673:
	s_and_b32 vcc_lo, exec_lo, s23
	s_cbranch_vccz .LBB30_689
; %bb.674:
	s_cmp_lt_i32 s21, 27
	s_mov_b32 s22, -1
	s_cbranch_scc1 .LBB30_680
; %bb.675:
	s_cmp_gt_i32 s21, 27
	s_cbranch_scc0 .LBB30_677
; %bb.676:
	v_lshlrev_b32_e32 v4, 16, v3
	s_mov_b32 s22, 0
	v_cvt_u32_f32_e32 v4, v4
	global_store_dword v[0:1], v4, off
.LBB30_677:
	s_andn2_b32 vcc_lo, exec_lo, s22
	s_cbranch_vccnz .LBB30_679
; %bb.678:
	v_lshlrev_b32_e32 v4, 16, v3
	v_cvt_u32_f32_e32 v4, v4
	global_store_short v[0:1], v4, off
.LBB30_679:
	s_mov_b32 s22, 0
.LBB30_680:
	s_andn2_b32 vcc_lo, exec_lo, s22
	s_cbranch_vccnz .LBB30_688
; %bb.681:
	v_lshlrev_b32_e32 v6, 16, v3
	v_mov_b32_e32 v7, 0x80
	s_mov_b32 s22, exec_lo
	v_and_b32_e32 v5, 0x7fffffff, v6
	v_cmpx_gt_u32_e32 0x43800000, v5
	s_cbranch_execz .LBB30_687
; %bb.682:
	v_and_b32_e32 v4, 0xffff, v3
	v_cmp_lt_u32_e32 vcc_lo, 0x3bffffff, v5
	s_mov_b32 s23, 0
                                        ; implicit-def: $vgpr5
	s_and_saveexec_b32 s24, vcc_lo
	s_xor_b32 s24, exec_lo, s24
	s_cbranch_execz .LBB30_789
; %bb.683:
	v_bfe_u32 v5, v4, 4, 1
	s_mov_b32 s23, exec_lo
	v_add3_u32 v5, v6, v5, 0x487ffff
                                        ; implicit-def: $vgpr6
	v_lshrrev_b32_e32 v5, 20, v5
	s_andn2_saveexec_b32 s24, s24
	s_cbranch_execnz .LBB30_790
.LBB30_684:
	s_or_b32 exec_lo, exec_lo, s24
	v_mov_b32_e32 v7, 0
	s_and_saveexec_b32 s24, s23
.LBB30_685:
	v_lshrrev_b32_e32 v4, 8, v4
	v_and_or_b32 v7, 0x80, v4, v5
.LBB30_686:
	s_or_b32 exec_lo, exec_lo, s24
.LBB30_687:
	s_or_b32 exec_lo, exec_lo, s22
	global_store_byte v[0:1], v7, off
.LBB30_688:
	s_mov_b32 s22, -1
.LBB30_689:
	s_mov_b32 s23, 0
.LBB30_690:
	s_and_b32 vcc_lo, exec_lo, s23
	s_cbranch_vccz .LBB30_731
; %bb.691:
	s_cmp_gt_i32 s21, 22
	s_mov_b32 s23, -1
	s_cbranch_scc0 .LBB30_723
; %bb.692:
	s_cmp_lt_i32 s21, 24
	s_mov_b32 s22, -1
	s_cbranch_scc1 .LBB30_712
; %bb.693:
	s_cmp_gt_i32 s21, 24
	s_cbranch_scc0 .LBB30_701
; %bb.694:
	v_lshlrev_b32_e32 v6, 16, v3
	v_mov_b32_e32 v7, 0x80
	s_mov_b32 s22, exec_lo
	v_and_b32_e32 v5, 0x7fffffff, v6
	v_cmpx_gt_u32_e32 0x47800000, v5
	s_cbranch_execz .LBB30_700
; %bb.695:
	v_and_b32_e32 v4, 0xffff, v3
	v_cmp_lt_u32_e32 vcc_lo, 0x37ffffff, v5
	s_mov_b32 s23, 0
                                        ; implicit-def: $vgpr5
	s_and_saveexec_b32 s24, vcc_lo
	s_xor_b32 s24, exec_lo, s24
	s_cbranch_execz .LBB30_792
; %bb.696:
	v_bfe_u32 v5, v4, 5, 1
	s_mov_b32 s23, exec_lo
	v_add3_u32 v5, v6, v5, 0x88fffff
                                        ; implicit-def: $vgpr6
	v_lshrrev_b32_e32 v5, 21, v5
	s_andn2_saveexec_b32 s24, s24
	s_cbranch_execnz .LBB30_793
.LBB30_697:
	s_or_b32 exec_lo, exec_lo, s24
	v_mov_b32_e32 v7, 0
	s_and_saveexec_b32 s24, s23
.LBB30_698:
	v_lshrrev_b32_e32 v4, 8, v4
	v_and_or_b32 v7, 0x80, v4, v5
.LBB30_699:
	s_or_b32 exec_lo, exec_lo, s24
.LBB30_700:
	s_or_b32 exec_lo, exec_lo, s22
	s_mov_b32 s22, 0
	global_store_byte v[0:1], v7, off
.LBB30_701:
	s_and_b32 vcc_lo, exec_lo, s22
	s_cbranch_vccz .LBB30_711
; %bb.702:
	v_lshlrev_b32_e32 v6, 16, v3
	v_and_b32_e32 v4, 0xffff, v3
	s_mov_b32 s22, exec_lo
                                        ; implicit-def: $vgpr5
	v_and_b32_e32 v7, 0x7fffffff, v6
	v_cmpx_gt_u32_e32 0x43f00000, v7
	s_xor_b32 s22, exec_lo, s22
	s_cbranch_execz .LBB30_708
; %bb.703:
	s_mov_b32 s23, exec_lo
                                        ; implicit-def: $vgpr5
	v_cmpx_lt_u32_e32 0x3c7fffff, v7
	s_xor_b32 s23, exec_lo, s23
; %bb.704:
	v_bfe_u32 v5, v4, 4, 1
	v_add3_u32 v5, v6, v5, 0x407ffff
	v_and_b32_e32 v6, 0xff00000, v5
	v_lshrrev_b32_e32 v5, 20, v5
	v_cmp_ne_u32_e32 vcc_lo, 0x7f00000, v6
                                        ; implicit-def: $vgpr6
	v_cndmask_b32_e32 v5, 0x7e, v5, vcc_lo
; %bb.705:
	s_andn2_saveexec_b32 s23, s23
; %bb.706:
	v_add_f32_e64 v5, 0x46800000, |v6|
; %bb.707:
	s_or_b32 exec_lo, exec_lo, s23
                                        ; implicit-def: $vgpr7
.LBB30_708:
	s_andn2_saveexec_b32 s22, s22
; %bb.709:
	v_mov_b32_e32 v5, 0x7f
	v_cmp_lt_u32_e32 vcc_lo, 0x7f800000, v7
	v_cndmask_b32_e32 v5, 0x7e, v5, vcc_lo
; %bb.710:
	s_or_b32 exec_lo, exec_lo, s22
	v_lshrrev_b32_e32 v4, 8, v4
	v_and_or_b32 v4, 0x80, v4, v5
	global_store_byte v[0:1], v4, off
.LBB30_711:
	s_mov_b32 s22, 0
.LBB30_712:
	s_andn2_b32 vcc_lo, exec_lo, s22
	s_cbranch_vccnz .LBB30_722
; %bb.713:
	v_lshlrev_b32_e32 v6, 16, v3
	v_and_b32_e32 v4, 0xffff, v3
	s_mov_b32 s22, exec_lo
                                        ; implicit-def: $vgpr5
	v_and_b32_e32 v7, 0x7fffffff, v6
	v_cmpx_gt_u32_e32 0x47800000, v7
	s_xor_b32 s22, exec_lo, s22
	s_cbranch_execz .LBB30_719
; %bb.714:
	s_mov_b32 s23, exec_lo
                                        ; implicit-def: $vgpr5
	v_cmpx_lt_u32_e32 0x387fffff, v7
	s_xor_b32 s23, exec_lo, s23
; %bb.715:
	v_bfe_u32 v5, v4, 5, 1
	v_add3_u32 v5, v6, v5, 0x80fffff
                                        ; implicit-def: $vgpr6
	v_lshrrev_b32_e32 v5, 21, v5
; %bb.716:
	s_andn2_saveexec_b32 s23, s23
; %bb.717:
	v_add_f32_e64 v5, 0x43000000, |v6|
; %bb.718:
	s_or_b32 exec_lo, exec_lo, s23
                                        ; implicit-def: $vgpr7
.LBB30_719:
	s_andn2_saveexec_b32 s22, s22
; %bb.720:
	v_mov_b32_e32 v5, 0x7f
	v_cmp_lt_u32_e32 vcc_lo, 0x7f800000, v7
	v_cndmask_b32_e32 v5, 0x7c, v5, vcc_lo
; %bb.721:
	s_or_b32 exec_lo, exec_lo, s22
	v_lshrrev_b32_e32 v4, 8, v4
	v_and_or_b32 v4, 0x80, v4, v5
	global_store_byte v[0:1], v4, off
.LBB30_722:
	s_mov_b32 s23, 0
	s_mov_b32 s22, -1
.LBB30_723:
	s_andn2_b32 vcc_lo, exec_lo, s23
	s_cbranch_vccnz .LBB30_731
; %bb.724:
	s_cmp_gt_i32 s21, 14
	s_mov_b32 s23, -1
	s_cbranch_scc0 .LBB30_728
; %bb.725:
	s_cmp_eq_u32 s21, 15
	s_mov_b32 s0, -1
	s_cbranch_scc0 .LBB30_727
; %bb.726:
	s_mov_b32 s22, -1
	s_mov_b32 s0, 0
	global_store_short v[0:1], v3, off
.LBB30_727:
	s_mov_b32 s23, 0
.LBB30_728:
	s_and_b32 vcc_lo, exec_lo, s23
	s_cbranch_vccz .LBB30_731
; %bb.729:
	s_cmp_eq_u32 s21, 11
	s_mov_b32 s0, -1
	s_cbranch_scc0 .LBB30_731
; %bb.730:
	v_and_b32_e32 v4, 0x7fff, v3
	s_mov_b32 s0, 0
	s_mov_b32 s22, -1
	v_cmp_ne_u16_e32 vcc_lo, 0, v4
	v_cndmask_b32_e64 v4, 0, 1, vcc_lo
	global_store_byte v[0:1], v4, off
.LBB30_731:
	s_mov_b32 s21, 0
.LBB30_732:
	s_and_b32 vcc_lo, exec_lo, s21
	s_cbranch_vccz .LBB30_771
; %bb.733:
	s_and_b32 s20, 0xffff, s20
	s_mov_b32 s21, -1
	s_cmp_lt_i32 s20, 5
	s_cbranch_scc1 .LBB30_754
; %bb.734:
	s_cmp_lt_i32 s20, 8
	s_cbranch_scc1 .LBB30_744
; %bb.735:
	;; [unrolled: 3-line block ×3, first 2 shown]
	s_cmp_gt_i32 s20, 9
	s_cbranch_scc0 .LBB30_738
; %bb.737:
	v_lshlrev_b32_e32 v4, 16, v3
	v_mov_b32_e32 v6, 0
	s_mov_b32 s21, 0
	v_cvt_f64_f32_e32 v[4:5], v4
	v_mov_b32_e32 v7, v6
	global_store_dwordx4 v[0:1], v[4:7], off
.LBB30_738:
	s_andn2_b32 vcc_lo, exec_lo, s21
	s_cbranch_vccnz .LBB30_740
; %bb.739:
	v_lshlrev_b32_e32 v4, 16, v3
	v_mov_b32_e32 v5, 0
	global_store_dwordx2 v[0:1], v[4:5], off
.LBB30_740:
	s_mov_b32 s21, 0
.LBB30_741:
	s_andn2_b32 vcc_lo, exec_lo, s21
	s_cbranch_vccnz .LBB30_743
; %bb.742:
	v_lshlrev_b32_e32 v4, 16, v3
	v_cvt_f16_f32_e32 v4, v4
	v_and_b32_e32 v4, 0xffff, v4
	global_store_dword v[0:1], v4, off
.LBB30_743:
	s_mov_b32 s21, 0
.LBB30_744:
	s_andn2_b32 vcc_lo, exec_lo, s21
	s_cbranch_vccnz .LBB30_753
; %bb.745:
	s_cmp_lt_i32 s20, 6
	s_mov_b32 s21, -1
	s_cbranch_scc1 .LBB30_751
; %bb.746:
	s_cmp_gt_i32 s20, 6
	s_cbranch_scc0 .LBB30_748
; %bb.747:
	v_lshlrev_b32_e32 v4, 16, v3
	s_mov_b32 s21, 0
	v_cvt_f64_f32_e32 v[4:5], v4
	global_store_dwordx2 v[0:1], v[4:5], off
.LBB30_748:
	s_andn2_b32 vcc_lo, exec_lo, s21
	s_cbranch_vccnz .LBB30_750
; %bb.749:
	v_lshlrev_b32_e32 v4, 16, v3
	global_store_dword v[0:1], v4, off
.LBB30_750:
	s_mov_b32 s21, 0
.LBB30_751:
	s_andn2_b32 vcc_lo, exec_lo, s21
	s_cbranch_vccnz .LBB30_753
; %bb.752:
	v_lshlrev_b32_e32 v4, 16, v3
	v_cvt_f16_f32_e32 v4, v4
	global_store_short v[0:1], v4, off
.LBB30_753:
	s_mov_b32 s21, 0
.LBB30_754:
	s_andn2_b32 vcc_lo, exec_lo, s21
	s_cbranch_vccnz .LBB30_770
; %bb.755:
	s_cmp_lt_i32 s20, 2
	s_mov_b32 s21, -1
	s_cbranch_scc1 .LBB30_765
; %bb.756:
	s_cmp_lt_i32 s20, 3
	s_cbranch_scc1 .LBB30_762
; %bb.757:
	s_cmp_gt_i32 s20, 3
	s_cbranch_scc0 .LBB30_759
; %bb.758:
	v_lshlrev_b32_e32 v4, 16, v3
	s_mov_b32 s21, 0
	v_trunc_f32_e32 v4, v4
	v_mul_f32_e64 v5, 0x2f800000, |v4|
	v_ashrrev_i32_e32 v7, 31, v4
	v_floor_f32_e32 v5, v5
	v_fma_f32 v6, 0xcf800000, v5, |v4|
	v_cvt_u32_f32_e32 v5, v5
	v_cvt_u32_f32_e32 v4, v6
	v_xor_b32_e32 v5, v5, v7
	v_xor_b32_e32 v4, v4, v7
	v_sub_co_u32 v4, vcc_lo, v4, v7
	v_sub_co_ci_u32_e64 v5, null, v5, v7, vcc_lo
	global_store_dwordx2 v[0:1], v[4:5], off
.LBB30_759:
	s_andn2_b32 vcc_lo, exec_lo, s21
	s_cbranch_vccnz .LBB30_761
; %bb.760:
	v_lshlrev_b32_e32 v4, 16, v3
	v_cvt_i32_f32_e32 v4, v4
	global_store_dword v[0:1], v4, off
.LBB30_761:
	s_mov_b32 s21, 0
.LBB30_762:
	s_andn2_b32 vcc_lo, exec_lo, s21
	s_cbranch_vccnz .LBB30_764
; %bb.763:
	v_lshlrev_b32_e32 v4, 16, v3
	v_cvt_i32_f32_e32 v4, v4
	global_store_short v[0:1], v4, off
.LBB30_764:
	s_mov_b32 s21, 0
.LBB30_765:
	s_andn2_b32 vcc_lo, exec_lo, s21
	s_cbranch_vccnz .LBB30_770
; %bb.766:
	v_lshlrev_b32_e32 v3, 16, v3
	s_cmp_gt_i32 s20, 0
	s_mov_b32 s20, -1
	s_cbranch_scc0 .LBB30_768
; %bb.767:
	v_cvt_i32_f32_e32 v4, v3
	s_mov_b32 s20, 0
	global_store_byte v[0:1], v4, off
.LBB30_768:
	s_andn2_b32 vcc_lo, exec_lo, s20
	s_cbranch_vccnz .LBB30_770
; %bb.769:
	v_trunc_f32_e32 v3, v3
	v_mul_f32_e64 v4, 0x2f800000, |v3|
	v_floor_f32_e32 v4, v4
	v_fma_f32 v4, 0xcf800000, v4, |v3|
	v_ashrrev_i32_e32 v3, 31, v3
	v_cvt_u32_f32_e32 v4, v4
	v_xor_b32_e32 v4, v4, v3
	v_sub_nc_u32_e32 v3, v4, v3
	global_store_byte v[0:1], v3, off
.LBB30_770:
	s_mov_b32 s22, -1
.LBB30_771:
	s_andn2_b32 vcc_lo, exec_lo, s22
	s_cbranch_vccnz .LBB30_773
; %bb.772:
	v_add_nc_u32_e32 v2, 0x80, v2
	s_mov_b32 s20, -1
	s_branch .LBB30_775
.LBB30_773:
	s_mov_b32 s20, 0
.LBB30_774:
                                        ; implicit-def: $vgpr2
.LBB30_775:
	s_andn2_b32 s21, s16, exec_lo
	s_and_b32 s0, s0, exec_lo
	s_andn2_b32 s22, s15, exec_lo
	s_and_b32 s23, s19, exec_lo
	s_or_b32 s19, s21, s0
	s_or_b32 s0, s22, s23
	s_orn2_b32 s20, s20, exec_lo
.LBB30_776:
	s_or_b32 exec_lo, exec_lo, s18
	s_mov_b32 s21, 0
	s_mov_b32 s22, 0
	;; [unrolled: 1-line block ×3, first 2 shown]
                                        ; implicit-def: $vgpr0_vgpr1
                                        ; implicit-def: $vgpr4
	s_and_saveexec_b32 s18, s20
	s_cbranch_execz .LBB30_861
; %bb.777:
	v_cmp_gt_i32_e32 vcc_lo, s12, v2
	s_mov_b32 s20, 0
	s_mov_b32 s21, s0
	;; [unrolled: 1-line block ×3, first 2 shown]
                                        ; implicit-def: $vgpr0_vgpr1
                                        ; implicit-def: $vgpr4
	s_and_saveexec_b32 s12, vcc_lo
	s_cbranch_execz .LBB30_860
; %bb.778:
	v_mul_lo_u32 v0, v2, s3
	s_and_b32 s20, 0xffff, s5
	s_cmp_lt_i32 s20, 11
	v_ashrrev_i32_e32 v1, 31, v0
	v_add_co_u32 v0, vcc_lo, s10, v0
	v_add_co_ci_u32_e64 v1, null, s11, v1, vcc_lo
	s_cbranch_scc1 .LBB30_785
; %bb.779:
	s_cmp_gt_i32 s20, 25
	s_cbranch_scc0 .LBB30_786
; %bb.780:
	s_cmp_gt_i32 s20, 28
	s_cbranch_scc0 .LBB30_787
	;; [unrolled: 3-line block ×4, first 2 shown]
; %bb.783:
	s_cmp_eq_u32 s20, 46
	s_cbranch_scc0 .LBB30_794
; %bb.784:
	global_load_dword v4, v[0:1], off
	s_mov_b32 s21, 0
	s_mov_b32 s23, -1
	s_branch .LBB30_796
.LBB30_785:
	s_mov_b32 s20, -1
	s_mov_b32 s21, s0
                                        ; implicit-def: $vgpr4
	s_branch .LBB30_859
.LBB30_786:
	s_mov_b32 s24, -1
	s_mov_b32 s21, s0
                                        ; implicit-def: $vgpr4
	s_branch .LBB30_825
.LBB30_787:
	s_mov_b32 s24, -1
	s_mov_b32 s21, s0
                                        ; implicit-def: $vgpr4
	s_branch .LBB30_806
.LBB30_788:
	s_mov_b32 s24, -1
	s_mov_b32 s21, s0
                                        ; implicit-def: $vgpr4
	s_branch .LBB30_801
.LBB30_789:
	s_andn2_saveexec_b32 s24, s24
	s_cbranch_execz .LBB30_684
.LBB30_790:
	v_add_f32_e64 v5, 0x46000000, |v6|
	s_andn2_b32 s23, s23, exec_lo
	v_and_b32_e32 v5, 0xff, v5
	v_cmp_ne_u32_e32 vcc_lo, 0, v5
	s_and_b32 s25, vcc_lo, exec_lo
	s_or_b32 s23, s23, s25
	s_or_b32 exec_lo, exec_lo, s24
	v_mov_b32_e32 v7, 0
	s_and_saveexec_b32 s24, s23
	s_cbranch_execnz .LBB30_685
	s_branch .LBB30_686
.LBB30_791:
	s_mov_b32 s24, -1
	s_mov_b32 s21, s0
	s_branch .LBB30_795
.LBB30_792:
	s_andn2_saveexec_b32 s24, s24
	s_cbranch_execz .LBB30_697
.LBB30_793:
	v_add_f32_e64 v5, 0x42800000, |v6|
	s_andn2_b32 s23, s23, exec_lo
	v_and_b32_e32 v5, 0xff, v5
	v_cmp_ne_u32_e32 vcc_lo, 0, v5
	s_and_b32 s25, vcc_lo, exec_lo
	s_or_b32 s23, s23, s25
	s_or_b32 exec_lo, exec_lo, s24
	v_mov_b32_e32 v7, 0
	s_and_saveexec_b32 s24, s23
	s_cbranch_execnz .LBB30_698
	s_branch .LBB30_699
.LBB30_794:
	s_mov_b32 s21, -1
.LBB30_795:
                                        ; implicit-def: $vgpr4
.LBB30_796:
	s_and_b32 vcc_lo, exec_lo, s24
	s_cbranch_vccz .LBB30_800
; %bb.797:
	s_cmp_eq_u32 s20, 44
	s_cbranch_scc0 .LBB30_799
; %bb.798:
	global_load_ubyte v3, v[0:1], off
	s_mov_b32 s21, 0
	s_mov_b32 s23, -1
	s_waitcnt vmcnt(0)
	v_lshlrev_b32_e32 v4, 23, v3
	v_cmp_ne_u32_e32 vcc_lo, 0xff, v3
	v_cndmask_b32_e32 v4, 0x7f800001, v4, vcc_lo
	v_cmp_ne_u32_e32 vcc_lo, 0, v3
	v_cndmask_b32_e32 v3, 0x400000, v4, vcc_lo
	v_mov_b32_e32 v4, 0x7fc0
	v_cmp_o_f32_e32 vcc_lo, v3, v3
	v_add_nc_u32_e32 v3, 0x7fff, v3
	v_cndmask_b32_sdwa v4, v4, v3, vcc_lo dst_sel:DWORD dst_unused:UNUSED_PAD src0_sel:DWORD src1_sel:WORD_1
	s_branch .LBB30_800
.LBB30_799:
	s_mov_b32 s21, -1
                                        ; implicit-def: $vgpr4
.LBB30_800:
	s_mov_b32 s24, 0
.LBB30_801:
	s_and_b32 vcc_lo, exec_lo, s24
	s_cbranch_vccz .LBB30_805
; %bb.802:
	s_cmp_eq_u32 s20, 29
	s_cbranch_scc0 .LBB30_804
; %bb.803:
	global_load_dwordx2 v[3:4], v[0:1], off
	s_mov_b32 s21, 0
	s_mov_b32 s23, -1
	s_mov_b32 s24, 0
	s_waitcnt vmcnt(0)
	v_ffbh_u32_e32 v5, v4
	v_min_u32_e32 v5, 32, v5
	v_lshlrev_b64 v[3:4], v5, v[3:4]
	v_min_u32_e32 v3, 1, v3
	v_or_b32_e32 v3, v4, v3
	v_sub_nc_u32_e32 v4, 32, v5
	v_cvt_f32_u32_e32 v3, v3
	v_ldexp_f32 v3, v3, v4
	v_bfe_u32 v4, v3, 16, 1
	v_add3_u32 v3, v3, v4, 0x7fff
	v_lshrrev_b32_e32 v4, 16, v3
	s_branch .LBB30_806
.LBB30_804:
	s_mov_b32 s21, -1
                                        ; implicit-def: $vgpr4
.LBB30_805:
	s_mov_b32 s24, 0
.LBB30_806:
	s_and_b32 vcc_lo, exec_lo, s24
	s_cbranch_vccz .LBB30_824
; %bb.807:
	s_cmp_lt_i32 s20, 27
	s_cbranch_scc1 .LBB30_810
; %bb.808:
	s_cmp_gt_i32 s20, 27
	s_cbranch_scc0 .LBB30_811
; %bb.809:
	global_load_dword v3, v[0:1], off
	s_mov_b32 s23, 0
	s_waitcnt vmcnt(0)
	v_cvt_f32_u32_e32 v3, v3
	v_bfe_u32 v4, v3, 16, 1
	v_add3_u32 v3, v3, v4, 0x7fff
	v_lshrrev_b32_e32 v4, 16, v3
	s_branch .LBB30_812
.LBB30_810:
	s_mov_b32 s23, -1
                                        ; implicit-def: $vgpr4
	s_branch .LBB30_815
.LBB30_811:
	s_mov_b32 s23, -1
                                        ; implicit-def: $vgpr4
.LBB30_812:
	s_andn2_b32 vcc_lo, exec_lo, s23
	s_cbranch_vccnz .LBB30_814
; %bb.813:
	global_load_ushort v3, v[0:1], off
	s_waitcnt vmcnt(0)
	v_cvt_f32_u32_e32 v3, v3
	v_bfe_u32 v4, v3, 16, 1
	v_add3_u32 v3, v3, v4, 0x7fff
	v_lshrrev_b32_e32 v4, 16, v3
.LBB30_814:
	s_mov_b32 s23, 0
.LBB30_815:
	s_andn2_b32 vcc_lo, exec_lo, s23
	s_cbranch_vccnz .LBB30_823
; %bb.816:
	global_load_ubyte v3, v[0:1], off
	s_mov_b32 s23, 0
	s_mov_b32 s24, exec_lo
	s_waitcnt vmcnt(0)
	v_cmpx_lt_i16_e32 0x7f, v3
	s_xor_b32 s24, exec_lo, s24
	s_cbranch_execz .LBB30_837
; %bb.817:
	s_mov_b32 s23, -1
	s_mov_b32 s25, exec_lo
	v_cmpx_eq_u16_e32 0x80, v3
; %bb.818:
	s_xor_b32 s23, exec_lo, -1
; %bb.819:
	s_or_b32 exec_lo, exec_lo, s25
	s_and_b32 s23, s23, exec_lo
	s_or_saveexec_b32 s24, s24
	v_mov_b32_e32 v4, 0x7f800001
	s_xor_b32 exec_lo, exec_lo, s24
	s_cbranch_execnz .LBB30_838
.LBB30_820:
	s_or_b32 exec_lo, exec_lo, s24
	s_and_saveexec_b32 s24, s23
	s_cbranch_execz .LBB30_822
.LBB30_821:
	v_and_b32_e32 v4, 0xffff, v3
	v_lshlrev_b32_e32 v3, 24, v3
	v_and_b32_e32 v5, 7, v4
	v_bfe_u32 v8, v4, 3, 4
	v_and_b32_e32 v3, 0x80000000, v3
	v_ffbh_u32_e32 v6, v5
	v_cmp_eq_u32_e32 vcc_lo, 0, v8
	v_min_u32_e32 v6, 32, v6
	v_subrev_nc_u32_e32 v7, 28, v6
	v_sub_nc_u32_e32 v6, 29, v6
	v_lshlrev_b32_e32 v4, v7, v4
	v_cndmask_b32_e32 v6, v8, v6, vcc_lo
	v_and_b32_e32 v4, 7, v4
	v_cndmask_b32_e32 v4, v5, v4, vcc_lo
	v_lshl_add_u32 v5, v6, 23, 0x3b800000
	v_lshlrev_b32_e32 v4, 20, v4
	v_or3_b32 v4, v3, v5, v4
.LBB30_822:
	s_or_b32 exec_lo, exec_lo, s24
	v_bfe_u32 v3, v4, 16, 1
	v_cmp_o_f32_e32 vcc_lo, v4, v4
	v_add3_u32 v3, v4, v3, 0x7fff
	v_mov_b32_e32 v4, 0x7fc0
	v_cndmask_b32_sdwa v4, v4, v3, vcc_lo dst_sel:DWORD dst_unused:UNUSED_PAD src0_sel:DWORD src1_sel:WORD_1
.LBB30_823:
	s_mov_b32 s23, -1
.LBB30_824:
	s_mov_b32 s24, 0
.LBB30_825:
	s_and_b32 vcc_lo, exec_lo, s24
	s_cbranch_vccz .LBB30_858
; %bb.826:
	s_cmp_gt_i32 s20, 22
	s_cbranch_scc0 .LBB30_836
; %bb.827:
	s_cmp_lt_i32 s20, 24
	s_cbranch_scc1 .LBB30_839
; %bb.828:
	s_cmp_gt_i32 s20, 24
	s_cbranch_scc0 .LBB30_840
; %bb.829:
	global_load_ubyte v3, v[0:1], off
	s_mov_b32 s23, exec_lo
	s_waitcnt vmcnt(0)
	v_cmpx_lt_i16_e32 0x7f, v3
	s_xor_b32 s23, exec_lo, s23
	s_cbranch_execz .LBB30_852
; %bb.830:
	s_mov_b32 s22, -1
	s_mov_b32 s24, exec_lo
	v_cmpx_eq_u16_e32 0x80, v3
; %bb.831:
	s_xor_b32 s22, exec_lo, -1
; %bb.832:
	s_or_b32 exec_lo, exec_lo, s24
	s_and_b32 s22, s22, exec_lo
	s_or_saveexec_b32 s23, s23
	v_mov_b32_e32 v4, 0x7f800001
	s_xor_b32 exec_lo, exec_lo, s23
	s_cbranch_execnz .LBB30_853
.LBB30_833:
	s_or_b32 exec_lo, exec_lo, s23
	s_and_saveexec_b32 s23, s22
	s_cbranch_execz .LBB30_835
.LBB30_834:
	v_and_b32_e32 v4, 0xffff, v3
	v_lshlrev_b32_e32 v3, 24, v3
	v_and_b32_e32 v5, 3, v4
	v_bfe_u32 v8, v4, 2, 5
	v_and_b32_e32 v3, 0x80000000, v3
	v_ffbh_u32_e32 v6, v5
	v_cmp_eq_u32_e32 vcc_lo, 0, v8
	v_min_u32_e32 v6, 32, v6
	v_subrev_nc_u32_e32 v7, 29, v6
	v_sub_nc_u32_e32 v6, 30, v6
	v_lshlrev_b32_e32 v4, v7, v4
	v_cndmask_b32_e32 v6, v8, v6, vcc_lo
	v_and_b32_e32 v4, 3, v4
	v_cndmask_b32_e32 v4, v5, v4, vcc_lo
	v_lshl_add_u32 v5, v6, 23, 0x37800000
	v_lshlrev_b32_e32 v4, 21, v4
	v_or3_b32 v4, v3, v5, v4
.LBB30_835:
	s_or_b32 exec_lo, exec_lo, s23
	v_bfe_u32 v3, v4, 16, 1
	v_cmp_o_f32_e32 vcc_lo, v4, v4
	s_mov_b32 s22, 0
	v_add3_u32 v3, v4, v3, 0x7fff
	v_mov_b32_e32 v4, 0x7fc0
	v_cndmask_b32_sdwa v4, v4, v3, vcc_lo dst_sel:DWORD dst_unused:UNUSED_PAD src0_sel:DWORD src1_sel:WORD_1
	s_branch .LBB30_841
.LBB30_836:
	s_mov_b32 s22, -1
                                        ; implicit-def: $vgpr4
	s_branch .LBB30_847
.LBB30_837:
	s_or_saveexec_b32 s24, s24
	v_mov_b32_e32 v4, 0x7f800001
	s_xor_b32 exec_lo, exec_lo, s24
	s_cbranch_execz .LBB30_820
.LBB30_838:
	v_cmp_ne_u16_e32 vcc_lo, 0, v3
	v_mov_b32_e32 v4, 0
	s_andn2_b32 s23, s23, exec_lo
	s_and_b32 s25, vcc_lo, exec_lo
	s_or_b32 s23, s23, s25
	s_or_b32 exec_lo, exec_lo, s24
	s_and_saveexec_b32 s24, s23
	s_cbranch_execnz .LBB30_821
	s_branch .LBB30_822
.LBB30_839:
	s_mov_b32 s22, -1
                                        ; implicit-def: $vgpr4
	s_branch .LBB30_844
.LBB30_840:
	s_mov_b32 s22, -1
                                        ; implicit-def: $vgpr4
.LBB30_841:
	s_and_b32 vcc_lo, exec_lo, s22
	s_cbranch_vccz .LBB30_843
; %bb.842:
	global_load_ubyte v3, v[0:1], off
	s_waitcnt vmcnt(0)
	v_lshlrev_b32_e32 v3, 24, v3
	v_and_b32_e32 v4, 0x7f000000, v3
	v_ffbh_u32_e32 v5, v4
	v_add_nc_u32_e32 v7, 0x1000000, v4
	v_cmp_ne_u32_e32 vcc_lo, 0, v4
	v_min_u32_e32 v5, 32, v5
	v_sub_nc_u32_e64 v5, v5, 4 clamp
	v_lshlrev_b32_e32 v6, v5, v4
	v_lshlrev_b32_e32 v5, 23, v5
	v_lshrrev_b32_e32 v6, 4, v6
	v_sub_nc_u32_e32 v5, v6, v5
	v_ashrrev_i32_e32 v6, 8, v7
	v_add_nc_u32_e32 v5, 0x3c000000, v5
	v_and_or_b32 v5, 0x7f800000, v6, v5
	v_cndmask_b32_e32 v4, 0, v5, vcc_lo
	v_and_or_b32 v3, 0x80000000, v3, v4
	v_bfe_u32 v4, v4, 16, 1
	v_cmp_o_f32_e32 vcc_lo, v3, v3
	v_add3_u32 v3, v3, v4, 0x7fff
	v_mov_b32_e32 v4, 0x7fc0
	v_cndmask_b32_sdwa v4, v4, v3, vcc_lo dst_sel:DWORD dst_unused:UNUSED_PAD src0_sel:DWORD src1_sel:WORD_1
.LBB30_843:
	s_mov_b32 s22, 0
.LBB30_844:
	s_andn2_b32 vcc_lo, exec_lo, s22
	s_cbranch_vccnz .LBB30_846
; %bb.845:
	global_load_ubyte v3, v[0:1], off
	s_waitcnt vmcnt(0)
	v_lshlrev_b32_e32 v4, 25, v3
	v_lshlrev_b16 v3, 8, v3
	v_lshrrev_b32_e32 v5, 4, v4
	v_and_or_b32 v6, 0x7f00, v3, 0.5
	v_cmp_gt_u32_e32 vcc_lo, 0x8000000, v4
	v_bfe_i32 v3, v3, 0, 16
	v_or_b32_e32 v5, 0x70000000, v5
	v_add_f32_e32 v6, -0.5, v6
	v_mul_f32_e32 v5, 0x7800000, v5
	v_cndmask_b32_e32 v4, v5, v6, vcc_lo
	v_and_or_b32 v3, 0x80000000, v3, v4
	v_bfe_u32 v4, v4, 16, 1
	v_cmp_o_f32_e32 vcc_lo, v3, v3
	v_add3_u32 v3, v3, v4, 0x7fff
	v_mov_b32_e32 v4, 0x7fc0
	v_cndmask_b32_sdwa v4, v4, v3, vcc_lo dst_sel:DWORD dst_unused:UNUSED_PAD src0_sel:DWORD src1_sel:WORD_1
.LBB30_846:
	s_mov_b32 s22, 0
	s_mov_b32 s23, -1
.LBB30_847:
	s_andn2_b32 vcc_lo, exec_lo, s22
	s_mov_b32 s22, 0
	s_cbranch_vccnz .LBB30_858
; %bb.848:
	s_cmp_gt_i32 s20, 14
	s_cbranch_scc0 .LBB30_851
; %bb.849:
	s_cmp_eq_u32 s20, 15
	s_cbranch_scc0 .LBB30_854
; %bb.850:
	global_load_ushort v4, v[0:1], off
	s_mov_b32 s21, 0
	s_mov_b32 s23, -1
	s_branch .LBB30_856
.LBB30_851:
	s_mov_b32 s22, -1
	s_branch .LBB30_855
.LBB30_852:
	s_or_saveexec_b32 s23, s23
	v_mov_b32_e32 v4, 0x7f800001
	s_xor_b32 exec_lo, exec_lo, s23
	s_cbranch_execz .LBB30_833
.LBB30_853:
	v_cmp_ne_u16_e32 vcc_lo, 0, v3
	v_mov_b32_e32 v4, 0
	s_andn2_b32 s22, s22, exec_lo
	s_and_b32 s24, vcc_lo, exec_lo
	s_or_b32 s22, s22, s24
	s_or_b32 exec_lo, exec_lo, s23
	s_and_saveexec_b32 s23, s22
	s_cbranch_execnz .LBB30_834
	s_branch .LBB30_835
.LBB30_854:
	s_mov_b32 s21, -1
.LBB30_855:
                                        ; implicit-def: $vgpr4
.LBB30_856:
	s_and_b32 vcc_lo, exec_lo, s22
	s_mov_b32 s22, 0
	s_cbranch_vccz .LBB30_858
; %bb.857:
	s_cmp_lg_u32 s20, 11
	s_mov_b32 s22, -1
	s_cselect_b32 s20, -1, 0
	s_andn2_b32 s21, s21, exec_lo
	s_and_b32 s20, s20, exec_lo
	s_or_b32 s21, s21, s20
.LBB30_858:
	s_mov_b32 s20, 0
.LBB30_859:
	s_andn2_b32 s25, s0, exec_lo
	s_and_b32 s21, s21, exec_lo
	s_and_b32 s23, s23, exec_lo
	;; [unrolled: 1-line block ×4, first 2 shown]
	s_or_b32 s21, s25, s21
.LBB30_860:
	s_or_b32 exec_lo, exec_lo, s12
	s_andn2_b32 s0, s0, exec_lo
	s_and_b32 s12, s21, exec_lo
	s_and_b32 s23, s23, exec_lo
	;; [unrolled: 1-line block ×4, first 2 shown]
	s_or_b32 s0, s0, s12
.LBB30_861:
	s_or_b32 exec_lo, exec_lo, s18
	s_andn2_b32 s12, s16, exec_lo
	s_and_b32 s16, s19, exec_lo
	s_and_b32 s0, s0, exec_lo
	s_or_b32 s16, s12, s16
	s_andn2_b32 s12, s15, exec_lo
	s_and_b32 s20, s23, exec_lo
	s_and_b32 s19, s22, exec_lo
	s_and_b32 s18, s21, exec_lo
	s_or_b32 s15, s12, s0
.LBB30_862:
	s_or_b32 exec_lo, exec_lo, s17
	s_andn2_b32 s0, s7, exec_lo
	s_and_b32 s7, s16, exec_lo
	s_andn2_b32 s12, s13, exec_lo
	s_and_b32 s13, s15, exec_lo
	s_or_b32 s7, s0, s7
	s_and_b32 s0, s20, exec_lo
	s_and_b32 s16, s19, exec_lo
	;; [unrolled: 1-line block ×3, first 2 shown]
	s_or_b32 s13, s12, s13
	s_or_b32 exec_lo, exec_lo, s14
	s_mov_b32 s12, 0
	s_and_saveexec_b32 s14, s13
	s_cbranch_execz .LBB30_262
.LBB30_863:
	s_mov_b32 s12, exec_lo
	s_andn2_b32 s15, s15, exec_lo
	s_trap 2
	s_or_b32 exec_lo, exec_lo, s14
	s_and_saveexec_b32 s13, s15
	s_xor_b32 s13, exec_lo, s13
	s_cbranch_execnz .LBB30_263
.LBB30_864:
	s_or_b32 exec_lo, exec_lo, s13
	s_and_saveexec_b32 s13, s16
	s_cbranch_execz .LBB30_910
.LBB30_865:
	s_sext_i32_i16 s14, s5
	s_cmp_lt_i32 s14, 5
	s_cbranch_scc1 .LBB30_870
; %bb.866:
	s_cmp_lt_i32 s14, 8
	s_cbranch_scc1 .LBB30_871
; %bb.867:
	;; [unrolled: 3-line block ×3, first 2 shown]
	s_cmp_gt_i32 s14, 9
	s_cbranch_scc0 .LBB30_873
; %bb.869:
	global_load_dwordx2 v[3:4], v[0:1], off
	s_mov_b32 s14, 0
	s_waitcnt vmcnt(0)
	v_cvt_f32_f64_e32 v3, v[3:4]
	v_bfe_u32 v4, v3, 16, 1
	v_cmp_o_f32_e32 vcc_lo, v3, v3
	v_add3_u32 v3, v3, v4, 0x7fff
	v_mov_b32_e32 v4, 0x7fc0
	v_cndmask_b32_sdwa v4, v4, v3, vcc_lo dst_sel:DWORD dst_unused:UNUSED_PAD src0_sel:DWORD src1_sel:WORD_1
	s_branch .LBB30_874
.LBB30_870:
                                        ; implicit-def: $vgpr4
	s_branch .LBB30_891
.LBB30_871:
                                        ; implicit-def: $vgpr4
	s_branch .LBB30_880
.LBB30_872:
	s_mov_b32 s14, -1
                                        ; implicit-def: $vgpr4
	s_branch .LBB30_877
.LBB30_873:
	s_mov_b32 s14, -1
                                        ; implicit-def: $vgpr4
.LBB30_874:
	s_andn2_b32 vcc_lo, exec_lo, s14
	s_cbranch_vccnz .LBB30_876
; %bb.875:
	global_load_dword v3, v[0:1], off
	s_waitcnt vmcnt(0)
	v_bfe_u32 v4, v3, 16, 1
	v_cmp_o_f32_e32 vcc_lo, v3, v3
	v_add3_u32 v3, v3, v4, 0x7fff
	v_mov_b32_e32 v4, 0x7fc0
	v_cndmask_b32_sdwa v4, v4, v3, vcc_lo dst_sel:DWORD dst_unused:UNUSED_PAD src0_sel:DWORD src1_sel:WORD_1
.LBB30_876:
	s_mov_b32 s14, 0
.LBB30_877:
	s_andn2_b32 vcc_lo, exec_lo, s14
	s_cbranch_vccnz .LBB30_879
; %bb.878:
	global_load_dword v3, v[0:1], off
	s_waitcnt vmcnt(0)
	v_cvt_f32_f16_e32 v4, v3
	v_cmp_o_f16_e32 vcc_lo, v3, v3
	v_bfe_u32 v5, v4, 16, 1
	v_add3_u32 v3, v4, v5, 0x7fff
	v_mov_b32_e32 v4, 0x7fc0
	v_cndmask_b32_sdwa v4, v4, v3, vcc_lo dst_sel:DWORD dst_unused:UNUSED_PAD src0_sel:DWORD src1_sel:WORD_1
.LBB30_879:
	s_cbranch_execnz .LBB30_890
.LBB30_880:
	s_sext_i32_i16 s14, s5
	s_cmp_lt_i32 s14, 6
	s_cbranch_scc1 .LBB30_883
; %bb.881:
	s_cmp_gt_i32 s14, 6
	s_cbranch_scc0 .LBB30_884
; %bb.882:
	global_load_dwordx2 v[3:4], v[0:1], off
	s_mov_b32 s14, 0
	s_waitcnt vmcnt(0)
	v_cvt_f32_f64_e32 v3, v[3:4]
	v_bfe_u32 v4, v3, 16, 1
	v_cmp_o_f32_e32 vcc_lo, v3, v3
	v_add3_u32 v3, v3, v4, 0x7fff
	v_mov_b32_e32 v4, 0x7fc0
	v_cndmask_b32_sdwa v4, v4, v3, vcc_lo dst_sel:DWORD dst_unused:UNUSED_PAD src0_sel:DWORD src1_sel:WORD_1
	s_branch .LBB30_885
.LBB30_883:
	s_mov_b32 s14, -1
                                        ; implicit-def: $vgpr4
	s_branch .LBB30_888
.LBB30_884:
	s_mov_b32 s14, -1
                                        ; implicit-def: $vgpr4
.LBB30_885:
	s_andn2_b32 vcc_lo, exec_lo, s14
	s_cbranch_vccnz .LBB30_887
; %bb.886:
	global_load_dword v3, v[0:1], off
	s_waitcnt vmcnt(0)
	v_bfe_u32 v4, v3, 16, 1
	v_cmp_o_f32_e32 vcc_lo, v3, v3
	v_add3_u32 v3, v3, v4, 0x7fff
	v_mov_b32_e32 v4, 0x7fc0
	v_cndmask_b32_sdwa v4, v4, v3, vcc_lo dst_sel:DWORD dst_unused:UNUSED_PAD src0_sel:DWORD src1_sel:WORD_1
.LBB30_887:
	s_mov_b32 s14, 0
.LBB30_888:
	s_andn2_b32 vcc_lo, exec_lo, s14
	s_cbranch_vccnz .LBB30_890
; %bb.889:
	global_load_ushort v3, v[0:1], off
	s_waitcnt vmcnt(0)
	v_cvt_f32_f16_e32 v4, v3
	v_cmp_o_f16_e32 vcc_lo, v3, v3
	v_bfe_u32 v5, v4, 16, 1
	v_add3_u32 v3, v4, v5, 0x7fff
	v_mov_b32_e32 v4, 0x7fc0
	v_cndmask_b32_sdwa v4, v4, v3, vcc_lo dst_sel:DWORD dst_unused:UNUSED_PAD src0_sel:DWORD src1_sel:WORD_1
.LBB30_890:
	s_cbranch_execnz .LBB30_909
.LBB30_891:
	s_sext_i32_i16 s14, s5
	s_cmp_lt_i32 s14, 2
	s_cbranch_scc1 .LBB30_895
; %bb.892:
	s_cmp_lt_i32 s14, 3
	s_cbranch_scc1 .LBB30_896
; %bb.893:
	s_cmp_gt_i32 s14, 3
	s_cbranch_scc0 .LBB30_897
; %bb.894:
	global_load_dwordx2 v[3:4], v[0:1], off
	s_mov_b32 s14, 0
	s_waitcnt vmcnt(0)
	v_xor_b32_e32 v5, v3, v4
	v_ffbh_i32_e32 v6, v4
	v_ashrrev_i32_e32 v5, 31, v5
	v_add_nc_u32_e32 v6, -1, v6
	v_add_nc_u32_e32 v5, 32, v5
	v_min_u32_e32 v5, v6, v5
	v_lshlrev_b64 v[3:4], v5, v[3:4]
	v_min_u32_e32 v3, 1, v3
	v_or_b32_e32 v3, v4, v3
	v_sub_nc_u32_e32 v4, 32, v5
	v_cvt_f32_i32_e32 v3, v3
	v_ldexp_f32 v3, v3, v4
	v_bfe_u32 v4, v3, 16, 1
	v_add3_u32 v3, v3, v4, 0x7fff
	v_lshrrev_b32_e32 v4, 16, v3
	s_branch .LBB30_898
.LBB30_895:
                                        ; implicit-def: $vgpr4
	s_branch .LBB30_904
.LBB30_896:
	s_mov_b32 s14, -1
                                        ; implicit-def: $vgpr4
	s_branch .LBB30_901
.LBB30_897:
	s_mov_b32 s14, -1
                                        ; implicit-def: $vgpr4
.LBB30_898:
	s_andn2_b32 vcc_lo, exec_lo, s14
	s_cbranch_vccnz .LBB30_900
; %bb.899:
	global_load_dword v3, v[0:1], off
	s_waitcnt vmcnt(0)
	v_cvt_f32_i32_e32 v3, v3
	v_bfe_u32 v4, v3, 16, 1
	v_add3_u32 v3, v3, v4, 0x7fff
	v_lshrrev_b32_e32 v4, 16, v3
.LBB30_900:
	s_mov_b32 s14, 0
.LBB30_901:
	s_andn2_b32 vcc_lo, exec_lo, s14
	s_cbranch_vccnz .LBB30_903
; %bb.902:
	global_load_sshort v3, v[0:1], off
	s_waitcnt vmcnt(0)
	v_cvt_f32_i32_e32 v3, v3
	v_bfe_u32 v4, v3, 16, 1
	v_add3_u32 v3, v3, v4, 0x7fff
	v_lshrrev_b32_e32 v4, 16, v3
.LBB30_903:
	s_cbranch_execnz .LBB30_909
.LBB30_904:
	s_sext_i32_i16 s14, s5
	s_cmp_gt_i32 s14, 0
	s_mov_b32 s14, 0
	s_cbranch_scc0 .LBB30_906
; %bb.905:
	global_load_sbyte v3, v[0:1], off
	s_waitcnt vmcnt(0)
	v_cvt_f32_i32_e32 v3, v3
	v_bfe_u32 v4, v3, 16, 1
	v_add3_u32 v3, v3, v4, 0x7fff
	v_lshrrev_b32_e32 v4, 16, v3
	s_branch .LBB30_907
.LBB30_906:
	s_mov_b32 s14, -1
                                        ; implicit-def: $vgpr4
.LBB30_907:
	s_andn2_b32 vcc_lo, exec_lo, s14
	s_cbranch_vccnz .LBB30_909
; %bb.908:
	global_load_ubyte v0, v[0:1], off
	s_waitcnt vmcnt(0)
	v_cvt_f32_ubyte0_e32 v0, v0
	v_bfe_u32 v1, v0, 16, 1
	v_add3_u32 v0, v0, v1, 0x7fff
	v_lshrrev_b32_e32 v4, 16, v0
.LBB30_909:
	s_or_b32 s0, s0, exec_lo
.LBB30_910:
	s_or_b32 exec_lo, exec_lo, s13
	s_mov_b32 s16, 0
	s_mov_b32 s15, 0
                                        ; implicit-def: $sgpr13
                                        ; implicit-def: $vgpr0_vgpr1
                                        ; implicit-def: $vgpr3
	s_and_saveexec_b32 s14, s0
	s_cbranch_execz .LBB30_918
; %bb.911:
	s_waitcnt vmcnt(0)
	v_lshlrev_b32_e32 v0, 16, v4
	s_mov_b32 s0, 0x3b2d2a58
	s_and_b32 s13, s1, 0xff
	s_cmp_lt_i32 s13, 11
	v_rcp_f32_e64 v1, |v0|
	v_cmp_gt_f32_e64 vcc_lo, |v0|, 1.0
	v_cndmask_b32_e64 v1, |v0|, v1, vcc_lo
	v_mul_f32_e32 v3, v1, v1
	v_fmaak_f32 v4, s0, v3, 0xbc7a590c
	v_fmaak_f32 v4, v3, v4, 0x3d29fb3f
	;; [unrolled: 1-line block ×7, first 2 shown]
	v_mul_f32_e32 v3, v3, v4
	v_fmac_f32_e32 v1, v1, v3
	v_sub_f32_e32 v3, 0x3fc90fdb, v1
	v_cndmask_b32_e32 v1, v1, v3, vcc_lo
	v_mov_b32_e32 v3, 0x7fc0
	v_bfi_b32 v0, 0x7fffffff, v1, v0
	v_mul_lo_u32 v1, v2, s2
	v_bfe_u32 v2, v0, 16, 1
	v_cmp_o_f32_e32 vcc_lo, v0, v0
	v_ashrrev_i32_e32 v4, 31, v1
	v_add3_u32 v2, v0, v2, 0x7fff
	v_add_co_u32 v0, s0, s8, v1
	v_add_co_ci_u32_e64 v1, null, s9, v4, s0
	v_cndmask_b32_sdwa v3, v3, v2, vcc_lo dst_sel:DWORD dst_unused:UNUSED_PAD src0_sel:DWORD src1_sel:WORD_1
	s_cbranch_scc1 .LBB30_921
; %bb.912:
	s_and_b32 s15, 0xffff, s13
	s_mov_b32 s16, -1
	s_cmp_gt_i32 s15, 25
	s_mov_b32 s0, s7
	s_cbranch_scc0 .LBB30_949
; %bb.913:
	s_cmp_gt_i32 s15, 28
	s_mov_b32 s0, s7
	s_cbranch_scc0 .LBB30_933
; %bb.914:
	;; [unrolled: 4-line block ×4, first 2 shown]
	s_cmp_eq_u32 s15, 46
	s_mov_b32 s0, -1
	s_cbranch_scc0 .LBB30_922
; %bb.917:
	v_and_b32_e32 v2, 0xffff, v3
	s_mov_b32 s0, 0
	s_mov_b32 s16, 0
	global_store_dword v[0:1], v2, off
	s_branch .LBB30_923
.LBB30_918:
	s_or_b32 exec_lo, exec_lo, s14
	s_and_saveexec_b32 s0, s7
	s_cbranch_execnz .LBB30_991
.LBB30_919:
	s_or_b32 exec_lo, exec_lo, s0
	s_and_saveexec_b32 s0, s16
	s_xor_b32 s0, exec_lo, s0
	s_cbranch_execz .LBB30_992
.LBB30_920:
	s_waitcnt vmcnt(0)
	v_and_b32_e32 v2, 0x7fff, v3
	v_cmp_ne_u16_e32 vcc_lo, 0, v2
	v_cndmask_b32_e64 v2, 0, 1, vcc_lo
	global_store_byte v[0:1], v2, off
	s_or_b32 exec_lo, exec_lo, s0
	s_and_saveexec_b32 s0, s15
	s_xor_b32 s0, exec_lo, s0
	s_cbranch_execz .LBB30_1030
	s_branch .LBB30_993
.LBB30_921:
	s_mov_b32 s17, 0
	s_mov_b32 s16, -1
	s_mov_b32 s0, s7
	s_branch .LBB30_990
.LBB30_922:
	s_mov_b32 s16, 0
.LBB30_923:
	s_and_b32 vcc_lo, exec_lo, s16
	s_cbranch_vccz .LBB30_928
; %bb.924:
	s_cmp_eq_u32 s15, 44
	s_mov_b32 s0, -1
	s_cbranch_scc0 .LBB30_928
; %bb.925:
	v_and_b32_e32 v2, 0xffff, v3
	v_mov_b32_e32 v4, 0xff
	s_mov_b32 s16, exec_lo
	v_bfe_u32 v5, v2, 7, 8
	v_cmpx_ne_u32_e32 0xff, v5
	s_cbranch_execz .LBB30_927
; %bb.926:
	v_lshlrev_b32_e32 v4, 16, v2
	v_and_b32_e32 v6, 64, v2
	v_lshrrev_b32_e32 v2, 7, v2
	v_and_or_b32 v4, 0x3f0000, v4, v5
	v_cmp_ne_u32_e32 vcc_lo, 0, v6
	v_cmp_ne_u32_e64 s0, 0, v4
	s_and_b32 s0, vcc_lo, s0
	v_cndmask_b32_e64 v4, 0, 1, s0
	v_add_nc_u32_e32 v4, v2, v4
.LBB30_927:
	s_or_b32 exec_lo, exec_lo, s16
	s_mov_b32 s0, 0
	global_store_byte v[0:1], v4, off
.LBB30_928:
	s_mov_b32 s16, 0
.LBB30_929:
	s_and_b32 vcc_lo, exec_lo, s16
	s_cbranch_vccz .LBB30_932
; %bb.930:
	s_cmp_eq_u32 s15, 29
	s_mov_b32 s0, -1
	s_cbranch_scc0 .LBB30_932
; %bb.931:
	v_lshlrev_b32_e32 v2, 16, v3
	s_mov_b32 s0, 0
	s_mov_b32 s16, 0
	v_trunc_f32_e32 v2, v2
	v_mul_f32_e32 v4, 0x2f800000, v2
	v_floor_f32_e32 v4, v4
	v_fmamk_f32 v2, v4, 0xcf800000, v2
	v_cvt_u32_f32_e32 v5, v4
	v_cvt_u32_f32_e32 v4, v2
	global_store_dwordx2 v[0:1], v[4:5], off
	s_branch .LBB30_933
.LBB30_932:
	s_mov_b32 s16, 0
.LBB30_933:
	s_and_b32 vcc_lo, exec_lo, s16
	s_cbranch_vccz .LBB30_948
; %bb.934:
	s_cmp_lt_i32 s15, 27
	s_mov_b32 s16, -1
	s_cbranch_scc1 .LBB30_940
; %bb.935:
	s_cmp_gt_i32 s15, 27
	s_cbranch_scc0 .LBB30_937
; %bb.936:
	v_lshlrev_b32_e32 v2, 16, v3
	s_mov_b32 s16, 0
	v_cvt_u32_f32_e32 v2, v2
	global_store_dword v[0:1], v2, off
.LBB30_937:
	s_andn2_b32 vcc_lo, exec_lo, s16
	s_cbranch_vccnz .LBB30_939
; %bb.938:
	v_lshlrev_b32_e32 v2, 16, v3
	v_cvt_u32_f32_e32 v2, v2
	global_store_short v[0:1], v2, off
.LBB30_939:
	s_mov_b32 s16, 0
.LBB30_940:
	s_andn2_b32 vcc_lo, exec_lo, s16
	s_cbranch_vccnz .LBB30_948
; %bb.941:
	v_lshlrev_b32_e32 v5, 16, v3
	v_mov_b32_e32 v6, 0x80
	s_mov_b32 s16, exec_lo
	v_and_b32_e32 v4, 0x7fffffff, v5
	v_cmpx_gt_u32_e32 0x43800000, v4
	s_cbranch_execz .LBB30_947
; %bb.942:
	v_and_b32_e32 v2, 0xffff, v3
	v_cmp_lt_u32_e32 vcc_lo, 0x3bffffff, v4
	s_mov_b32 s17, 0
                                        ; implicit-def: $vgpr4
	s_and_saveexec_b32 s18, vcc_lo
	s_xor_b32 s18, exec_lo, s18
	s_cbranch_execz .LBB30_1045
; %bb.943:
	v_bfe_u32 v4, v2, 4, 1
	s_mov_b32 s17, exec_lo
	v_add3_u32 v4, v5, v4, 0x487ffff
                                        ; implicit-def: $vgpr5
	v_lshrrev_b32_e32 v4, 20, v4
	s_andn2_saveexec_b32 s18, s18
	s_cbranch_execnz .LBB30_1046
.LBB30_944:
	s_or_b32 exec_lo, exec_lo, s18
	v_mov_b32_e32 v6, 0
	s_and_saveexec_b32 s18, s17
.LBB30_945:
	v_lshrrev_b32_e32 v2, 8, v2
	v_and_or_b32 v6, 0x80, v2, v4
.LBB30_946:
	s_or_b32 exec_lo, exec_lo, s18
.LBB30_947:
	s_or_b32 exec_lo, exec_lo, s16
	global_store_byte v[0:1], v6, off
.LBB30_948:
	s_mov_b32 s16, 0
.LBB30_949:
	s_and_b32 vcc_lo, exec_lo, s16
	s_mov_b32 s16, 0
	s_cbranch_vccz .LBB30_989
; %bb.950:
	s_cmp_gt_i32 s15, 22
	s_mov_b32 s17, -1
	s_cbranch_scc0 .LBB30_982
; %bb.951:
	s_cmp_lt_i32 s15, 24
	s_cbranch_scc1 .LBB30_971
; %bb.952:
	s_cmp_gt_i32 s15, 24
	s_cbranch_scc0 .LBB30_960
; %bb.953:
	v_lshlrev_b32_e32 v5, 16, v3
	v_mov_b32_e32 v6, 0x80
	s_mov_b32 s17, exec_lo
	v_and_b32_e32 v4, 0x7fffffff, v5
	v_cmpx_gt_u32_e32 0x47800000, v4
	s_cbranch_execz .LBB30_959
; %bb.954:
	v_and_b32_e32 v2, 0xffff, v3
	v_cmp_lt_u32_e32 vcc_lo, 0x37ffffff, v4
	s_mov_b32 s18, 0
                                        ; implicit-def: $vgpr4
	s_and_saveexec_b32 s19, vcc_lo
	s_xor_b32 s19, exec_lo, s19
	s_cbranch_execz .LBB30_1171
; %bb.955:
	v_bfe_u32 v4, v2, 5, 1
	s_mov_b32 s18, exec_lo
	v_add3_u32 v4, v5, v4, 0x88fffff
                                        ; implicit-def: $vgpr5
	v_lshrrev_b32_e32 v4, 21, v4
	s_andn2_saveexec_b32 s19, s19
	s_cbranch_execnz .LBB30_1172
.LBB30_956:
	s_or_b32 exec_lo, exec_lo, s19
	v_mov_b32_e32 v6, 0
	s_and_saveexec_b32 s19, s18
.LBB30_957:
	v_lshrrev_b32_e32 v2, 8, v2
	v_and_or_b32 v6, 0x80, v2, v4
.LBB30_958:
	s_or_b32 exec_lo, exec_lo, s19
.LBB30_959:
	s_or_b32 exec_lo, exec_lo, s17
	s_mov_b32 s17, 0
	global_store_byte v[0:1], v6, off
.LBB30_960:
	s_and_b32 vcc_lo, exec_lo, s17
	s_cbranch_vccz .LBB30_970
; %bb.961:
	v_lshlrev_b32_e32 v5, 16, v3
	v_and_b32_e32 v2, 0xffff, v3
	s_mov_b32 s17, exec_lo
                                        ; implicit-def: $vgpr4
	v_and_b32_e32 v6, 0x7fffffff, v5
	v_cmpx_gt_u32_e32 0x43f00000, v6
	s_xor_b32 s17, exec_lo, s17
	s_cbranch_execz .LBB30_967
; %bb.962:
	s_mov_b32 s18, exec_lo
                                        ; implicit-def: $vgpr4
	v_cmpx_lt_u32_e32 0x3c7fffff, v6
	s_xor_b32 s18, exec_lo, s18
; %bb.963:
	v_bfe_u32 v4, v2, 4, 1
	v_add3_u32 v4, v5, v4, 0x407ffff
	v_and_b32_e32 v5, 0xff00000, v4
	v_lshrrev_b32_e32 v4, 20, v4
	v_cmp_ne_u32_e32 vcc_lo, 0x7f00000, v5
                                        ; implicit-def: $vgpr5
	v_cndmask_b32_e32 v4, 0x7e, v4, vcc_lo
; %bb.964:
	s_andn2_saveexec_b32 s18, s18
; %bb.965:
	v_add_f32_e64 v4, 0x46800000, |v5|
; %bb.966:
	s_or_b32 exec_lo, exec_lo, s18
                                        ; implicit-def: $vgpr6
.LBB30_967:
	s_andn2_saveexec_b32 s17, s17
; %bb.968:
	v_mov_b32_e32 v4, 0x7f
	v_cmp_lt_u32_e32 vcc_lo, 0x7f800000, v6
	v_cndmask_b32_e32 v4, 0x7e, v4, vcc_lo
; %bb.969:
	s_or_b32 exec_lo, exec_lo, s17
	v_lshrrev_b32_e32 v2, 8, v2
	v_and_or_b32 v2, 0x80, v2, v4
	global_store_byte v[0:1], v2, off
.LBB30_970:
	s_mov_b32 s17, 0
.LBB30_971:
	s_andn2_b32 vcc_lo, exec_lo, s17
	s_cbranch_vccnz .LBB30_981
; %bb.972:
	v_lshlrev_b32_e32 v5, 16, v3
	v_and_b32_e32 v2, 0xffff, v3
	s_mov_b32 s17, exec_lo
                                        ; implicit-def: $vgpr4
	v_and_b32_e32 v6, 0x7fffffff, v5
	v_cmpx_gt_u32_e32 0x47800000, v6
	s_xor_b32 s17, exec_lo, s17
	s_cbranch_execz .LBB30_978
; %bb.973:
	s_mov_b32 s18, exec_lo
                                        ; implicit-def: $vgpr4
	v_cmpx_lt_u32_e32 0x387fffff, v6
	s_xor_b32 s18, exec_lo, s18
; %bb.974:
	v_bfe_u32 v4, v2, 5, 1
	v_add3_u32 v4, v5, v4, 0x80fffff
                                        ; implicit-def: $vgpr5
	v_lshrrev_b32_e32 v4, 21, v4
; %bb.975:
	s_andn2_saveexec_b32 s18, s18
; %bb.976:
	v_add_f32_e64 v4, 0x43000000, |v5|
; %bb.977:
	s_or_b32 exec_lo, exec_lo, s18
                                        ; implicit-def: $vgpr6
.LBB30_978:
	s_andn2_saveexec_b32 s17, s17
; %bb.979:
	v_mov_b32_e32 v4, 0x7f
	v_cmp_lt_u32_e32 vcc_lo, 0x7f800000, v6
	v_cndmask_b32_e32 v4, 0x7c, v4, vcc_lo
; %bb.980:
	s_or_b32 exec_lo, exec_lo, s17
	v_lshrrev_b32_e32 v2, 8, v2
	v_and_or_b32 v2, 0x80, v2, v4
	global_store_byte v[0:1], v2, off
.LBB30_981:
	s_mov_b32 s17, 0
.LBB30_982:
	s_andn2_b32 vcc_lo, exec_lo, s17
	s_mov_b32 s17, 0
	s_cbranch_vccnz .LBB30_990
; %bb.983:
	s_cmp_gt_i32 s15, 14
	s_mov_b32 s17, -1
	s_cbranch_scc0 .LBB30_987
; %bb.984:
	s_cmp_eq_u32 s15, 15
	s_mov_b32 s0, -1
	s_cbranch_scc0 .LBB30_986
; %bb.985:
	s_mov_b32 s0, 0
	global_store_short v[0:1], v3, off
.LBB30_986:
	s_mov_b32 s17, 0
.LBB30_987:
	s_and_b32 vcc_lo, exec_lo, s17
	s_mov_b32 s17, 0
	s_cbranch_vccz .LBB30_990
; %bb.988:
	s_cmp_lg_u32 s15, 11
	s_mov_b32 s17, -1
	s_cselect_b32 s15, -1, 0
	s_andn2_b32 s0, s0, exec_lo
	s_and_b32 s15, s15, exec_lo
	s_or_b32 s0, s0, s15
	s_branch .LBB30_990
.LBB30_989:
	s_mov_b32 s17, 0
.LBB30_990:
	s_andn2_b32 s7, s7, exec_lo
	s_and_b32 s0, s0, exec_lo
	s_and_b32 s15, s16, exec_lo
	;; [unrolled: 1-line block ×3, first 2 shown]
	s_or_b32 s7, s7, s0
	s_or_b32 exec_lo, exec_lo, s14
	s_and_saveexec_b32 s0, s7
	s_cbranch_execz .LBB30_919
.LBB30_991:
	s_or_b32 s12, s12, exec_lo
	s_andn2_b32 s16, s16, exec_lo
	s_trap 2
	s_or_b32 exec_lo, exec_lo, s0
	s_and_saveexec_b32 s0, s16
	s_xor_b32 s0, exec_lo, s0
	s_cbranch_execnz .LBB30_920
.LBB30_992:
	s_or_b32 exec_lo, exec_lo, s0
	s_and_saveexec_b32 s0, s15
	s_xor_b32 s0, exec_lo, s0
	s_cbranch_execz .LBB30_1030
.LBB30_993:
	s_sext_i32_i16 s14, s13
	s_mov_b32 s7, -1
	s_cmp_lt_i32 s14, 5
	s_cbranch_scc1 .LBB30_1014
; %bb.994:
	s_cmp_lt_i32 s14, 8
	s_cbranch_scc1 .LBB30_1004
; %bb.995:
	;; [unrolled: 3-line block ×3, first 2 shown]
	s_cmp_gt_i32 s14, 9
	s_cbranch_scc0 .LBB30_998
; %bb.997:
	s_waitcnt vmcnt(0)
	v_lshlrev_b32_e32 v2, 16, v3
	v_mov_b32_e32 v6, 0
	s_mov_b32 s7, 0
	v_cvt_f64_f32_e32 v[4:5], v2
	v_mov_b32_e32 v7, v6
	global_store_dwordx4 v[0:1], v[4:7], off
.LBB30_998:
	s_andn2_b32 vcc_lo, exec_lo, s7
	s_cbranch_vccnz .LBB30_1000
; %bb.999:
	s_waitcnt vmcnt(0)
	v_lshlrev_b32_e32 v4, 16, v3
	v_mov_b32_e32 v5, 0
	global_store_dwordx2 v[0:1], v[4:5], off
.LBB30_1000:
	s_mov_b32 s7, 0
.LBB30_1001:
	s_andn2_b32 vcc_lo, exec_lo, s7
	s_cbranch_vccnz .LBB30_1003
; %bb.1002:
	s_waitcnt vmcnt(0)
	v_lshlrev_b32_e32 v2, 16, v3
	v_cvt_f16_f32_e32 v2, v2
	v_and_b32_e32 v2, 0xffff, v2
	global_store_dword v[0:1], v2, off
.LBB30_1003:
	s_mov_b32 s7, 0
.LBB30_1004:
	s_andn2_b32 vcc_lo, exec_lo, s7
	s_cbranch_vccnz .LBB30_1013
; %bb.1005:
	s_sext_i32_i16 s14, s13
	s_mov_b32 s7, -1
	s_cmp_lt_i32 s14, 6
	s_cbranch_scc1 .LBB30_1011
; %bb.1006:
	s_cmp_gt_i32 s14, 6
	s_cbranch_scc0 .LBB30_1008
; %bb.1007:
	s_waitcnt vmcnt(0)
	v_lshlrev_b32_e32 v2, 16, v3
	s_mov_b32 s7, 0
	v_cvt_f64_f32_e32 v[4:5], v2
	global_store_dwordx2 v[0:1], v[4:5], off
.LBB30_1008:
	s_andn2_b32 vcc_lo, exec_lo, s7
	s_cbranch_vccnz .LBB30_1010
; %bb.1009:
	s_waitcnt vmcnt(0)
	v_lshlrev_b32_e32 v2, 16, v3
	global_store_dword v[0:1], v2, off
.LBB30_1010:
	s_mov_b32 s7, 0
.LBB30_1011:
	s_andn2_b32 vcc_lo, exec_lo, s7
	s_cbranch_vccnz .LBB30_1013
; %bb.1012:
	s_waitcnt vmcnt(0)
	v_lshlrev_b32_e32 v2, 16, v3
	v_cvt_f16_f32_e32 v2, v2
	global_store_short v[0:1], v2, off
.LBB30_1013:
	s_mov_b32 s7, 0
.LBB30_1014:
	s_andn2_b32 vcc_lo, exec_lo, s7
	s_cbranch_vccnz .LBB30_1030
; %bb.1015:
	s_sext_i32_i16 s14, s13
	s_mov_b32 s7, -1
	s_cmp_lt_i32 s14, 2
	s_cbranch_scc1 .LBB30_1025
; %bb.1016:
	s_cmp_lt_i32 s14, 3
	s_cbranch_scc1 .LBB30_1022
; %bb.1017:
	s_cmp_gt_i32 s14, 3
	s_cbranch_scc0 .LBB30_1019
; %bb.1018:
	s_waitcnt vmcnt(0)
	v_lshlrev_b32_e32 v2, 16, v3
	s_mov_b32 s7, 0
	v_trunc_f32_e32 v2, v2
	v_mul_f32_e64 v4, 0x2f800000, |v2|
	v_floor_f32_e32 v4, v4
	v_fma_f32 v5, 0xcf800000, v4, |v2|
	v_ashrrev_i32_e32 v2, 31, v2
	v_cvt_u32_f32_e32 v4, v4
	v_cvt_u32_f32_e32 v5, v5
	v_xor_b32_e32 v6, v4, v2
	v_xor_b32_e32 v5, v5, v2
	v_sub_co_u32 v4, vcc_lo, v5, v2
	v_sub_co_ci_u32_e64 v5, null, v6, v2, vcc_lo
	global_store_dwordx2 v[0:1], v[4:5], off
.LBB30_1019:
	s_andn2_b32 vcc_lo, exec_lo, s7
	s_cbranch_vccnz .LBB30_1021
; %bb.1020:
	s_waitcnt vmcnt(0)
	v_lshlrev_b32_e32 v2, 16, v3
	v_cvt_i32_f32_e32 v2, v2
	global_store_dword v[0:1], v2, off
.LBB30_1021:
	s_mov_b32 s7, 0
.LBB30_1022:
	s_andn2_b32 vcc_lo, exec_lo, s7
	s_cbranch_vccnz .LBB30_1024
; %bb.1023:
	s_waitcnt vmcnt(0)
	v_lshlrev_b32_e32 v2, 16, v3
	v_cvt_i32_f32_e32 v2, v2
	global_store_short v[0:1], v2, off
.LBB30_1024:
	s_mov_b32 s7, 0
.LBB30_1025:
	s_andn2_b32 vcc_lo, exec_lo, s7
	s_cbranch_vccnz .LBB30_1030
; %bb.1026:
	s_waitcnt vmcnt(0)
	v_lshlrev_b32_e32 v2, 16, v3
	s_sext_i32_i16 s7, s13
	s_cmp_gt_i32 s7, 0
	s_mov_b32 s7, -1
	s_cbranch_scc0 .LBB30_1028
; %bb.1027:
	v_cvt_i32_f32_e32 v3, v2
	s_mov_b32 s7, 0
	global_store_byte v[0:1], v3, off
.LBB30_1028:
	s_andn2_b32 vcc_lo, exec_lo, s7
	s_cbranch_vccnz .LBB30_1030
; %bb.1029:
	v_trunc_f32_e32 v2, v2
	v_mul_f32_e64 v3, 0x2f800000, |v2|
	v_floor_f32_e32 v3, v3
	v_fma_f32 v3, 0xcf800000, v3, |v2|
	v_ashrrev_i32_e32 v2, 31, v2
	v_cvt_u32_f32_e32 v3, v3
	v_xor_b32_e32 v3, v3, v2
	v_sub_nc_u32_e32 v2, v3, v2
	global_store_byte v[0:1], v2, off
.LBB30_1030:
	s_or_b32 exec_lo, exec_lo, s0
	s_and_b32 s7, s12, exec_lo
                                        ; implicit-def: $vgpr2
.LBB30_1031:
	s_or_saveexec_b32 s6, s6
	s_mov_b32 s0, 0
                                        ; implicit-def: $sgpr12
                                        ; implicit-def: $vgpr0_vgpr1
                                        ; implicit-def: $vgpr3
	s_xor_b32 exec_lo, exec_lo, s6
	s_cbranch_execz .LBB30_1983
; %bb.1032:
	s_waitcnt vmcnt(0)
	v_mul_lo_u32 v4, s3, v2
	s_and_b32 s0, 0xffff, s5
	s_cmp_lt_i32 s0, 11
	v_ashrrev_i32_e32 v1, 31, v4
	v_add_co_u32 v0, vcc_lo, s10, v4
	v_add_co_ci_u32_e64 v1, null, s11, v1, vcc_lo
	s_cbranch_scc1 .LBB30_1039
; %bb.1033:
	s_cmp_gt_i32 s0, 25
	s_mov_b32 s5, 0
	s_cbranch_scc0 .LBB30_1041
; %bb.1034:
	s_cmp_gt_i32 s0, 28
	s_cbranch_scc0 .LBB30_1042
; %bb.1035:
	s_cmp_gt_i32 s0, 43
	;; [unrolled: 3-line block ×3, first 2 shown]
	s_cbranch_scc0 .LBB30_1044
; %bb.1037:
	s_cmp_eq_u32 s0, 46
	s_mov_b32 s13, 0
	s_cbranch_scc0 .LBB30_1047
; %bb.1038:
	global_load_dword v3, v[0:1], off
	s_mov_b32 s12, -1
	s_branch .LBB30_1049
.LBB30_1039:
	s_mov_b32 s12, 0
	s_mov_b32 s4, s7
                                        ; implicit-def: $vgpr3
	s_cbranch_execnz .LBB30_1112
.LBB30_1040:
	s_andn2_b32 vcc_lo, exec_lo, s12
	s_cbranch_vccz .LBB30_1157
	s_branch .LBB30_1981
.LBB30_1041:
	s_mov_b32 s12, 0
                                        ; implicit-def: $vgpr3
	s_cbranch_execnz .LBB30_1077
	s_branch .LBB30_1108
.LBB30_1042:
	s_mov_b32 s13, -1
	s_mov_b32 s12, 0
                                        ; implicit-def: $vgpr3
	s_branch .LBB30_1058
.LBB30_1043:
	s_mov_b32 s12, 0
                                        ; implicit-def: $vgpr3
	s_cbranch_execnz .LBB30_1054
	s_branch .LBB30_1057
.LBB30_1044:
	s_mov_b32 s13, -1
	s_branch .LBB30_1048
.LBB30_1045:
	s_andn2_saveexec_b32 s18, s18
	s_cbranch_execz .LBB30_944
.LBB30_1046:
	v_add_f32_e64 v4, 0x46000000, |v5|
	s_andn2_b32 s17, s17, exec_lo
	v_and_b32_e32 v4, 0xff, v4
	v_cmp_ne_u32_e32 vcc_lo, 0, v4
	s_and_b32 s19, vcc_lo, exec_lo
	s_or_b32 s17, s17, s19
	s_or_b32 exec_lo, exec_lo, s18
	v_mov_b32_e32 v6, 0
	s_and_saveexec_b32 s18, s17
	s_cbranch_execnz .LBB30_945
	s_branch .LBB30_946
.LBB30_1047:
	s_mov_b32 s4, -1
.LBB30_1048:
	s_mov_b32 s12, 0
                                        ; implicit-def: $vgpr3
.LBB30_1049:
	s_and_b32 vcc_lo, exec_lo, s13
	s_cbranch_vccz .LBB30_1052
; %bb.1050:
	s_cmp_eq_u32 s0, 44
	s_cbranch_scc0 .LBB30_1053
; %bb.1051:
	global_load_ubyte v3, v[0:1], off
	s_mov_b32 s4, 0
	s_mov_b32 s12, -1
	s_waitcnt vmcnt(0)
	v_lshlrev_b32_e32 v5, 23, v3
	v_cmp_ne_u32_e32 vcc_lo, 0xff, v3
	v_cndmask_b32_e32 v5, 0x7f800001, v5, vcc_lo
	v_cmp_ne_u32_e32 vcc_lo, 0, v3
	v_cndmask_b32_e32 v3, 0x400000, v5, vcc_lo
	v_mov_b32_e32 v5, 0x7fc0
	v_cmp_o_f32_e32 vcc_lo, v3, v3
	v_add_nc_u32_e32 v3, 0x7fff, v3
	v_cndmask_b32_sdwa v3, v5, v3, vcc_lo dst_sel:DWORD dst_unused:UNUSED_PAD src0_sel:DWORD src1_sel:WORD_1
.LBB30_1052:
	s_branch .LBB30_1057
.LBB30_1053:
	s_mov_b32 s4, -1
                                        ; implicit-def: $vgpr3
	s_branch .LBB30_1057
.LBB30_1054:
	s_cmp_eq_u32 s0, 29
	s_cbranch_scc0 .LBB30_1056
; %bb.1055:
	global_load_dwordx2 v[5:6], v[0:1], off
	s_mov_b32 s4, 0
	s_mov_b32 s12, -1
	s_mov_b32 s13, 0
	s_waitcnt vmcnt(0)
	v_ffbh_u32_e32 v3, v6
	v_min_u32_e32 v3, 32, v3
	v_lshlrev_b64 v[5:6], v3, v[5:6]
	v_sub_nc_u32_e32 v3, 32, v3
	v_min_u32_e32 v5, 1, v5
	v_or_b32_e32 v5, v6, v5
	v_cvt_f32_u32_e32 v5, v5
	v_ldexp_f32 v3, v5, v3
	v_bfe_u32 v5, v3, 16, 1
	v_add3_u32 v3, v3, v5, 0x7fff
	v_lshrrev_b32_e32 v3, 16, v3
	s_branch .LBB30_1058
.LBB30_1056:
	s_mov_b32 s4, -1
                                        ; implicit-def: $vgpr3
.LBB30_1057:
	s_mov_b32 s13, 0
.LBB30_1058:
	s_and_b32 vcc_lo, exec_lo, s13
	s_cbranch_vccz .LBB30_1076
; %bb.1059:
	s_cmp_lt_i32 s0, 27
	s_cbranch_scc1 .LBB30_1062
; %bb.1060:
	s_cmp_gt_i32 s0, 27
	s_cbranch_scc0 .LBB30_1063
; %bb.1061:
	global_load_dword v3, v[0:1], off
	s_mov_b32 s12, 0
	s_waitcnt vmcnt(0)
	v_cvt_f32_u32_e32 v3, v3
	v_bfe_u32 v5, v3, 16, 1
	v_add3_u32 v3, v3, v5, 0x7fff
	v_lshrrev_b32_e32 v3, 16, v3
	s_branch .LBB30_1064
.LBB30_1062:
	s_mov_b32 s12, -1
                                        ; implicit-def: $vgpr3
	s_branch .LBB30_1067
.LBB30_1063:
	s_mov_b32 s12, -1
                                        ; implicit-def: $vgpr3
.LBB30_1064:
	s_andn2_b32 vcc_lo, exec_lo, s12
	s_cbranch_vccnz .LBB30_1066
; %bb.1065:
	global_load_ushort v3, v[0:1], off
	s_waitcnt vmcnt(0)
	v_cvt_f32_u32_e32 v3, v3
	v_bfe_u32 v5, v3, 16, 1
	v_add3_u32 v3, v3, v5, 0x7fff
	v_lshrrev_b32_e32 v3, 16, v3
.LBB30_1066:
	s_mov_b32 s12, 0
.LBB30_1067:
	s_andn2_b32 vcc_lo, exec_lo, s12
	s_cbranch_vccnz .LBB30_1075
; %bb.1068:
	global_load_ubyte v3, v[0:1], off
	s_mov_b32 s12, 0
	s_mov_b32 s13, exec_lo
	s_waitcnt vmcnt(0)
	v_cmpx_lt_i16_e32 0x7f, v3
	s_xor_b32 s13, exec_lo, s13
	s_cbranch_execz .LBB30_1088
; %bb.1069:
	s_mov_b32 s12, -1
	s_mov_b32 s14, exec_lo
	v_cmpx_eq_u16_e32 0x80, v3
; %bb.1070:
	s_xor_b32 s12, exec_lo, -1
; %bb.1071:
	s_or_b32 exec_lo, exec_lo, s14
	s_and_b32 s12, s12, exec_lo
	s_or_saveexec_b32 s13, s13
	v_mov_b32_e32 v5, 0x7f800001
	s_xor_b32 exec_lo, exec_lo, s13
	s_cbranch_execnz .LBB30_1089
.LBB30_1072:
	s_or_b32 exec_lo, exec_lo, s13
	s_and_saveexec_b32 s13, s12
	s_cbranch_execz .LBB30_1074
.LBB30_1073:
	v_and_b32_e32 v5, 0xffff, v3
	v_lshlrev_b32_e32 v3, 24, v3
	v_and_b32_e32 v6, 7, v5
	v_bfe_u32 v9, v5, 3, 4
	v_and_b32_e32 v3, 0x80000000, v3
	v_ffbh_u32_e32 v7, v6
	v_cmp_eq_u32_e32 vcc_lo, 0, v9
	v_min_u32_e32 v7, 32, v7
	v_subrev_nc_u32_e32 v8, 28, v7
	v_sub_nc_u32_e32 v7, 29, v7
	v_lshlrev_b32_e32 v5, v8, v5
	v_cndmask_b32_e32 v7, v9, v7, vcc_lo
	v_and_b32_e32 v5, 7, v5
	v_cndmask_b32_e32 v5, v6, v5, vcc_lo
	v_lshl_add_u32 v6, v7, 23, 0x3b800000
	v_lshlrev_b32_e32 v5, 20, v5
	v_or3_b32 v5, v3, v6, v5
.LBB30_1074:
	s_or_b32 exec_lo, exec_lo, s13
	v_bfe_u32 v3, v5, 16, 1
	v_cmp_o_f32_e32 vcc_lo, v5, v5
	v_add3_u32 v3, v5, v3, 0x7fff
	v_mov_b32_e32 v5, 0x7fc0
	v_cndmask_b32_sdwa v3, v5, v3, vcc_lo dst_sel:DWORD dst_unused:UNUSED_PAD src0_sel:DWORD src1_sel:WORD_1
.LBB30_1075:
	s_mov_b32 s12, -1
.LBB30_1076:
	s_branch .LBB30_1108
.LBB30_1077:
	s_cmp_gt_i32 s0, 22
	s_cbranch_scc0 .LBB30_1087
; %bb.1078:
	s_cmp_lt_i32 s0, 24
	s_cbranch_scc1 .LBB30_1090
; %bb.1079:
	s_cmp_gt_i32 s0, 24
	s_cbranch_scc0 .LBB30_1091
; %bb.1080:
	global_load_ubyte v3, v[0:1], off
	s_mov_b32 s12, exec_lo
	s_waitcnt vmcnt(0)
	v_cmpx_lt_i16_e32 0x7f, v3
	s_xor_b32 s12, exec_lo, s12
	s_cbranch_execz .LBB30_1102
; %bb.1081:
	s_mov_b32 s5, -1
	s_mov_b32 s13, exec_lo
	v_cmpx_eq_u16_e32 0x80, v3
; %bb.1082:
	s_xor_b32 s5, exec_lo, -1
; %bb.1083:
	s_or_b32 exec_lo, exec_lo, s13
	s_and_b32 s5, s5, exec_lo
	s_or_saveexec_b32 s12, s12
	v_mov_b32_e32 v5, 0x7f800001
	s_xor_b32 exec_lo, exec_lo, s12
	s_cbranch_execnz .LBB30_1103
.LBB30_1084:
	s_or_b32 exec_lo, exec_lo, s12
	s_and_saveexec_b32 s12, s5
	s_cbranch_execz .LBB30_1086
.LBB30_1085:
	v_and_b32_e32 v5, 0xffff, v3
	v_lshlrev_b32_e32 v3, 24, v3
	v_and_b32_e32 v6, 3, v5
	v_bfe_u32 v9, v5, 2, 5
	v_and_b32_e32 v3, 0x80000000, v3
	v_ffbh_u32_e32 v7, v6
	v_cmp_eq_u32_e32 vcc_lo, 0, v9
	v_min_u32_e32 v7, 32, v7
	v_subrev_nc_u32_e32 v8, 29, v7
	v_sub_nc_u32_e32 v7, 30, v7
	v_lshlrev_b32_e32 v5, v8, v5
	v_cndmask_b32_e32 v7, v9, v7, vcc_lo
	v_and_b32_e32 v5, 3, v5
	v_cndmask_b32_e32 v5, v6, v5, vcc_lo
	v_lshl_add_u32 v6, v7, 23, 0x37800000
	v_lshlrev_b32_e32 v5, 21, v5
	v_or3_b32 v5, v3, v6, v5
.LBB30_1086:
	s_or_b32 exec_lo, exec_lo, s12
	v_bfe_u32 v3, v5, 16, 1
	v_cmp_o_f32_e32 vcc_lo, v5, v5
	s_mov_b32 s5, 0
	v_add3_u32 v3, v5, v3, 0x7fff
	v_mov_b32_e32 v5, 0x7fc0
	v_cndmask_b32_sdwa v3, v5, v3, vcc_lo dst_sel:DWORD dst_unused:UNUSED_PAD src0_sel:DWORD src1_sel:WORD_1
	s_branch .LBB30_1092
.LBB30_1087:
                                        ; implicit-def: $vgpr3
	s_mov_b32 s5, 0
	s_branch .LBB30_1098
.LBB30_1088:
	s_or_saveexec_b32 s13, s13
	v_mov_b32_e32 v5, 0x7f800001
	s_xor_b32 exec_lo, exec_lo, s13
	s_cbranch_execz .LBB30_1072
.LBB30_1089:
	v_cmp_ne_u16_e32 vcc_lo, 0, v3
	v_mov_b32_e32 v5, 0
	s_andn2_b32 s12, s12, exec_lo
	s_and_b32 s14, vcc_lo, exec_lo
	s_or_b32 s12, s12, s14
	s_or_b32 exec_lo, exec_lo, s13
	s_and_saveexec_b32 s13, s12
	s_cbranch_execnz .LBB30_1073
	s_branch .LBB30_1074
.LBB30_1090:
	s_mov_b32 s5, -1
                                        ; implicit-def: $vgpr3
	s_branch .LBB30_1095
.LBB30_1091:
	s_mov_b32 s5, -1
                                        ; implicit-def: $vgpr3
.LBB30_1092:
	s_and_b32 vcc_lo, exec_lo, s5
	s_cbranch_vccz .LBB30_1094
; %bb.1093:
	global_load_ubyte v3, v[0:1], off
	s_waitcnt vmcnt(0)
	v_lshlrev_b32_e32 v3, 24, v3
	v_and_b32_e32 v5, 0x7f000000, v3
	v_ffbh_u32_e32 v6, v5
	v_add_nc_u32_e32 v8, 0x1000000, v5
	v_cmp_ne_u32_e32 vcc_lo, 0, v5
	v_min_u32_e32 v6, 32, v6
	v_sub_nc_u32_e64 v6, v6, 4 clamp
	v_lshlrev_b32_e32 v7, v6, v5
	v_lshlrev_b32_e32 v6, 23, v6
	v_lshrrev_b32_e32 v7, 4, v7
	v_sub_nc_u32_e32 v6, v7, v6
	v_ashrrev_i32_e32 v7, 8, v8
	v_add_nc_u32_e32 v6, 0x3c000000, v6
	v_and_or_b32 v6, 0x7f800000, v7, v6
	v_cndmask_b32_e32 v5, 0, v6, vcc_lo
	v_and_or_b32 v3, 0x80000000, v3, v5
	v_bfe_u32 v5, v5, 16, 1
	v_cmp_o_f32_e32 vcc_lo, v3, v3
	v_add3_u32 v3, v3, v5, 0x7fff
	v_mov_b32_e32 v5, 0x7fc0
	v_cndmask_b32_sdwa v3, v5, v3, vcc_lo dst_sel:DWORD dst_unused:UNUSED_PAD src0_sel:DWORD src1_sel:WORD_1
.LBB30_1094:
	s_mov_b32 s5, 0
.LBB30_1095:
	s_andn2_b32 vcc_lo, exec_lo, s5
	s_cbranch_vccnz .LBB30_1097
; %bb.1096:
	global_load_ubyte v3, v[0:1], off
	s_waitcnt vmcnt(0)
	v_lshlrev_b32_e32 v5, 25, v3
	v_lshlrev_b16 v3, 8, v3
	v_lshrrev_b32_e32 v6, 4, v5
	v_and_or_b32 v7, 0x7f00, v3, 0.5
	v_cmp_gt_u32_e32 vcc_lo, 0x8000000, v5
	v_bfe_i32 v3, v3, 0, 16
	v_or_b32_e32 v6, 0x70000000, v6
	v_add_f32_e32 v7, -0.5, v7
	v_mul_f32_e32 v6, 0x7800000, v6
	v_cndmask_b32_e32 v5, v6, v7, vcc_lo
	v_and_or_b32 v3, 0x80000000, v3, v5
	v_bfe_u32 v5, v5, 16, 1
	v_cmp_o_f32_e32 vcc_lo, v3, v3
	v_add3_u32 v3, v3, v5, 0x7fff
	v_mov_b32_e32 v5, 0x7fc0
	v_cndmask_b32_sdwa v3, v5, v3, vcc_lo dst_sel:DWORD dst_unused:UNUSED_PAD src0_sel:DWORD src1_sel:WORD_1
.LBB30_1097:
	s_mov_b32 s12, -1
	s_mov_b32 s5, 0
	s_cbranch_execnz .LBB30_1108
.LBB30_1098:
	s_cmp_gt_i32 s0, 14
	s_cbranch_scc0 .LBB30_1101
; %bb.1099:
	s_cmp_eq_u32 s0, 15
	s_cbranch_scc0 .LBB30_1104
; %bb.1100:
	global_load_ushort v3, v[0:1], off
	s_mov_b32 s4, 0
	s_mov_b32 s12, -1
	s_branch .LBB30_1106
.LBB30_1101:
	s_mov_b32 s5, -1
	s_branch .LBB30_1105
.LBB30_1102:
	s_or_saveexec_b32 s12, s12
	v_mov_b32_e32 v5, 0x7f800001
	s_xor_b32 exec_lo, exec_lo, s12
	s_cbranch_execz .LBB30_1084
.LBB30_1103:
	v_cmp_ne_u16_e32 vcc_lo, 0, v3
	v_mov_b32_e32 v5, 0
	s_andn2_b32 s5, s5, exec_lo
	s_and_b32 s13, vcc_lo, exec_lo
	s_or_b32 s5, s5, s13
	s_or_b32 exec_lo, exec_lo, s12
	s_and_saveexec_b32 s12, s5
	s_cbranch_execnz .LBB30_1085
	s_branch .LBB30_1086
.LBB30_1104:
	s_mov_b32 s4, -1
.LBB30_1105:
                                        ; implicit-def: $vgpr3
.LBB30_1106:
	s_and_b32 vcc_lo, exec_lo, s5
	s_mov_b32 s5, 0
	s_cbranch_vccz .LBB30_1108
; %bb.1107:
	s_cmp_lg_u32 s0, 11
	s_mov_b32 s5, -1
	s_cselect_b32 s4, -1, 0
.LBB30_1108:
	s_and_b32 vcc_lo, exec_lo, s4
	s_mov_b32 s4, s7
	s_cbranch_vccnz .LBB30_1169
; %bb.1109:
	s_andn2_b32 vcc_lo, exec_lo, s5
	s_cbranch_vccnz .LBB30_1111
.LBB30_1110:
	global_load_ubyte v3, v[0:1], off
	s_mov_b32 s12, -1
	s_waitcnt vmcnt(0)
	v_cmp_ne_u16_e32 vcc_lo, 0, v3
	v_cndmask_b32_e64 v3, 0, 1.0, vcc_lo
	v_lshrrev_b32_e32 v3, 16, v3
.LBB30_1111:
	s_branch .LBB30_1040
.LBB30_1112:
	s_cmp_lt_i32 s0, 5
	s_cbranch_scc1 .LBB30_1117
; %bb.1113:
	s_cmp_lt_i32 s0, 8
	s_cbranch_scc1 .LBB30_1118
; %bb.1114:
	;; [unrolled: 3-line block ×3, first 2 shown]
	s_cmp_gt_i32 s0, 9
	s_cbranch_scc0 .LBB30_1120
; %bb.1116:
	global_load_dwordx2 v[5:6], v[0:1], off
	s_mov_b32 s5, 0
	s_waitcnt vmcnt(0)
	v_cvt_f32_f64_e32 v3, v[5:6]
	v_bfe_u32 v5, v3, 16, 1
	v_cmp_o_f32_e32 vcc_lo, v3, v3
	v_add3_u32 v3, v3, v5, 0x7fff
	v_mov_b32_e32 v5, 0x7fc0
	v_cndmask_b32_sdwa v3, v5, v3, vcc_lo dst_sel:DWORD dst_unused:UNUSED_PAD src0_sel:DWORD src1_sel:WORD_1
	s_branch .LBB30_1121
.LBB30_1117:
                                        ; implicit-def: $vgpr3
	s_branch .LBB30_1138
.LBB30_1118:
                                        ; implicit-def: $vgpr3
	s_branch .LBB30_1127
.LBB30_1119:
	s_mov_b32 s5, -1
                                        ; implicit-def: $vgpr3
	s_branch .LBB30_1124
.LBB30_1120:
	s_mov_b32 s5, -1
                                        ; implicit-def: $vgpr3
.LBB30_1121:
	s_andn2_b32 vcc_lo, exec_lo, s5
	s_cbranch_vccnz .LBB30_1123
; %bb.1122:
	global_load_dword v3, v[0:1], off
	s_waitcnt vmcnt(0)
	v_bfe_u32 v5, v3, 16, 1
	v_cmp_o_f32_e32 vcc_lo, v3, v3
	v_add3_u32 v3, v3, v5, 0x7fff
	v_mov_b32_e32 v5, 0x7fc0
	v_cndmask_b32_sdwa v3, v5, v3, vcc_lo dst_sel:DWORD dst_unused:UNUSED_PAD src0_sel:DWORD src1_sel:WORD_1
.LBB30_1123:
	s_mov_b32 s5, 0
.LBB30_1124:
	s_andn2_b32 vcc_lo, exec_lo, s5
	s_cbranch_vccnz .LBB30_1126
; %bb.1125:
	global_load_dword v3, v[0:1], off
	s_waitcnt vmcnt(0)
	v_cvt_f32_f16_e32 v5, v3
	v_cmp_o_f16_e32 vcc_lo, v3, v3
	v_bfe_u32 v6, v5, 16, 1
	v_add3_u32 v3, v5, v6, 0x7fff
	v_mov_b32_e32 v5, 0x7fc0
	v_cndmask_b32_sdwa v3, v5, v3, vcc_lo dst_sel:DWORD dst_unused:UNUSED_PAD src0_sel:DWORD src1_sel:WORD_1
.LBB30_1126:
	s_cbranch_execnz .LBB30_1137
.LBB30_1127:
	s_cmp_lt_i32 s0, 6
	s_cbranch_scc1 .LBB30_1130
; %bb.1128:
	s_cmp_gt_i32 s0, 6
	s_cbranch_scc0 .LBB30_1131
; %bb.1129:
	global_load_dwordx2 v[5:6], v[0:1], off
	s_mov_b32 s5, 0
	s_waitcnt vmcnt(0)
	v_cvt_f32_f64_e32 v3, v[5:6]
	v_bfe_u32 v5, v3, 16, 1
	v_cmp_o_f32_e32 vcc_lo, v3, v3
	v_add3_u32 v3, v3, v5, 0x7fff
	v_mov_b32_e32 v5, 0x7fc0
	v_cndmask_b32_sdwa v3, v5, v3, vcc_lo dst_sel:DWORD dst_unused:UNUSED_PAD src0_sel:DWORD src1_sel:WORD_1
	s_branch .LBB30_1132
.LBB30_1130:
	s_mov_b32 s5, -1
                                        ; implicit-def: $vgpr3
	s_branch .LBB30_1135
.LBB30_1131:
	s_mov_b32 s5, -1
                                        ; implicit-def: $vgpr3
.LBB30_1132:
	s_andn2_b32 vcc_lo, exec_lo, s5
	s_cbranch_vccnz .LBB30_1134
; %bb.1133:
	global_load_dword v3, v[0:1], off
	s_waitcnt vmcnt(0)
	v_bfe_u32 v5, v3, 16, 1
	v_cmp_o_f32_e32 vcc_lo, v3, v3
	v_add3_u32 v3, v3, v5, 0x7fff
	v_mov_b32_e32 v5, 0x7fc0
	v_cndmask_b32_sdwa v3, v5, v3, vcc_lo dst_sel:DWORD dst_unused:UNUSED_PAD src0_sel:DWORD src1_sel:WORD_1
.LBB30_1134:
	s_mov_b32 s5, 0
.LBB30_1135:
	s_andn2_b32 vcc_lo, exec_lo, s5
	s_cbranch_vccnz .LBB30_1137
; %bb.1136:
	global_load_ushort v3, v[0:1], off
	s_waitcnt vmcnt(0)
	v_cvt_f32_f16_e32 v5, v3
	v_cmp_o_f16_e32 vcc_lo, v3, v3
	v_bfe_u32 v6, v5, 16, 1
	v_add3_u32 v3, v5, v6, 0x7fff
	v_mov_b32_e32 v5, 0x7fc0
	v_cndmask_b32_sdwa v3, v5, v3, vcc_lo dst_sel:DWORD dst_unused:UNUSED_PAD src0_sel:DWORD src1_sel:WORD_1
.LBB30_1137:
	s_cbranch_execnz .LBB30_1156
.LBB30_1138:
	s_cmp_lt_i32 s0, 2
	s_cbranch_scc1 .LBB30_1142
; %bb.1139:
	s_cmp_lt_i32 s0, 3
	s_cbranch_scc1 .LBB30_1143
; %bb.1140:
	s_cmp_gt_i32 s0, 3
	s_cbranch_scc0 .LBB30_1144
; %bb.1141:
	global_load_dwordx2 v[5:6], v[0:1], off
	s_mov_b32 s5, 0
	s_waitcnt vmcnt(0)
	v_xor_b32_e32 v3, v5, v6
	v_ffbh_i32_e32 v7, v6
	v_ashrrev_i32_e32 v3, 31, v3
	v_add_nc_u32_e32 v7, -1, v7
	v_add_nc_u32_e32 v3, 32, v3
	v_min_u32_e32 v3, v7, v3
	v_lshlrev_b64 v[5:6], v3, v[5:6]
	v_sub_nc_u32_e32 v3, 32, v3
	v_min_u32_e32 v5, 1, v5
	v_or_b32_e32 v5, v6, v5
	v_cvt_f32_i32_e32 v5, v5
	v_ldexp_f32 v3, v5, v3
	v_bfe_u32 v5, v3, 16, 1
	v_add3_u32 v3, v3, v5, 0x7fff
	v_lshrrev_b32_e32 v3, 16, v3
	s_branch .LBB30_1145
.LBB30_1142:
                                        ; implicit-def: $vgpr3
	s_branch .LBB30_1151
.LBB30_1143:
	s_mov_b32 s5, -1
                                        ; implicit-def: $vgpr3
	s_branch .LBB30_1148
.LBB30_1144:
	s_mov_b32 s5, -1
                                        ; implicit-def: $vgpr3
.LBB30_1145:
	s_andn2_b32 vcc_lo, exec_lo, s5
	s_cbranch_vccnz .LBB30_1147
; %bb.1146:
	global_load_dword v3, v[0:1], off
	s_waitcnt vmcnt(0)
	v_cvt_f32_i32_e32 v3, v3
	v_bfe_u32 v5, v3, 16, 1
	v_add3_u32 v3, v3, v5, 0x7fff
	v_lshrrev_b32_e32 v3, 16, v3
.LBB30_1147:
	s_mov_b32 s5, 0
.LBB30_1148:
	s_andn2_b32 vcc_lo, exec_lo, s5
	s_cbranch_vccnz .LBB30_1150
; %bb.1149:
	global_load_sshort v3, v[0:1], off
	s_waitcnt vmcnt(0)
	v_cvt_f32_i32_e32 v3, v3
	v_bfe_u32 v5, v3, 16, 1
	v_add3_u32 v3, v3, v5, 0x7fff
	v_lshrrev_b32_e32 v3, 16, v3
.LBB30_1150:
	s_cbranch_execnz .LBB30_1156
.LBB30_1151:
	s_cmp_gt_i32 s0, 0
	s_mov_b32 s5, 0
	s_cbranch_scc0 .LBB30_1153
; %bb.1152:
	global_load_sbyte v3, v[0:1], off
	s_waitcnt vmcnt(0)
	v_cvt_f32_i32_e32 v3, v3
	v_bfe_u32 v5, v3, 16, 1
	v_add3_u32 v3, v3, v5, 0x7fff
	v_lshrrev_b32_e32 v3, 16, v3
	s_branch .LBB30_1154
.LBB30_1153:
	s_mov_b32 s5, -1
                                        ; implicit-def: $vgpr3
.LBB30_1154:
	s_andn2_b32 vcc_lo, exec_lo, s5
	s_cbranch_vccnz .LBB30_1156
; %bb.1155:
	global_load_ubyte v0, v[0:1], off
	s_waitcnt vmcnt(0)
	v_cvt_f32_ubyte0_e32 v0, v0
	v_bfe_u32 v1, v0, 16, 1
	v_add3_u32 v0, v0, v1, 0x7fff
	v_lshrrev_b32_e32 v3, 16, v0
.LBB30_1156:
.LBB30_1157:
	s_lshl_b32 s3, s3, 7
	s_cmp_lt_i32 s0, 11
	v_add_nc_u32_e32 v5, s3, v4
	v_ashrrev_i32_e32 v1, 31, v5
	v_add_co_u32 v0, vcc_lo, s10, v5
	v_add_co_ci_u32_e64 v1, null, s11, v1, vcc_lo
	s_cbranch_scc1 .LBB30_1164
; %bb.1158:
	s_cmp_gt_i32 s0, 25
	s_mov_b32 s12, 0
	s_cbranch_scc0 .LBB30_1166
; %bb.1159:
	s_cmp_gt_i32 s0, 28
	s_cbranch_scc0 .LBB30_1167
; %bb.1160:
	s_cmp_gt_i32 s0, 43
	;; [unrolled: 3-line block ×3, first 2 shown]
	s_cbranch_scc0 .LBB30_1170
; %bb.1162:
	s_cmp_eq_u32 s0, 46
	s_mov_b32 s14, 0
	s_cbranch_scc0 .LBB30_1173
; %bb.1163:
	global_load_dword v4, v[0:1], off
	s_mov_b32 s5, 0
	s_mov_b32 s13, -1
	s_branch .LBB30_1175
.LBB30_1164:
	s_mov_b32 s13, 0
                                        ; implicit-def: $vgpr4
	s_cbranch_execnz .LBB30_1240
.LBB30_1165:
	s_andn2_b32 vcc_lo, exec_lo, s13
	s_cbranch_vccnz .LBB30_1981
	s_branch .LBB30_1287
.LBB30_1166:
	s_mov_b32 s13, 0
	s_mov_b32 s5, 0
                                        ; implicit-def: $vgpr4
	s_cbranch_execnz .LBB30_1204
	s_branch .LBB30_1236
.LBB30_1167:
	s_mov_b32 s14, -1
	s_mov_b32 s13, 0
	s_mov_b32 s5, 0
                                        ; implicit-def: $vgpr4
	s_branch .LBB30_1185
.LBB30_1168:
	s_mov_b32 s14, -1
	s_mov_b32 s13, 0
	s_mov_b32 s5, 0
                                        ; implicit-def: $vgpr4
	s_branch .LBB30_1180
.LBB30_1169:
	s_or_b32 s4, s7, exec_lo
	s_trap 2
	s_cbranch_execz .LBB30_1110
	s_branch .LBB30_1111
.LBB30_1170:
	s_mov_b32 s14, -1
	s_mov_b32 s13, 0
	s_mov_b32 s5, 0
	s_branch .LBB30_1174
.LBB30_1171:
	s_andn2_saveexec_b32 s19, s19
	s_cbranch_execz .LBB30_956
.LBB30_1172:
	v_add_f32_e64 v4, 0x42800000, |v5|
	s_andn2_b32 s18, s18, exec_lo
	v_and_b32_e32 v4, 0xff, v4
	v_cmp_ne_u32_e32 vcc_lo, 0, v4
	s_and_b32 s20, vcc_lo, exec_lo
	s_or_b32 s18, s18, s20
	s_or_b32 exec_lo, exec_lo, s19
	v_mov_b32_e32 v6, 0
	s_and_saveexec_b32 s19, s18
	s_cbranch_execnz .LBB30_957
	s_branch .LBB30_958
.LBB30_1173:
	s_mov_b32 s5, -1
	s_mov_b32 s13, 0
.LBB30_1174:
                                        ; implicit-def: $vgpr4
.LBB30_1175:
	s_and_b32 vcc_lo, exec_lo, s14
	s_cbranch_vccz .LBB30_1179
; %bb.1176:
	s_cmp_eq_u32 s0, 44
	s_cbranch_scc0 .LBB30_1178
; %bb.1177:
	global_load_ubyte v4, v[0:1], off
	s_mov_b32 s5, 0
	s_mov_b32 s13, -1
	s_waitcnt vmcnt(0)
	v_lshlrev_b32_e32 v6, 23, v4
	v_cmp_ne_u32_e32 vcc_lo, 0xff, v4
	v_cndmask_b32_e32 v6, 0x7f800001, v6, vcc_lo
	v_cmp_ne_u32_e32 vcc_lo, 0, v4
	v_cndmask_b32_e32 v4, 0x400000, v6, vcc_lo
	v_mov_b32_e32 v6, 0x7fc0
	v_cmp_o_f32_e32 vcc_lo, v4, v4
	v_add_nc_u32_e32 v4, 0x7fff, v4
	v_cndmask_b32_sdwa v4, v6, v4, vcc_lo dst_sel:DWORD dst_unused:UNUSED_PAD src0_sel:DWORD src1_sel:WORD_1
	s_branch .LBB30_1179
.LBB30_1178:
	s_mov_b32 s5, -1
                                        ; implicit-def: $vgpr4
.LBB30_1179:
	s_mov_b32 s14, 0
.LBB30_1180:
	s_and_b32 vcc_lo, exec_lo, s14
	s_cbranch_vccz .LBB30_1184
; %bb.1181:
	s_cmp_eq_u32 s0, 29
	s_cbranch_scc0 .LBB30_1183
; %bb.1182:
	global_load_dwordx2 v[6:7], v[0:1], off
	s_mov_b32 s5, 0
	s_mov_b32 s13, -1
	s_mov_b32 s14, 0
	s_waitcnt vmcnt(0)
	v_ffbh_u32_e32 v4, v7
	v_min_u32_e32 v4, 32, v4
	v_lshlrev_b64 v[6:7], v4, v[6:7]
	v_sub_nc_u32_e32 v4, 32, v4
	v_min_u32_e32 v6, 1, v6
	v_or_b32_e32 v6, v7, v6
	v_cvt_f32_u32_e32 v6, v6
	v_ldexp_f32 v4, v6, v4
	v_bfe_u32 v6, v4, 16, 1
	v_add3_u32 v4, v4, v6, 0x7fff
	v_lshrrev_b32_e32 v4, 16, v4
	s_branch .LBB30_1185
.LBB30_1183:
	s_mov_b32 s5, -1
                                        ; implicit-def: $vgpr4
.LBB30_1184:
	s_mov_b32 s14, 0
.LBB30_1185:
	s_and_b32 vcc_lo, exec_lo, s14
	s_cbranch_vccz .LBB30_1203
; %bb.1186:
	s_cmp_lt_i32 s0, 27
	s_cbranch_scc1 .LBB30_1189
; %bb.1187:
	s_cmp_gt_i32 s0, 27
	s_cbranch_scc0 .LBB30_1190
; %bb.1188:
	global_load_dword v4, v[0:1], off
	s_mov_b32 s13, 0
	s_waitcnt vmcnt(0)
	v_cvt_f32_u32_e32 v4, v4
	v_bfe_u32 v6, v4, 16, 1
	v_add3_u32 v4, v4, v6, 0x7fff
	v_lshrrev_b32_e32 v4, 16, v4
	s_branch .LBB30_1191
.LBB30_1189:
	s_mov_b32 s13, -1
                                        ; implicit-def: $vgpr4
	s_branch .LBB30_1194
.LBB30_1190:
	s_mov_b32 s13, -1
                                        ; implicit-def: $vgpr4
.LBB30_1191:
	s_andn2_b32 vcc_lo, exec_lo, s13
	s_cbranch_vccnz .LBB30_1193
; %bb.1192:
	global_load_ushort v4, v[0:1], off
	s_waitcnt vmcnt(0)
	v_cvt_f32_u32_e32 v4, v4
	v_bfe_u32 v6, v4, 16, 1
	v_add3_u32 v4, v4, v6, 0x7fff
	v_lshrrev_b32_e32 v4, 16, v4
.LBB30_1193:
	s_mov_b32 s13, 0
.LBB30_1194:
	s_andn2_b32 vcc_lo, exec_lo, s13
	s_cbranch_vccnz .LBB30_1202
; %bb.1195:
	global_load_ubyte v4, v[0:1], off
	s_mov_b32 s13, 0
	s_mov_b32 s14, exec_lo
	s_waitcnt vmcnt(0)
	v_cmpx_lt_i16_e32 0x7f, v4
	s_xor_b32 s14, exec_lo, s14
	s_cbranch_execz .LBB30_1215
; %bb.1196:
	s_mov_b32 s13, -1
	s_mov_b32 s15, exec_lo
	v_cmpx_eq_u16_e32 0x80, v4
; %bb.1197:
	s_xor_b32 s13, exec_lo, -1
; %bb.1198:
	s_or_b32 exec_lo, exec_lo, s15
	s_and_b32 s13, s13, exec_lo
	s_or_saveexec_b32 s14, s14
	v_mov_b32_e32 v6, 0x7f800001
	s_xor_b32 exec_lo, exec_lo, s14
	s_cbranch_execnz .LBB30_1216
.LBB30_1199:
	s_or_b32 exec_lo, exec_lo, s14
	s_and_saveexec_b32 s14, s13
	s_cbranch_execz .LBB30_1201
.LBB30_1200:
	v_and_b32_e32 v6, 0xffff, v4
	v_lshlrev_b32_e32 v4, 24, v4
	v_and_b32_e32 v7, 7, v6
	v_bfe_u32 v10, v6, 3, 4
	v_and_b32_e32 v4, 0x80000000, v4
	v_ffbh_u32_e32 v8, v7
	v_cmp_eq_u32_e32 vcc_lo, 0, v10
	v_min_u32_e32 v8, 32, v8
	v_subrev_nc_u32_e32 v9, 28, v8
	v_sub_nc_u32_e32 v8, 29, v8
	v_lshlrev_b32_e32 v6, v9, v6
	v_cndmask_b32_e32 v8, v10, v8, vcc_lo
	v_and_b32_e32 v6, 7, v6
	v_cndmask_b32_e32 v6, v7, v6, vcc_lo
	v_lshl_add_u32 v7, v8, 23, 0x3b800000
	v_lshlrev_b32_e32 v6, 20, v6
	v_or3_b32 v6, v4, v7, v6
.LBB30_1201:
	s_or_b32 exec_lo, exec_lo, s14
	v_bfe_u32 v4, v6, 16, 1
	v_cmp_o_f32_e32 vcc_lo, v6, v6
	v_add3_u32 v4, v6, v4, 0x7fff
	v_mov_b32_e32 v6, 0x7fc0
	v_cndmask_b32_sdwa v4, v6, v4, vcc_lo dst_sel:DWORD dst_unused:UNUSED_PAD src0_sel:DWORD src1_sel:WORD_1
.LBB30_1202:
	s_mov_b32 s13, -1
.LBB30_1203:
	s_branch .LBB30_1236
.LBB30_1204:
	s_cmp_gt_i32 s0, 22
	s_cbranch_scc0 .LBB30_1214
; %bb.1205:
	s_cmp_lt_i32 s0, 24
	s_cbranch_scc1 .LBB30_1217
; %bb.1206:
	s_cmp_gt_i32 s0, 24
	s_cbranch_scc0 .LBB30_1218
; %bb.1207:
	global_load_ubyte v4, v[0:1], off
	s_mov_b32 s13, exec_lo
	s_waitcnt vmcnt(0)
	v_cmpx_lt_i16_e32 0x7f, v4
	s_xor_b32 s13, exec_lo, s13
	s_cbranch_execz .LBB30_1230
; %bb.1208:
	s_mov_b32 s12, -1
	s_mov_b32 s14, exec_lo
	v_cmpx_eq_u16_e32 0x80, v4
; %bb.1209:
	s_xor_b32 s12, exec_lo, -1
; %bb.1210:
	s_or_b32 exec_lo, exec_lo, s14
	s_and_b32 s12, s12, exec_lo
	s_or_saveexec_b32 s13, s13
	v_mov_b32_e32 v6, 0x7f800001
	s_xor_b32 exec_lo, exec_lo, s13
	s_cbranch_execnz .LBB30_1231
.LBB30_1211:
	s_or_b32 exec_lo, exec_lo, s13
	s_and_saveexec_b32 s13, s12
	s_cbranch_execz .LBB30_1213
.LBB30_1212:
	v_and_b32_e32 v6, 0xffff, v4
	v_lshlrev_b32_e32 v4, 24, v4
	v_and_b32_e32 v7, 3, v6
	v_bfe_u32 v10, v6, 2, 5
	v_and_b32_e32 v4, 0x80000000, v4
	v_ffbh_u32_e32 v8, v7
	v_cmp_eq_u32_e32 vcc_lo, 0, v10
	v_min_u32_e32 v8, 32, v8
	v_subrev_nc_u32_e32 v9, 29, v8
	v_sub_nc_u32_e32 v8, 30, v8
	v_lshlrev_b32_e32 v6, v9, v6
	v_cndmask_b32_e32 v8, v10, v8, vcc_lo
	v_and_b32_e32 v6, 3, v6
	v_cndmask_b32_e32 v6, v7, v6, vcc_lo
	v_lshl_add_u32 v7, v8, 23, 0x37800000
	v_lshlrev_b32_e32 v6, 21, v6
	v_or3_b32 v6, v4, v7, v6
.LBB30_1213:
	s_or_b32 exec_lo, exec_lo, s13
	v_bfe_u32 v4, v6, 16, 1
	v_cmp_o_f32_e32 vcc_lo, v6, v6
	s_mov_b32 s12, 0
	v_add3_u32 v4, v6, v4, 0x7fff
	v_mov_b32_e32 v6, 0x7fc0
	v_cndmask_b32_sdwa v4, v6, v4, vcc_lo dst_sel:DWORD dst_unused:UNUSED_PAD src0_sel:DWORD src1_sel:WORD_1
	s_branch .LBB30_1219
.LBB30_1214:
	s_mov_b32 s12, -1
                                        ; implicit-def: $vgpr4
	s_branch .LBB30_1225
.LBB30_1215:
	s_or_saveexec_b32 s14, s14
	v_mov_b32_e32 v6, 0x7f800001
	s_xor_b32 exec_lo, exec_lo, s14
	s_cbranch_execz .LBB30_1199
.LBB30_1216:
	v_cmp_ne_u16_e32 vcc_lo, 0, v4
	v_mov_b32_e32 v6, 0
	s_andn2_b32 s13, s13, exec_lo
	s_and_b32 s15, vcc_lo, exec_lo
	s_or_b32 s13, s13, s15
	s_or_b32 exec_lo, exec_lo, s14
	s_and_saveexec_b32 s14, s13
	s_cbranch_execnz .LBB30_1200
	s_branch .LBB30_1201
.LBB30_1217:
	s_mov_b32 s12, -1
                                        ; implicit-def: $vgpr4
	s_branch .LBB30_1222
.LBB30_1218:
	s_mov_b32 s12, -1
                                        ; implicit-def: $vgpr4
.LBB30_1219:
	s_and_b32 vcc_lo, exec_lo, s12
	s_cbranch_vccz .LBB30_1221
; %bb.1220:
	global_load_ubyte v4, v[0:1], off
	s_waitcnt vmcnt(0)
	v_lshlrev_b32_e32 v4, 24, v4
	v_and_b32_e32 v6, 0x7f000000, v4
	v_ffbh_u32_e32 v7, v6
	v_add_nc_u32_e32 v9, 0x1000000, v6
	v_cmp_ne_u32_e32 vcc_lo, 0, v6
	v_min_u32_e32 v7, 32, v7
	v_sub_nc_u32_e64 v7, v7, 4 clamp
	v_lshlrev_b32_e32 v8, v7, v6
	v_lshlrev_b32_e32 v7, 23, v7
	v_lshrrev_b32_e32 v8, 4, v8
	v_sub_nc_u32_e32 v7, v8, v7
	v_ashrrev_i32_e32 v8, 8, v9
	v_add_nc_u32_e32 v7, 0x3c000000, v7
	v_and_or_b32 v7, 0x7f800000, v8, v7
	v_cndmask_b32_e32 v6, 0, v7, vcc_lo
	v_and_or_b32 v4, 0x80000000, v4, v6
	v_bfe_u32 v6, v6, 16, 1
	v_cmp_o_f32_e32 vcc_lo, v4, v4
	v_add3_u32 v4, v4, v6, 0x7fff
	v_mov_b32_e32 v6, 0x7fc0
	v_cndmask_b32_sdwa v4, v6, v4, vcc_lo dst_sel:DWORD dst_unused:UNUSED_PAD src0_sel:DWORD src1_sel:WORD_1
.LBB30_1221:
	s_mov_b32 s12, 0
.LBB30_1222:
	s_andn2_b32 vcc_lo, exec_lo, s12
	s_cbranch_vccnz .LBB30_1224
; %bb.1223:
	global_load_ubyte v4, v[0:1], off
	s_waitcnt vmcnt(0)
	v_lshlrev_b32_e32 v6, 25, v4
	v_lshlrev_b16 v4, 8, v4
	v_lshrrev_b32_e32 v7, 4, v6
	v_and_or_b32 v8, 0x7f00, v4, 0.5
	v_cmp_gt_u32_e32 vcc_lo, 0x8000000, v6
	v_bfe_i32 v4, v4, 0, 16
	v_or_b32_e32 v7, 0x70000000, v7
	v_add_f32_e32 v8, -0.5, v8
	v_mul_f32_e32 v7, 0x7800000, v7
	v_cndmask_b32_e32 v6, v7, v8, vcc_lo
	v_and_or_b32 v4, 0x80000000, v4, v6
	v_bfe_u32 v6, v6, 16, 1
	v_cmp_o_f32_e32 vcc_lo, v4, v4
	v_add3_u32 v4, v4, v6, 0x7fff
	v_mov_b32_e32 v6, 0x7fc0
	v_cndmask_b32_sdwa v4, v6, v4, vcc_lo dst_sel:DWORD dst_unused:UNUSED_PAD src0_sel:DWORD src1_sel:WORD_1
.LBB30_1224:
	s_mov_b32 s12, 0
	s_mov_b32 s13, -1
.LBB30_1225:
	s_andn2_b32 vcc_lo, exec_lo, s12
	s_mov_b32 s12, 0
	s_cbranch_vccnz .LBB30_1236
; %bb.1226:
	s_cmp_gt_i32 s0, 14
	s_cbranch_scc0 .LBB30_1229
; %bb.1227:
	s_cmp_eq_u32 s0, 15
	s_cbranch_scc0 .LBB30_1232
; %bb.1228:
	global_load_ushort v4, v[0:1], off
	s_mov_b32 s5, 0
	s_mov_b32 s13, -1
	s_branch .LBB30_1234
.LBB30_1229:
	s_mov_b32 s12, -1
	s_branch .LBB30_1233
.LBB30_1230:
	s_or_saveexec_b32 s13, s13
	v_mov_b32_e32 v6, 0x7f800001
	s_xor_b32 exec_lo, exec_lo, s13
	s_cbranch_execz .LBB30_1211
.LBB30_1231:
	v_cmp_ne_u16_e32 vcc_lo, 0, v4
	v_mov_b32_e32 v6, 0
	s_andn2_b32 s12, s12, exec_lo
	s_and_b32 s14, vcc_lo, exec_lo
	s_or_b32 s12, s12, s14
	s_or_b32 exec_lo, exec_lo, s13
	s_and_saveexec_b32 s13, s12
	s_cbranch_execnz .LBB30_1212
	s_branch .LBB30_1213
.LBB30_1232:
	s_mov_b32 s5, -1
.LBB30_1233:
                                        ; implicit-def: $vgpr4
.LBB30_1234:
	s_and_b32 vcc_lo, exec_lo, s12
	s_mov_b32 s12, 0
	s_cbranch_vccz .LBB30_1236
; %bb.1235:
	s_cmp_lg_u32 s0, 11
	s_mov_b32 s12, -1
	s_cselect_b32 s5, -1, 0
.LBB30_1236:
	s_and_b32 vcc_lo, exec_lo, s5
	s_cbranch_vccnz .LBB30_1299
; %bb.1237:
	s_andn2_b32 vcc_lo, exec_lo, s12
	s_cbranch_vccnz .LBB30_1239
.LBB30_1238:
	global_load_ubyte v4, v[0:1], off
	s_mov_b32 s13, -1
	s_waitcnt vmcnt(0)
	v_cmp_ne_u16_e32 vcc_lo, 0, v4
	v_cndmask_b32_e64 v4, 0, 1.0, vcc_lo
	v_lshrrev_b32_e32 v4, 16, v4
.LBB30_1239:
	s_branch .LBB30_1165
.LBB30_1240:
	s_cmp_lt_i32 s0, 5
	s_cbranch_scc1 .LBB30_1245
; %bb.1241:
	s_cmp_lt_i32 s0, 8
	s_cbranch_scc1 .LBB30_1246
; %bb.1242:
	;; [unrolled: 3-line block ×3, first 2 shown]
	s_cmp_gt_i32 s0, 9
	s_cbranch_scc0 .LBB30_1248
; %bb.1244:
	global_load_dwordx2 v[6:7], v[0:1], off
	s_mov_b32 s5, 0
	s_waitcnt vmcnt(0)
	v_cvt_f32_f64_e32 v4, v[6:7]
	v_bfe_u32 v6, v4, 16, 1
	v_cmp_o_f32_e32 vcc_lo, v4, v4
	v_add3_u32 v4, v4, v6, 0x7fff
	v_mov_b32_e32 v6, 0x7fc0
	v_cndmask_b32_sdwa v4, v6, v4, vcc_lo dst_sel:DWORD dst_unused:UNUSED_PAD src0_sel:DWORD src1_sel:WORD_1
	s_branch .LBB30_1249
.LBB30_1245:
                                        ; implicit-def: $vgpr4
	s_branch .LBB30_1267
.LBB30_1246:
	s_mov_b32 s5, -1
                                        ; implicit-def: $vgpr4
	s_branch .LBB30_1255
.LBB30_1247:
	s_mov_b32 s5, -1
                                        ; implicit-def: $vgpr4
	s_branch .LBB30_1252
.LBB30_1248:
	s_mov_b32 s5, -1
                                        ; implicit-def: $vgpr4
.LBB30_1249:
	s_andn2_b32 vcc_lo, exec_lo, s5
	s_cbranch_vccnz .LBB30_1251
; %bb.1250:
	global_load_dword v4, v[0:1], off
	s_waitcnt vmcnt(0)
	v_bfe_u32 v6, v4, 16, 1
	v_cmp_o_f32_e32 vcc_lo, v4, v4
	v_add3_u32 v4, v4, v6, 0x7fff
	v_mov_b32_e32 v6, 0x7fc0
	v_cndmask_b32_sdwa v4, v6, v4, vcc_lo dst_sel:DWORD dst_unused:UNUSED_PAD src0_sel:DWORD src1_sel:WORD_1
.LBB30_1251:
	s_mov_b32 s5, 0
.LBB30_1252:
	s_andn2_b32 vcc_lo, exec_lo, s5
	s_cbranch_vccnz .LBB30_1254
; %bb.1253:
	global_load_dword v4, v[0:1], off
	s_waitcnt vmcnt(0)
	v_cvt_f32_f16_e32 v6, v4
	v_cmp_o_f16_e32 vcc_lo, v4, v4
	v_bfe_u32 v7, v6, 16, 1
	v_add3_u32 v4, v6, v7, 0x7fff
	v_mov_b32_e32 v6, 0x7fc0
	v_cndmask_b32_sdwa v4, v6, v4, vcc_lo dst_sel:DWORD dst_unused:UNUSED_PAD src0_sel:DWORD src1_sel:WORD_1
.LBB30_1254:
	s_mov_b32 s5, 0
.LBB30_1255:
	s_andn2_b32 vcc_lo, exec_lo, s5
	s_cbranch_vccnz .LBB30_1266
; %bb.1256:
	s_cmp_lt_i32 s0, 6
	s_cbranch_scc1 .LBB30_1259
; %bb.1257:
	s_cmp_gt_i32 s0, 6
	s_cbranch_scc0 .LBB30_1260
; %bb.1258:
	global_load_dwordx2 v[6:7], v[0:1], off
	s_mov_b32 s5, 0
	s_waitcnt vmcnt(0)
	v_cvt_f32_f64_e32 v4, v[6:7]
	v_bfe_u32 v6, v4, 16, 1
	v_cmp_o_f32_e32 vcc_lo, v4, v4
	v_add3_u32 v4, v4, v6, 0x7fff
	v_mov_b32_e32 v6, 0x7fc0
	v_cndmask_b32_sdwa v4, v6, v4, vcc_lo dst_sel:DWORD dst_unused:UNUSED_PAD src0_sel:DWORD src1_sel:WORD_1
	s_branch .LBB30_1261
.LBB30_1259:
	s_mov_b32 s5, -1
                                        ; implicit-def: $vgpr4
	s_branch .LBB30_1264
.LBB30_1260:
	s_mov_b32 s5, -1
                                        ; implicit-def: $vgpr4
.LBB30_1261:
	s_andn2_b32 vcc_lo, exec_lo, s5
	s_cbranch_vccnz .LBB30_1263
; %bb.1262:
	global_load_dword v4, v[0:1], off
	s_waitcnt vmcnt(0)
	v_bfe_u32 v6, v4, 16, 1
	v_cmp_o_f32_e32 vcc_lo, v4, v4
	v_add3_u32 v4, v4, v6, 0x7fff
	v_mov_b32_e32 v6, 0x7fc0
	v_cndmask_b32_sdwa v4, v6, v4, vcc_lo dst_sel:DWORD dst_unused:UNUSED_PAD src0_sel:DWORD src1_sel:WORD_1
.LBB30_1263:
	s_mov_b32 s5, 0
.LBB30_1264:
	s_andn2_b32 vcc_lo, exec_lo, s5
	s_cbranch_vccnz .LBB30_1266
; %bb.1265:
	global_load_ushort v4, v[0:1], off
	s_waitcnt vmcnt(0)
	v_cvt_f32_f16_e32 v6, v4
	v_cmp_o_f16_e32 vcc_lo, v4, v4
	v_bfe_u32 v7, v6, 16, 1
	v_add3_u32 v4, v6, v7, 0x7fff
	v_mov_b32_e32 v6, 0x7fc0
	v_cndmask_b32_sdwa v4, v6, v4, vcc_lo dst_sel:DWORD dst_unused:UNUSED_PAD src0_sel:DWORD src1_sel:WORD_1
.LBB30_1266:
	s_cbranch_execnz .LBB30_1286
.LBB30_1267:
	s_cmp_lt_i32 s0, 2
	s_cbranch_scc1 .LBB30_1271
; %bb.1268:
	s_cmp_lt_i32 s0, 3
	s_cbranch_scc1 .LBB30_1272
; %bb.1269:
	s_cmp_gt_i32 s0, 3
	s_cbranch_scc0 .LBB30_1273
; %bb.1270:
	global_load_dwordx2 v[6:7], v[0:1], off
	s_mov_b32 s5, 0
	s_waitcnt vmcnt(0)
	v_xor_b32_e32 v4, v6, v7
	v_ffbh_i32_e32 v8, v7
	v_ashrrev_i32_e32 v4, 31, v4
	v_add_nc_u32_e32 v8, -1, v8
	v_add_nc_u32_e32 v4, 32, v4
	v_min_u32_e32 v4, v8, v4
	v_lshlrev_b64 v[6:7], v4, v[6:7]
	v_sub_nc_u32_e32 v4, 32, v4
	v_min_u32_e32 v6, 1, v6
	v_or_b32_e32 v6, v7, v6
	v_cvt_f32_i32_e32 v6, v6
	v_ldexp_f32 v4, v6, v4
	v_bfe_u32 v6, v4, 16, 1
	v_add3_u32 v4, v4, v6, 0x7fff
	v_lshrrev_b32_e32 v4, 16, v4
	s_branch .LBB30_1274
.LBB30_1271:
	s_mov_b32 s5, -1
                                        ; implicit-def: $vgpr4
	s_branch .LBB30_1280
.LBB30_1272:
	s_mov_b32 s5, -1
                                        ; implicit-def: $vgpr4
	s_branch .LBB30_1277
.LBB30_1273:
	s_mov_b32 s5, -1
                                        ; implicit-def: $vgpr4
.LBB30_1274:
	s_andn2_b32 vcc_lo, exec_lo, s5
	s_cbranch_vccnz .LBB30_1276
; %bb.1275:
	global_load_dword v4, v[0:1], off
	s_waitcnt vmcnt(0)
	v_cvt_f32_i32_e32 v4, v4
	v_bfe_u32 v6, v4, 16, 1
	v_add3_u32 v4, v4, v6, 0x7fff
	v_lshrrev_b32_e32 v4, 16, v4
.LBB30_1276:
	s_mov_b32 s5, 0
.LBB30_1277:
	s_andn2_b32 vcc_lo, exec_lo, s5
	s_cbranch_vccnz .LBB30_1279
; %bb.1278:
	global_load_sshort v4, v[0:1], off
	s_waitcnt vmcnt(0)
	v_cvt_f32_i32_e32 v4, v4
	v_bfe_u32 v6, v4, 16, 1
	v_add3_u32 v4, v4, v6, 0x7fff
	v_lshrrev_b32_e32 v4, 16, v4
.LBB30_1279:
	s_mov_b32 s5, 0
.LBB30_1280:
	s_andn2_b32 vcc_lo, exec_lo, s5
	s_cbranch_vccnz .LBB30_1286
; %bb.1281:
	s_cmp_gt_i32 s0, 0
	s_mov_b32 s5, 0
	s_cbranch_scc0 .LBB30_1283
; %bb.1282:
	global_load_sbyte v4, v[0:1], off
	s_waitcnt vmcnt(0)
	v_cvt_f32_i32_e32 v4, v4
	v_bfe_u32 v6, v4, 16, 1
	v_add3_u32 v4, v4, v6, 0x7fff
	v_lshrrev_b32_e32 v4, 16, v4
	s_branch .LBB30_1284
.LBB30_1283:
	s_mov_b32 s5, -1
                                        ; implicit-def: $vgpr4
.LBB30_1284:
	s_andn2_b32 vcc_lo, exec_lo, s5
	s_cbranch_vccnz .LBB30_1286
; %bb.1285:
	global_load_ubyte v0, v[0:1], off
	s_waitcnt vmcnt(0)
	v_cvt_f32_ubyte0_e32 v0, v0
	v_bfe_u32 v1, v0, 16, 1
	v_add3_u32 v0, v0, v1, 0x7fff
	v_lshrrev_b32_e32 v4, 16, v0
.LBB30_1286:
.LBB30_1287:
	v_add_nc_u32_e32 v6, s3, v5
	s_cmp_lt_i32 s0, 11
	v_ashrrev_i32_e32 v1, 31, v6
	v_add_co_u32 v0, vcc_lo, s10, v6
	v_add_co_ci_u32_e64 v1, null, s11, v1, vcc_lo
	s_cbranch_scc1 .LBB30_1294
; %bb.1288:
	s_cmp_gt_i32 s0, 25
	s_mov_b32 s12, 0
	s_cbranch_scc0 .LBB30_1296
; %bb.1289:
	s_cmp_gt_i32 s0, 28
	s_cbranch_scc0 .LBB30_1297
; %bb.1290:
	s_cmp_gt_i32 s0, 43
	;; [unrolled: 3-line block ×3, first 2 shown]
	s_cbranch_scc0 .LBB30_1300
; %bb.1292:
	s_cmp_eq_u32 s0, 46
	s_mov_b32 s14, 0
	s_cbranch_scc0 .LBB30_1301
; %bb.1293:
	global_load_dword v5, v[0:1], off
	s_mov_b32 s5, 0
	s_mov_b32 s13, -1
	s_branch .LBB30_1303
.LBB30_1294:
	s_mov_b32 s13, 0
                                        ; implicit-def: $vgpr5
	s_cbranch_execnz .LBB30_1369
.LBB30_1295:
	s_andn2_b32 vcc_lo, exec_lo, s13
	s_cbranch_vccnz .LBB30_1981
	s_branch .LBB30_1417
.LBB30_1296:
	s_mov_b32 s14, -1
	s_mov_b32 s13, 0
	s_mov_b32 s5, 0
                                        ; implicit-def: $vgpr5
	s_branch .LBB30_1332
.LBB30_1297:
	s_mov_b32 s14, -1
	s_mov_b32 s13, 0
	s_mov_b32 s5, 0
                                        ; implicit-def: $vgpr5
	s_branch .LBB30_1313
.LBB30_1298:
	s_mov_b32 s14, -1
	s_mov_b32 s13, 0
	s_mov_b32 s5, 0
                                        ; implicit-def: $vgpr5
	s_branch .LBB30_1308
.LBB30_1299:
	s_or_b32 s4, s4, exec_lo
	s_trap 2
	s_cbranch_execz .LBB30_1238
	s_branch .LBB30_1239
.LBB30_1300:
	s_mov_b32 s14, -1
	s_mov_b32 s13, 0
	s_mov_b32 s5, 0
	s_branch .LBB30_1302
.LBB30_1301:
	s_mov_b32 s5, -1
	s_mov_b32 s13, 0
.LBB30_1302:
                                        ; implicit-def: $vgpr5
.LBB30_1303:
	s_and_b32 vcc_lo, exec_lo, s14
	s_cbranch_vccz .LBB30_1307
; %bb.1304:
	s_cmp_eq_u32 s0, 44
	s_cbranch_scc0 .LBB30_1306
; %bb.1305:
	global_load_ubyte v5, v[0:1], off
	s_mov_b32 s5, 0
	s_mov_b32 s13, -1
	s_waitcnt vmcnt(0)
	v_lshlrev_b32_e32 v7, 23, v5
	v_cmp_ne_u32_e32 vcc_lo, 0xff, v5
	v_cndmask_b32_e32 v7, 0x7f800001, v7, vcc_lo
	v_cmp_ne_u32_e32 vcc_lo, 0, v5
	v_cndmask_b32_e32 v5, 0x400000, v7, vcc_lo
	v_mov_b32_e32 v7, 0x7fc0
	v_cmp_o_f32_e32 vcc_lo, v5, v5
	v_add_nc_u32_e32 v5, 0x7fff, v5
	v_cndmask_b32_sdwa v5, v7, v5, vcc_lo dst_sel:DWORD dst_unused:UNUSED_PAD src0_sel:DWORD src1_sel:WORD_1
	s_branch .LBB30_1307
.LBB30_1306:
	s_mov_b32 s5, -1
                                        ; implicit-def: $vgpr5
.LBB30_1307:
	s_mov_b32 s14, 0
.LBB30_1308:
	s_and_b32 vcc_lo, exec_lo, s14
	s_cbranch_vccz .LBB30_1312
; %bb.1309:
	s_cmp_eq_u32 s0, 29
	s_cbranch_scc0 .LBB30_1311
; %bb.1310:
	global_load_dwordx2 v[7:8], v[0:1], off
	s_mov_b32 s5, 0
	s_mov_b32 s13, -1
	s_mov_b32 s14, 0
	s_waitcnt vmcnt(0)
	v_ffbh_u32_e32 v5, v8
	v_min_u32_e32 v5, 32, v5
	v_lshlrev_b64 v[7:8], v5, v[7:8]
	v_sub_nc_u32_e32 v5, 32, v5
	v_min_u32_e32 v7, 1, v7
	v_or_b32_e32 v7, v8, v7
	v_cvt_f32_u32_e32 v7, v7
	v_ldexp_f32 v5, v7, v5
	v_bfe_u32 v7, v5, 16, 1
	v_add3_u32 v5, v5, v7, 0x7fff
	v_lshrrev_b32_e32 v5, 16, v5
	s_branch .LBB30_1313
.LBB30_1311:
	s_mov_b32 s5, -1
                                        ; implicit-def: $vgpr5
.LBB30_1312:
	s_mov_b32 s14, 0
.LBB30_1313:
	s_and_b32 vcc_lo, exec_lo, s14
	s_cbranch_vccz .LBB30_1331
; %bb.1314:
	s_cmp_lt_i32 s0, 27
	s_cbranch_scc1 .LBB30_1317
; %bb.1315:
	s_cmp_gt_i32 s0, 27
	s_cbranch_scc0 .LBB30_1318
; %bb.1316:
	global_load_dword v5, v[0:1], off
	s_mov_b32 s13, 0
	s_waitcnt vmcnt(0)
	v_cvt_f32_u32_e32 v5, v5
	v_bfe_u32 v7, v5, 16, 1
	v_add3_u32 v5, v5, v7, 0x7fff
	v_lshrrev_b32_e32 v5, 16, v5
	s_branch .LBB30_1319
.LBB30_1317:
	s_mov_b32 s13, -1
                                        ; implicit-def: $vgpr5
	s_branch .LBB30_1322
.LBB30_1318:
	s_mov_b32 s13, -1
                                        ; implicit-def: $vgpr5
.LBB30_1319:
	s_andn2_b32 vcc_lo, exec_lo, s13
	s_cbranch_vccnz .LBB30_1321
; %bb.1320:
	global_load_ushort v5, v[0:1], off
	s_waitcnt vmcnt(0)
	v_cvt_f32_u32_e32 v5, v5
	v_bfe_u32 v7, v5, 16, 1
	v_add3_u32 v5, v5, v7, 0x7fff
	v_lshrrev_b32_e32 v5, 16, v5
.LBB30_1321:
	s_mov_b32 s13, 0
.LBB30_1322:
	s_andn2_b32 vcc_lo, exec_lo, s13
	s_cbranch_vccnz .LBB30_1330
; %bb.1323:
	global_load_ubyte v5, v[0:1], off
	s_mov_b32 s13, 0
	s_mov_b32 s14, exec_lo
	s_waitcnt vmcnt(0)
	v_cmpx_lt_i16_e32 0x7f, v5
	s_xor_b32 s14, exec_lo, s14
	s_cbranch_execz .LBB30_1344
; %bb.1324:
	s_mov_b32 s13, -1
	s_mov_b32 s15, exec_lo
	v_cmpx_eq_u16_e32 0x80, v5
; %bb.1325:
	s_xor_b32 s13, exec_lo, -1
; %bb.1326:
	s_or_b32 exec_lo, exec_lo, s15
	s_and_b32 s13, s13, exec_lo
	s_or_saveexec_b32 s14, s14
	v_mov_b32_e32 v7, 0x7f800001
	s_xor_b32 exec_lo, exec_lo, s14
	s_cbranch_execnz .LBB30_1345
.LBB30_1327:
	s_or_b32 exec_lo, exec_lo, s14
	s_and_saveexec_b32 s14, s13
	s_cbranch_execz .LBB30_1329
.LBB30_1328:
	v_and_b32_e32 v7, 0xffff, v5
	v_lshlrev_b32_e32 v5, 24, v5
	v_and_b32_e32 v8, 7, v7
	v_bfe_u32 v11, v7, 3, 4
	v_and_b32_e32 v5, 0x80000000, v5
	v_ffbh_u32_e32 v9, v8
	v_cmp_eq_u32_e32 vcc_lo, 0, v11
	v_min_u32_e32 v9, 32, v9
	v_subrev_nc_u32_e32 v10, 28, v9
	v_sub_nc_u32_e32 v9, 29, v9
	v_lshlrev_b32_e32 v7, v10, v7
	v_cndmask_b32_e32 v9, v11, v9, vcc_lo
	v_and_b32_e32 v7, 7, v7
	v_cndmask_b32_e32 v7, v8, v7, vcc_lo
	v_lshl_add_u32 v8, v9, 23, 0x3b800000
	v_lshlrev_b32_e32 v7, 20, v7
	v_or3_b32 v7, v5, v8, v7
.LBB30_1329:
	s_or_b32 exec_lo, exec_lo, s14
	v_bfe_u32 v5, v7, 16, 1
	v_cmp_o_f32_e32 vcc_lo, v7, v7
	v_add3_u32 v5, v7, v5, 0x7fff
	v_mov_b32_e32 v7, 0x7fc0
	v_cndmask_b32_sdwa v5, v7, v5, vcc_lo dst_sel:DWORD dst_unused:UNUSED_PAD src0_sel:DWORD src1_sel:WORD_1
.LBB30_1330:
	s_mov_b32 s13, -1
.LBB30_1331:
	s_mov_b32 s14, 0
.LBB30_1332:
	s_and_b32 vcc_lo, exec_lo, s14
	s_cbranch_vccz .LBB30_1365
; %bb.1333:
	s_cmp_gt_i32 s0, 22
	s_cbranch_scc0 .LBB30_1343
; %bb.1334:
	s_cmp_lt_i32 s0, 24
	s_cbranch_scc1 .LBB30_1346
; %bb.1335:
	s_cmp_gt_i32 s0, 24
	s_cbranch_scc0 .LBB30_1347
; %bb.1336:
	global_load_ubyte v5, v[0:1], off
	s_mov_b32 s13, exec_lo
	s_waitcnt vmcnt(0)
	v_cmpx_lt_i16_e32 0x7f, v5
	s_xor_b32 s13, exec_lo, s13
	s_cbranch_execz .LBB30_1359
; %bb.1337:
	s_mov_b32 s12, -1
	s_mov_b32 s14, exec_lo
	v_cmpx_eq_u16_e32 0x80, v5
; %bb.1338:
	s_xor_b32 s12, exec_lo, -1
; %bb.1339:
	s_or_b32 exec_lo, exec_lo, s14
	s_and_b32 s12, s12, exec_lo
	s_or_saveexec_b32 s13, s13
	v_mov_b32_e32 v7, 0x7f800001
	s_xor_b32 exec_lo, exec_lo, s13
	s_cbranch_execnz .LBB30_1360
.LBB30_1340:
	s_or_b32 exec_lo, exec_lo, s13
	s_and_saveexec_b32 s13, s12
	s_cbranch_execz .LBB30_1342
.LBB30_1341:
	v_and_b32_e32 v7, 0xffff, v5
	v_lshlrev_b32_e32 v5, 24, v5
	v_and_b32_e32 v8, 3, v7
	v_bfe_u32 v11, v7, 2, 5
	v_and_b32_e32 v5, 0x80000000, v5
	v_ffbh_u32_e32 v9, v8
	v_cmp_eq_u32_e32 vcc_lo, 0, v11
	v_min_u32_e32 v9, 32, v9
	v_subrev_nc_u32_e32 v10, 29, v9
	v_sub_nc_u32_e32 v9, 30, v9
	v_lshlrev_b32_e32 v7, v10, v7
	v_cndmask_b32_e32 v9, v11, v9, vcc_lo
	v_and_b32_e32 v7, 3, v7
	v_cndmask_b32_e32 v7, v8, v7, vcc_lo
	v_lshl_add_u32 v8, v9, 23, 0x37800000
	v_lshlrev_b32_e32 v7, 21, v7
	v_or3_b32 v7, v5, v8, v7
.LBB30_1342:
	s_or_b32 exec_lo, exec_lo, s13
	v_bfe_u32 v5, v7, 16, 1
	v_cmp_o_f32_e32 vcc_lo, v7, v7
	s_mov_b32 s12, 0
	v_add3_u32 v5, v7, v5, 0x7fff
	v_mov_b32_e32 v7, 0x7fc0
	v_cndmask_b32_sdwa v5, v7, v5, vcc_lo dst_sel:DWORD dst_unused:UNUSED_PAD src0_sel:DWORD src1_sel:WORD_1
	s_branch .LBB30_1348
.LBB30_1343:
	s_mov_b32 s12, -1
                                        ; implicit-def: $vgpr5
	s_branch .LBB30_1354
.LBB30_1344:
	s_or_saveexec_b32 s14, s14
	v_mov_b32_e32 v7, 0x7f800001
	s_xor_b32 exec_lo, exec_lo, s14
	s_cbranch_execz .LBB30_1327
.LBB30_1345:
	v_cmp_ne_u16_e32 vcc_lo, 0, v5
	v_mov_b32_e32 v7, 0
	s_andn2_b32 s13, s13, exec_lo
	s_and_b32 s15, vcc_lo, exec_lo
	s_or_b32 s13, s13, s15
	s_or_b32 exec_lo, exec_lo, s14
	s_and_saveexec_b32 s14, s13
	s_cbranch_execnz .LBB30_1328
	s_branch .LBB30_1329
.LBB30_1346:
	s_mov_b32 s12, -1
                                        ; implicit-def: $vgpr5
	s_branch .LBB30_1351
.LBB30_1347:
	s_mov_b32 s12, -1
                                        ; implicit-def: $vgpr5
.LBB30_1348:
	s_and_b32 vcc_lo, exec_lo, s12
	s_cbranch_vccz .LBB30_1350
; %bb.1349:
	global_load_ubyte v5, v[0:1], off
	s_waitcnt vmcnt(0)
	v_lshlrev_b32_e32 v5, 24, v5
	v_and_b32_e32 v7, 0x7f000000, v5
	v_ffbh_u32_e32 v8, v7
	v_add_nc_u32_e32 v10, 0x1000000, v7
	v_cmp_ne_u32_e32 vcc_lo, 0, v7
	v_min_u32_e32 v8, 32, v8
	v_sub_nc_u32_e64 v8, v8, 4 clamp
	v_lshlrev_b32_e32 v9, v8, v7
	v_lshlrev_b32_e32 v8, 23, v8
	v_lshrrev_b32_e32 v9, 4, v9
	v_sub_nc_u32_e32 v8, v9, v8
	v_ashrrev_i32_e32 v9, 8, v10
	v_add_nc_u32_e32 v8, 0x3c000000, v8
	v_and_or_b32 v8, 0x7f800000, v9, v8
	v_cndmask_b32_e32 v7, 0, v8, vcc_lo
	v_and_or_b32 v5, 0x80000000, v5, v7
	v_bfe_u32 v7, v7, 16, 1
	v_cmp_o_f32_e32 vcc_lo, v5, v5
	v_add3_u32 v5, v5, v7, 0x7fff
	v_mov_b32_e32 v7, 0x7fc0
	v_cndmask_b32_sdwa v5, v7, v5, vcc_lo dst_sel:DWORD dst_unused:UNUSED_PAD src0_sel:DWORD src1_sel:WORD_1
.LBB30_1350:
	s_mov_b32 s12, 0
.LBB30_1351:
	s_andn2_b32 vcc_lo, exec_lo, s12
	s_cbranch_vccnz .LBB30_1353
; %bb.1352:
	global_load_ubyte v5, v[0:1], off
	s_waitcnt vmcnt(0)
	v_lshlrev_b32_e32 v7, 25, v5
	v_lshlrev_b16 v5, 8, v5
	v_lshrrev_b32_e32 v8, 4, v7
	v_and_or_b32 v9, 0x7f00, v5, 0.5
	v_cmp_gt_u32_e32 vcc_lo, 0x8000000, v7
	v_bfe_i32 v5, v5, 0, 16
	v_or_b32_e32 v8, 0x70000000, v8
	v_add_f32_e32 v9, -0.5, v9
	v_mul_f32_e32 v8, 0x7800000, v8
	v_cndmask_b32_e32 v7, v8, v9, vcc_lo
	v_and_or_b32 v5, 0x80000000, v5, v7
	v_bfe_u32 v7, v7, 16, 1
	v_cmp_o_f32_e32 vcc_lo, v5, v5
	v_add3_u32 v5, v5, v7, 0x7fff
	v_mov_b32_e32 v7, 0x7fc0
	v_cndmask_b32_sdwa v5, v7, v5, vcc_lo dst_sel:DWORD dst_unused:UNUSED_PAD src0_sel:DWORD src1_sel:WORD_1
.LBB30_1353:
	s_mov_b32 s12, 0
	s_mov_b32 s13, -1
.LBB30_1354:
	s_andn2_b32 vcc_lo, exec_lo, s12
	s_mov_b32 s12, 0
	s_cbranch_vccnz .LBB30_1365
; %bb.1355:
	s_cmp_gt_i32 s0, 14
	s_cbranch_scc0 .LBB30_1358
; %bb.1356:
	s_cmp_eq_u32 s0, 15
	s_cbranch_scc0 .LBB30_1361
; %bb.1357:
	global_load_ushort v5, v[0:1], off
	s_mov_b32 s5, 0
	s_mov_b32 s13, -1
	s_branch .LBB30_1363
.LBB30_1358:
	s_mov_b32 s12, -1
	s_branch .LBB30_1362
.LBB30_1359:
	s_or_saveexec_b32 s13, s13
	v_mov_b32_e32 v7, 0x7f800001
	s_xor_b32 exec_lo, exec_lo, s13
	s_cbranch_execz .LBB30_1340
.LBB30_1360:
	v_cmp_ne_u16_e32 vcc_lo, 0, v5
	v_mov_b32_e32 v7, 0
	s_andn2_b32 s12, s12, exec_lo
	s_and_b32 s14, vcc_lo, exec_lo
	s_or_b32 s12, s12, s14
	s_or_b32 exec_lo, exec_lo, s13
	s_and_saveexec_b32 s13, s12
	s_cbranch_execnz .LBB30_1341
	s_branch .LBB30_1342
.LBB30_1361:
	s_mov_b32 s5, -1
.LBB30_1362:
                                        ; implicit-def: $vgpr5
.LBB30_1363:
	s_and_b32 vcc_lo, exec_lo, s12
	s_mov_b32 s12, 0
	s_cbranch_vccz .LBB30_1365
; %bb.1364:
	s_cmp_lg_u32 s0, 11
	s_mov_b32 s12, -1
	s_cselect_b32 s5, -1, 0
.LBB30_1365:
	s_and_b32 vcc_lo, exec_lo, s5
	s_cbranch_vccnz .LBB30_1428
; %bb.1366:
	s_andn2_b32 vcc_lo, exec_lo, s12
	s_cbranch_vccnz .LBB30_1368
.LBB30_1367:
	global_load_ubyte v5, v[0:1], off
	s_mov_b32 s13, -1
	s_waitcnt vmcnt(0)
	v_cmp_ne_u16_e32 vcc_lo, 0, v5
	v_cndmask_b32_e64 v5, 0, 1.0, vcc_lo
	v_lshrrev_b32_e32 v5, 16, v5
.LBB30_1368:
	s_branch .LBB30_1295
.LBB30_1369:
	s_cmp_lt_i32 s0, 5
	s_cbranch_scc1 .LBB30_1374
; %bb.1370:
	s_cmp_lt_i32 s0, 8
	s_cbranch_scc1 .LBB30_1375
; %bb.1371:
	;; [unrolled: 3-line block ×3, first 2 shown]
	s_cmp_gt_i32 s0, 9
	s_cbranch_scc0 .LBB30_1377
; %bb.1373:
	global_load_dwordx2 v[7:8], v[0:1], off
	s_mov_b32 s5, 0
	s_waitcnt vmcnt(0)
	v_cvt_f32_f64_e32 v5, v[7:8]
	v_bfe_u32 v7, v5, 16, 1
	v_cmp_o_f32_e32 vcc_lo, v5, v5
	v_add3_u32 v5, v5, v7, 0x7fff
	v_mov_b32_e32 v7, 0x7fc0
	v_cndmask_b32_sdwa v5, v7, v5, vcc_lo dst_sel:DWORD dst_unused:UNUSED_PAD src0_sel:DWORD src1_sel:WORD_1
	s_branch .LBB30_1378
.LBB30_1374:
	s_mov_b32 s5, -1
                                        ; implicit-def: $vgpr5
	s_branch .LBB30_1396
.LBB30_1375:
	s_mov_b32 s5, -1
                                        ; implicit-def: $vgpr5
	s_branch .LBB30_1384
.LBB30_1376:
	s_mov_b32 s5, -1
                                        ; implicit-def: $vgpr5
	s_branch .LBB30_1381
.LBB30_1377:
	s_mov_b32 s5, -1
                                        ; implicit-def: $vgpr5
.LBB30_1378:
	s_andn2_b32 vcc_lo, exec_lo, s5
	s_cbranch_vccnz .LBB30_1380
; %bb.1379:
	global_load_dword v5, v[0:1], off
	s_waitcnt vmcnt(0)
	v_bfe_u32 v7, v5, 16, 1
	v_cmp_o_f32_e32 vcc_lo, v5, v5
	v_add3_u32 v5, v5, v7, 0x7fff
	v_mov_b32_e32 v7, 0x7fc0
	v_cndmask_b32_sdwa v5, v7, v5, vcc_lo dst_sel:DWORD dst_unused:UNUSED_PAD src0_sel:DWORD src1_sel:WORD_1
.LBB30_1380:
	s_mov_b32 s5, 0
.LBB30_1381:
	s_andn2_b32 vcc_lo, exec_lo, s5
	s_cbranch_vccnz .LBB30_1383
; %bb.1382:
	global_load_dword v5, v[0:1], off
	s_waitcnt vmcnt(0)
	v_cvt_f32_f16_e32 v7, v5
	v_cmp_o_f16_e32 vcc_lo, v5, v5
	v_bfe_u32 v8, v7, 16, 1
	v_add3_u32 v5, v7, v8, 0x7fff
	v_mov_b32_e32 v7, 0x7fc0
	v_cndmask_b32_sdwa v5, v7, v5, vcc_lo dst_sel:DWORD dst_unused:UNUSED_PAD src0_sel:DWORD src1_sel:WORD_1
.LBB30_1383:
	s_mov_b32 s5, 0
.LBB30_1384:
	s_andn2_b32 vcc_lo, exec_lo, s5
	s_cbranch_vccnz .LBB30_1395
; %bb.1385:
	s_cmp_lt_i32 s0, 6
	s_cbranch_scc1 .LBB30_1388
; %bb.1386:
	s_cmp_gt_i32 s0, 6
	s_cbranch_scc0 .LBB30_1389
; %bb.1387:
	global_load_dwordx2 v[7:8], v[0:1], off
	s_mov_b32 s5, 0
	s_waitcnt vmcnt(0)
	v_cvt_f32_f64_e32 v5, v[7:8]
	v_bfe_u32 v7, v5, 16, 1
	v_cmp_o_f32_e32 vcc_lo, v5, v5
	v_add3_u32 v5, v5, v7, 0x7fff
	v_mov_b32_e32 v7, 0x7fc0
	v_cndmask_b32_sdwa v5, v7, v5, vcc_lo dst_sel:DWORD dst_unused:UNUSED_PAD src0_sel:DWORD src1_sel:WORD_1
	s_branch .LBB30_1390
.LBB30_1388:
	s_mov_b32 s5, -1
                                        ; implicit-def: $vgpr5
	s_branch .LBB30_1393
.LBB30_1389:
	s_mov_b32 s5, -1
                                        ; implicit-def: $vgpr5
.LBB30_1390:
	s_andn2_b32 vcc_lo, exec_lo, s5
	s_cbranch_vccnz .LBB30_1392
; %bb.1391:
	global_load_dword v5, v[0:1], off
	s_waitcnt vmcnt(0)
	v_bfe_u32 v7, v5, 16, 1
	v_cmp_o_f32_e32 vcc_lo, v5, v5
	v_add3_u32 v5, v5, v7, 0x7fff
	v_mov_b32_e32 v7, 0x7fc0
	v_cndmask_b32_sdwa v5, v7, v5, vcc_lo dst_sel:DWORD dst_unused:UNUSED_PAD src0_sel:DWORD src1_sel:WORD_1
.LBB30_1392:
	s_mov_b32 s5, 0
.LBB30_1393:
	s_andn2_b32 vcc_lo, exec_lo, s5
	s_cbranch_vccnz .LBB30_1395
; %bb.1394:
	global_load_ushort v5, v[0:1], off
	s_waitcnt vmcnt(0)
	v_cvt_f32_f16_e32 v7, v5
	v_cmp_o_f16_e32 vcc_lo, v5, v5
	v_bfe_u32 v8, v7, 16, 1
	v_add3_u32 v5, v7, v8, 0x7fff
	v_mov_b32_e32 v7, 0x7fc0
	v_cndmask_b32_sdwa v5, v7, v5, vcc_lo dst_sel:DWORD dst_unused:UNUSED_PAD src0_sel:DWORD src1_sel:WORD_1
.LBB30_1395:
	s_mov_b32 s5, 0
.LBB30_1396:
	s_andn2_b32 vcc_lo, exec_lo, s5
	s_cbranch_vccnz .LBB30_1416
; %bb.1397:
	s_cmp_lt_i32 s0, 2
	s_cbranch_scc1 .LBB30_1401
; %bb.1398:
	s_cmp_lt_i32 s0, 3
	s_cbranch_scc1 .LBB30_1402
; %bb.1399:
	s_cmp_gt_i32 s0, 3
	s_cbranch_scc0 .LBB30_1403
; %bb.1400:
	global_load_dwordx2 v[7:8], v[0:1], off
	s_mov_b32 s5, 0
	s_waitcnt vmcnt(0)
	v_xor_b32_e32 v5, v7, v8
	v_ffbh_i32_e32 v9, v8
	v_ashrrev_i32_e32 v5, 31, v5
	v_add_nc_u32_e32 v9, -1, v9
	v_add_nc_u32_e32 v5, 32, v5
	v_min_u32_e32 v5, v9, v5
	v_lshlrev_b64 v[7:8], v5, v[7:8]
	v_sub_nc_u32_e32 v5, 32, v5
	v_min_u32_e32 v7, 1, v7
	v_or_b32_e32 v7, v8, v7
	v_cvt_f32_i32_e32 v7, v7
	v_ldexp_f32 v5, v7, v5
	v_bfe_u32 v7, v5, 16, 1
	v_add3_u32 v5, v5, v7, 0x7fff
	v_lshrrev_b32_e32 v5, 16, v5
	s_branch .LBB30_1404
.LBB30_1401:
	s_mov_b32 s5, -1
                                        ; implicit-def: $vgpr5
	s_branch .LBB30_1410
.LBB30_1402:
	s_mov_b32 s5, -1
                                        ; implicit-def: $vgpr5
	s_branch .LBB30_1407
.LBB30_1403:
	s_mov_b32 s5, -1
                                        ; implicit-def: $vgpr5
.LBB30_1404:
	s_andn2_b32 vcc_lo, exec_lo, s5
	s_cbranch_vccnz .LBB30_1406
; %bb.1405:
	global_load_dword v5, v[0:1], off
	s_waitcnt vmcnt(0)
	v_cvt_f32_i32_e32 v5, v5
	v_bfe_u32 v7, v5, 16, 1
	v_add3_u32 v5, v5, v7, 0x7fff
	v_lshrrev_b32_e32 v5, 16, v5
.LBB30_1406:
	s_mov_b32 s5, 0
.LBB30_1407:
	s_andn2_b32 vcc_lo, exec_lo, s5
	s_cbranch_vccnz .LBB30_1409
; %bb.1408:
	global_load_sshort v5, v[0:1], off
	s_waitcnt vmcnt(0)
	v_cvt_f32_i32_e32 v5, v5
	v_bfe_u32 v7, v5, 16, 1
	v_add3_u32 v5, v5, v7, 0x7fff
	v_lshrrev_b32_e32 v5, 16, v5
.LBB30_1409:
	s_mov_b32 s5, 0
.LBB30_1410:
	s_andn2_b32 vcc_lo, exec_lo, s5
	s_cbranch_vccnz .LBB30_1416
; %bb.1411:
	s_cmp_gt_i32 s0, 0
	s_mov_b32 s5, 0
	s_cbranch_scc0 .LBB30_1413
; %bb.1412:
	global_load_sbyte v5, v[0:1], off
	s_waitcnt vmcnt(0)
	v_cvt_f32_i32_e32 v5, v5
	v_bfe_u32 v7, v5, 16, 1
	v_add3_u32 v5, v5, v7, 0x7fff
	v_lshrrev_b32_e32 v5, 16, v5
	s_branch .LBB30_1414
.LBB30_1413:
	s_mov_b32 s5, -1
                                        ; implicit-def: $vgpr5
.LBB30_1414:
	s_andn2_b32 vcc_lo, exec_lo, s5
	s_cbranch_vccnz .LBB30_1416
; %bb.1415:
	global_load_ubyte v0, v[0:1], off
	s_waitcnt vmcnt(0)
	v_cvt_f32_ubyte0_e32 v0, v0
	v_bfe_u32 v1, v0, 16, 1
	v_add3_u32 v0, v0, v1, 0x7fff
	v_lshrrev_b32_e32 v5, 16, v0
.LBB30_1416:
.LBB30_1417:
	v_add_nc_u32_e32 v0, s3, v6
	s_cmp_lt_i32 s0, 11
	v_ashrrev_i32_e32 v1, 31, v0
	v_add_co_u32 v0, vcc_lo, s10, v0
	v_add_co_ci_u32_e64 v1, null, s11, v1, vcc_lo
	s_cbranch_scc1 .LBB30_1424
; %bb.1418:
	s_cmp_gt_i32 s0, 25
	s_mov_b32 s5, 0
	s_cbranch_scc0 .LBB30_1425
; %bb.1419:
	s_cmp_gt_i32 s0, 28
	s_cbranch_scc0 .LBB30_1426
; %bb.1420:
	s_cmp_gt_i32 s0, 43
	;; [unrolled: 3-line block ×3, first 2 shown]
	s_cbranch_scc0 .LBB30_1429
; %bb.1422:
	s_cmp_eq_u32 s0, 46
	s_mov_b32 s11, 0
	s_cbranch_scc0 .LBB30_1430
; %bb.1423:
	global_load_dword v6, v[0:1], off
	s_mov_b32 s3, 0
	s_mov_b32 s10, -1
	s_branch .LBB30_1432
.LBB30_1424:
	s_mov_b32 s3, -1
	s_mov_b32 s10, 0
                                        ; implicit-def: $vgpr6
	s_branch .LBB30_1498
.LBB30_1425:
	s_mov_b32 s11, -1
	s_mov_b32 s10, 0
	s_mov_b32 s3, 0
                                        ; implicit-def: $vgpr6
	s_branch .LBB30_1461
.LBB30_1426:
	s_mov_b32 s11, -1
	s_mov_b32 s10, 0
	s_mov_b32 s3, 0
                                        ; implicit-def: $vgpr6
	s_branch .LBB30_1442
.LBB30_1427:
	s_mov_b32 s11, -1
	s_mov_b32 s10, 0
	s_mov_b32 s3, 0
                                        ; implicit-def: $vgpr6
	s_branch .LBB30_1437
.LBB30_1428:
	s_or_b32 s4, s4, exec_lo
	s_trap 2
	s_cbranch_execz .LBB30_1367
	s_branch .LBB30_1368
.LBB30_1429:
	s_mov_b32 s11, -1
	s_mov_b32 s10, 0
	s_mov_b32 s3, 0
	s_branch .LBB30_1431
.LBB30_1430:
	s_mov_b32 s3, -1
	s_mov_b32 s10, 0
.LBB30_1431:
                                        ; implicit-def: $vgpr6
.LBB30_1432:
	s_and_b32 vcc_lo, exec_lo, s11
	s_cbranch_vccz .LBB30_1436
; %bb.1433:
	s_cmp_eq_u32 s0, 44
	s_cbranch_scc0 .LBB30_1435
; %bb.1434:
	global_load_ubyte v6, v[0:1], off
	s_mov_b32 s3, 0
	s_mov_b32 s10, -1
	s_waitcnt vmcnt(0)
	v_lshlrev_b32_e32 v7, 23, v6
	v_cmp_ne_u32_e32 vcc_lo, 0xff, v6
	v_cndmask_b32_e32 v7, 0x7f800001, v7, vcc_lo
	v_cmp_ne_u32_e32 vcc_lo, 0, v6
	v_cndmask_b32_e32 v6, 0x400000, v7, vcc_lo
	v_mov_b32_e32 v7, 0x7fc0
	v_cmp_o_f32_e32 vcc_lo, v6, v6
	v_add_nc_u32_e32 v6, 0x7fff, v6
	v_cndmask_b32_sdwa v6, v7, v6, vcc_lo dst_sel:DWORD dst_unused:UNUSED_PAD src0_sel:DWORD src1_sel:WORD_1
	s_branch .LBB30_1436
.LBB30_1435:
	s_mov_b32 s3, -1
                                        ; implicit-def: $vgpr6
.LBB30_1436:
	s_mov_b32 s11, 0
.LBB30_1437:
	s_and_b32 vcc_lo, exec_lo, s11
	s_cbranch_vccz .LBB30_1441
; %bb.1438:
	s_cmp_eq_u32 s0, 29
	s_cbranch_scc0 .LBB30_1440
; %bb.1439:
	global_load_dwordx2 v[6:7], v[0:1], off
	s_mov_b32 s3, 0
	s_mov_b32 s10, -1
	s_mov_b32 s11, 0
	s_waitcnt vmcnt(0)
	v_ffbh_u32_e32 v8, v7
	v_min_u32_e32 v8, 32, v8
	v_lshlrev_b64 v[6:7], v8, v[6:7]
	v_min_u32_e32 v6, 1, v6
	v_or_b32_e32 v6, v7, v6
	v_sub_nc_u32_e32 v7, 32, v8
	v_cvt_f32_u32_e32 v6, v6
	v_ldexp_f32 v6, v6, v7
	v_bfe_u32 v7, v6, 16, 1
	v_add3_u32 v6, v6, v7, 0x7fff
	v_lshrrev_b32_e32 v6, 16, v6
	s_branch .LBB30_1442
.LBB30_1440:
	s_mov_b32 s3, -1
                                        ; implicit-def: $vgpr6
.LBB30_1441:
	s_mov_b32 s11, 0
.LBB30_1442:
	s_and_b32 vcc_lo, exec_lo, s11
	s_cbranch_vccz .LBB30_1460
; %bb.1443:
	s_cmp_lt_i32 s0, 27
	s_cbranch_scc1 .LBB30_1446
; %bb.1444:
	s_cmp_gt_i32 s0, 27
	s_cbranch_scc0 .LBB30_1447
; %bb.1445:
	global_load_dword v6, v[0:1], off
	s_mov_b32 s10, 0
	s_waitcnt vmcnt(0)
	v_cvt_f32_u32_e32 v6, v6
	v_bfe_u32 v7, v6, 16, 1
	v_add3_u32 v6, v6, v7, 0x7fff
	v_lshrrev_b32_e32 v6, 16, v6
	s_branch .LBB30_1448
.LBB30_1446:
	s_mov_b32 s10, -1
                                        ; implicit-def: $vgpr6
	s_branch .LBB30_1451
.LBB30_1447:
	s_mov_b32 s10, -1
                                        ; implicit-def: $vgpr6
.LBB30_1448:
	s_andn2_b32 vcc_lo, exec_lo, s10
	s_cbranch_vccnz .LBB30_1450
; %bb.1449:
	global_load_ushort v6, v[0:1], off
	s_waitcnt vmcnt(0)
	v_cvt_f32_u32_e32 v6, v6
	v_bfe_u32 v7, v6, 16, 1
	v_add3_u32 v6, v6, v7, 0x7fff
	v_lshrrev_b32_e32 v6, 16, v6
.LBB30_1450:
	s_mov_b32 s10, 0
.LBB30_1451:
	s_andn2_b32 vcc_lo, exec_lo, s10
	s_cbranch_vccnz .LBB30_1459
; %bb.1452:
	global_load_ubyte v6, v[0:1], off
	s_mov_b32 s10, 0
	s_mov_b32 s11, exec_lo
	s_waitcnt vmcnt(0)
	v_cmpx_lt_i16_e32 0x7f, v6
	s_xor_b32 s11, exec_lo, s11
	s_cbranch_execz .LBB30_1473
; %bb.1453:
	s_mov_b32 s10, -1
	s_mov_b32 s12, exec_lo
	v_cmpx_eq_u16_e32 0x80, v6
; %bb.1454:
	s_xor_b32 s10, exec_lo, -1
; %bb.1455:
	s_or_b32 exec_lo, exec_lo, s12
	s_and_b32 s10, s10, exec_lo
	s_or_saveexec_b32 s11, s11
	v_mov_b32_e32 v7, 0x7f800001
	s_xor_b32 exec_lo, exec_lo, s11
	s_cbranch_execnz .LBB30_1474
.LBB30_1456:
	s_or_b32 exec_lo, exec_lo, s11
	s_and_saveexec_b32 s11, s10
	s_cbranch_execz .LBB30_1458
.LBB30_1457:
	v_and_b32_e32 v7, 0xffff, v6
	v_lshlrev_b32_e32 v6, 24, v6
	v_and_b32_e32 v8, 7, v7
	v_bfe_u32 v11, v7, 3, 4
	v_and_b32_e32 v6, 0x80000000, v6
	v_ffbh_u32_e32 v9, v8
	v_cmp_eq_u32_e32 vcc_lo, 0, v11
	v_min_u32_e32 v9, 32, v9
	v_subrev_nc_u32_e32 v10, 28, v9
	v_sub_nc_u32_e32 v9, 29, v9
	v_lshlrev_b32_e32 v7, v10, v7
	v_cndmask_b32_e32 v9, v11, v9, vcc_lo
	v_and_b32_e32 v7, 7, v7
	v_cndmask_b32_e32 v7, v8, v7, vcc_lo
	v_lshl_add_u32 v8, v9, 23, 0x3b800000
	v_lshlrev_b32_e32 v7, 20, v7
	v_or3_b32 v7, v6, v8, v7
.LBB30_1458:
	s_or_b32 exec_lo, exec_lo, s11
	v_bfe_u32 v6, v7, 16, 1
	v_cmp_o_f32_e32 vcc_lo, v7, v7
	v_add3_u32 v6, v7, v6, 0x7fff
	v_mov_b32_e32 v7, 0x7fc0
	v_cndmask_b32_sdwa v6, v7, v6, vcc_lo dst_sel:DWORD dst_unused:UNUSED_PAD src0_sel:DWORD src1_sel:WORD_1
.LBB30_1459:
	s_mov_b32 s10, -1
.LBB30_1460:
	s_mov_b32 s11, 0
.LBB30_1461:
	s_and_b32 vcc_lo, exec_lo, s11
	s_cbranch_vccz .LBB30_1494
; %bb.1462:
	s_cmp_gt_i32 s0, 22
	s_cbranch_scc0 .LBB30_1472
; %bb.1463:
	s_cmp_lt_i32 s0, 24
	s_cbranch_scc1 .LBB30_1475
; %bb.1464:
	s_cmp_gt_i32 s0, 24
	s_cbranch_scc0 .LBB30_1476
; %bb.1465:
	global_load_ubyte v6, v[0:1], off
	s_mov_b32 s10, exec_lo
	s_waitcnt vmcnt(0)
	v_cmpx_lt_i16_e32 0x7f, v6
	s_xor_b32 s10, exec_lo, s10
	s_cbranch_execz .LBB30_1488
; %bb.1466:
	s_mov_b32 s5, -1
	s_mov_b32 s11, exec_lo
	v_cmpx_eq_u16_e32 0x80, v6
; %bb.1467:
	s_xor_b32 s5, exec_lo, -1
; %bb.1468:
	s_or_b32 exec_lo, exec_lo, s11
	s_and_b32 s5, s5, exec_lo
	s_or_saveexec_b32 s10, s10
	v_mov_b32_e32 v7, 0x7f800001
	s_xor_b32 exec_lo, exec_lo, s10
	s_cbranch_execnz .LBB30_1489
.LBB30_1469:
	s_or_b32 exec_lo, exec_lo, s10
	s_and_saveexec_b32 s10, s5
	s_cbranch_execz .LBB30_1471
.LBB30_1470:
	v_and_b32_e32 v7, 0xffff, v6
	v_lshlrev_b32_e32 v6, 24, v6
	v_and_b32_e32 v8, 3, v7
	v_bfe_u32 v11, v7, 2, 5
	v_and_b32_e32 v6, 0x80000000, v6
	v_ffbh_u32_e32 v9, v8
	v_cmp_eq_u32_e32 vcc_lo, 0, v11
	v_min_u32_e32 v9, 32, v9
	v_subrev_nc_u32_e32 v10, 29, v9
	v_sub_nc_u32_e32 v9, 30, v9
	v_lshlrev_b32_e32 v7, v10, v7
	v_cndmask_b32_e32 v9, v11, v9, vcc_lo
	v_and_b32_e32 v7, 3, v7
	v_cndmask_b32_e32 v7, v8, v7, vcc_lo
	v_lshl_add_u32 v8, v9, 23, 0x37800000
	v_lshlrev_b32_e32 v7, 21, v7
	v_or3_b32 v7, v6, v8, v7
.LBB30_1471:
	s_or_b32 exec_lo, exec_lo, s10
	v_bfe_u32 v6, v7, 16, 1
	v_cmp_o_f32_e32 vcc_lo, v7, v7
	s_mov_b32 s5, 0
	v_add3_u32 v6, v7, v6, 0x7fff
	v_mov_b32_e32 v7, 0x7fc0
	v_cndmask_b32_sdwa v6, v7, v6, vcc_lo dst_sel:DWORD dst_unused:UNUSED_PAD src0_sel:DWORD src1_sel:WORD_1
	s_branch .LBB30_1477
.LBB30_1472:
	s_mov_b32 s5, -1
                                        ; implicit-def: $vgpr6
	s_branch .LBB30_1483
.LBB30_1473:
	s_or_saveexec_b32 s11, s11
	v_mov_b32_e32 v7, 0x7f800001
	s_xor_b32 exec_lo, exec_lo, s11
	s_cbranch_execz .LBB30_1456
.LBB30_1474:
	v_cmp_ne_u16_e32 vcc_lo, 0, v6
	v_mov_b32_e32 v7, 0
	s_andn2_b32 s10, s10, exec_lo
	s_and_b32 s12, vcc_lo, exec_lo
	s_or_b32 s10, s10, s12
	s_or_b32 exec_lo, exec_lo, s11
	s_and_saveexec_b32 s11, s10
	s_cbranch_execnz .LBB30_1457
	s_branch .LBB30_1458
.LBB30_1475:
	s_mov_b32 s5, -1
                                        ; implicit-def: $vgpr6
	s_branch .LBB30_1480
.LBB30_1476:
	s_mov_b32 s5, -1
                                        ; implicit-def: $vgpr6
.LBB30_1477:
	s_and_b32 vcc_lo, exec_lo, s5
	s_cbranch_vccz .LBB30_1479
; %bb.1478:
	global_load_ubyte v6, v[0:1], off
	s_waitcnt vmcnt(0)
	v_lshlrev_b32_e32 v6, 24, v6
	v_and_b32_e32 v7, 0x7f000000, v6
	v_ffbh_u32_e32 v8, v7
	v_add_nc_u32_e32 v10, 0x1000000, v7
	v_cmp_ne_u32_e32 vcc_lo, 0, v7
	v_min_u32_e32 v8, 32, v8
	v_sub_nc_u32_e64 v8, v8, 4 clamp
	v_lshlrev_b32_e32 v9, v8, v7
	v_lshlrev_b32_e32 v8, 23, v8
	v_lshrrev_b32_e32 v9, 4, v9
	v_sub_nc_u32_e32 v8, v9, v8
	v_ashrrev_i32_e32 v9, 8, v10
	v_add_nc_u32_e32 v8, 0x3c000000, v8
	v_and_or_b32 v8, 0x7f800000, v9, v8
	v_cndmask_b32_e32 v7, 0, v8, vcc_lo
	v_and_or_b32 v6, 0x80000000, v6, v7
	v_bfe_u32 v7, v7, 16, 1
	v_cmp_o_f32_e32 vcc_lo, v6, v6
	v_add3_u32 v6, v6, v7, 0x7fff
	v_mov_b32_e32 v7, 0x7fc0
	v_cndmask_b32_sdwa v6, v7, v6, vcc_lo dst_sel:DWORD dst_unused:UNUSED_PAD src0_sel:DWORD src1_sel:WORD_1
.LBB30_1479:
	s_mov_b32 s5, 0
.LBB30_1480:
	s_andn2_b32 vcc_lo, exec_lo, s5
	s_cbranch_vccnz .LBB30_1482
; %bb.1481:
	global_load_ubyte v6, v[0:1], off
	s_waitcnt vmcnt(0)
	v_lshlrev_b32_e32 v7, 25, v6
	v_lshlrev_b16 v6, 8, v6
	v_lshrrev_b32_e32 v8, 4, v7
	v_and_or_b32 v9, 0x7f00, v6, 0.5
	v_cmp_gt_u32_e32 vcc_lo, 0x8000000, v7
	v_bfe_i32 v6, v6, 0, 16
	v_or_b32_e32 v8, 0x70000000, v8
	v_add_f32_e32 v9, -0.5, v9
	v_mul_f32_e32 v8, 0x7800000, v8
	v_cndmask_b32_e32 v7, v8, v9, vcc_lo
	v_and_or_b32 v6, 0x80000000, v6, v7
	v_bfe_u32 v7, v7, 16, 1
	v_cmp_o_f32_e32 vcc_lo, v6, v6
	v_add3_u32 v6, v6, v7, 0x7fff
	v_mov_b32_e32 v7, 0x7fc0
	v_cndmask_b32_sdwa v6, v7, v6, vcc_lo dst_sel:DWORD dst_unused:UNUSED_PAD src0_sel:DWORD src1_sel:WORD_1
.LBB30_1482:
	s_mov_b32 s5, 0
	s_mov_b32 s10, -1
.LBB30_1483:
	s_andn2_b32 vcc_lo, exec_lo, s5
	s_mov_b32 s5, 0
	s_cbranch_vccnz .LBB30_1494
; %bb.1484:
	s_cmp_gt_i32 s0, 14
	s_cbranch_scc0 .LBB30_1487
; %bb.1485:
	s_cmp_eq_u32 s0, 15
	s_cbranch_scc0 .LBB30_1490
; %bb.1486:
	global_load_ushort v6, v[0:1], off
	s_mov_b32 s3, 0
	s_mov_b32 s10, -1
	s_branch .LBB30_1492
.LBB30_1487:
	s_mov_b32 s5, -1
	s_branch .LBB30_1491
.LBB30_1488:
	s_or_saveexec_b32 s10, s10
	v_mov_b32_e32 v7, 0x7f800001
	s_xor_b32 exec_lo, exec_lo, s10
	s_cbranch_execz .LBB30_1469
.LBB30_1489:
	v_cmp_ne_u16_e32 vcc_lo, 0, v6
	v_mov_b32_e32 v7, 0
	s_andn2_b32 s5, s5, exec_lo
	s_and_b32 s11, vcc_lo, exec_lo
	s_or_b32 s5, s5, s11
	s_or_b32 exec_lo, exec_lo, s10
	s_and_saveexec_b32 s10, s5
	s_cbranch_execnz .LBB30_1470
	s_branch .LBB30_1471
.LBB30_1490:
	s_mov_b32 s3, -1
.LBB30_1491:
                                        ; implicit-def: $vgpr6
.LBB30_1492:
	s_and_b32 vcc_lo, exec_lo, s5
	s_mov_b32 s5, 0
	s_cbranch_vccz .LBB30_1494
; %bb.1493:
	s_cmp_lg_u32 s0, 11
	s_mov_b32 s5, -1
	s_cselect_b32 s3, -1, 0
.LBB30_1494:
	s_and_b32 vcc_lo, exec_lo, s3
	s_cbranch_vccnz .LBB30_2027
; %bb.1495:
	s_andn2_b32 vcc_lo, exec_lo, s5
	s_cbranch_vccnz .LBB30_1497
.LBB30_1496:
	global_load_ubyte v6, v[0:1], off
	s_mov_b32 s10, -1
	s_waitcnt vmcnt(0)
	v_cmp_ne_u16_e32 vcc_lo, 0, v6
	v_cndmask_b32_e64 v6, 0, 1.0, vcc_lo
	v_lshrrev_b32_e32 v6, 16, v6
.LBB30_1497:
	s_mov_b32 s3, 0
.LBB30_1498:
	s_and_b32 vcc_lo, exec_lo, s3
	s_cbranch_vccz .LBB30_1547
; %bb.1499:
	s_cmp_lt_i32 s0, 5
	s_cbranch_scc1 .LBB30_1504
; %bb.1500:
	s_cmp_lt_i32 s0, 8
	s_cbranch_scc1 .LBB30_1505
	;; [unrolled: 3-line block ×3, first 2 shown]
; %bb.1502:
	s_cmp_gt_i32 s0, 9
	s_cbranch_scc0 .LBB30_1507
; %bb.1503:
	global_load_dwordx2 v[6:7], v[0:1], off
	s_mov_b32 s3, 0
	s_waitcnt vmcnt(0)
	v_cvt_f32_f64_e32 v6, v[6:7]
	v_bfe_u32 v7, v6, 16, 1
	v_cmp_o_f32_e32 vcc_lo, v6, v6
	v_add3_u32 v6, v6, v7, 0x7fff
	v_mov_b32_e32 v7, 0x7fc0
	v_cndmask_b32_sdwa v6, v7, v6, vcc_lo dst_sel:DWORD dst_unused:UNUSED_PAD src0_sel:DWORD src1_sel:WORD_1
	s_branch .LBB30_1508
.LBB30_1504:
	s_mov_b32 s3, -1
                                        ; implicit-def: $vgpr6
	s_branch .LBB30_1526
.LBB30_1505:
	s_mov_b32 s3, -1
                                        ; implicit-def: $vgpr6
	s_branch .LBB30_1514
.LBB30_1506:
	s_mov_b32 s3, -1
                                        ; implicit-def: $vgpr6
	s_branch .LBB30_1511
.LBB30_1507:
	s_mov_b32 s3, -1
                                        ; implicit-def: $vgpr6
.LBB30_1508:
	s_andn2_b32 vcc_lo, exec_lo, s3
	s_cbranch_vccnz .LBB30_1510
; %bb.1509:
	global_load_dword v6, v[0:1], off
	s_waitcnt vmcnt(0)
	v_bfe_u32 v7, v6, 16, 1
	v_cmp_o_f32_e32 vcc_lo, v6, v6
	v_add3_u32 v6, v6, v7, 0x7fff
	v_mov_b32_e32 v7, 0x7fc0
	v_cndmask_b32_sdwa v6, v7, v6, vcc_lo dst_sel:DWORD dst_unused:UNUSED_PAD src0_sel:DWORD src1_sel:WORD_1
.LBB30_1510:
	s_mov_b32 s3, 0
.LBB30_1511:
	s_andn2_b32 vcc_lo, exec_lo, s3
	s_cbranch_vccnz .LBB30_1513
; %bb.1512:
	global_load_dword v6, v[0:1], off
	s_waitcnt vmcnt(0)
	v_cvt_f32_f16_e32 v7, v6
	v_cmp_o_f16_e32 vcc_lo, v6, v6
	v_bfe_u32 v8, v7, 16, 1
	v_add3_u32 v6, v7, v8, 0x7fff
	v_mov_b32_e32 v7, 0x7fc0
	v_cndmask_b32_sdwa v6, v7, v6, vcc_lo dst_sel:DWORD dst_unused:UNUSED_PAD src0_sel:DWORD src1_sel:WORD_1
.LBB30_1513:
	s_mov_b32 s3, 0
.LBB30_1514:
	s_andn2_b32 vcc_lo, exec_lo, s3
	s_cbranch_vccnz .LBB30_1525
; %bb.1515:
	s_cmp_lt_i32 s0, 6
	s_cbranch_scc1 .LBB30_1518
; %bb.1516:
	s_cmp_gt_i32 s0, 6
	s_cbranch_scc0 .LBB30_1519
; %bb.1517:
	global_load_dwordx2 v[6:7], v[0:1], off
	s_mov_b32 s3, 0
	s_waitcnt vmcnt(0)
	v_cvt_f32_f64_e32 v6, v[6:7]
	v_bfe_u32 v7, v6, 16, 1
	v_cmp_o_f32_e32 vcc_lo, v6, v6
	v_add3_u32 v6, v6, v7, 0x7fff
	v_mov_b32_e32 v7, 0x7fc0
	v_cndmask_b32_sdwa v6, v7, v6, vcc_lo dst_sel:DWORD dst_unused:UNUSED_PAD src0_sel:DWORD src1_sel:WORD_1
	s_branch .LBB30_1520
.LBB30_1518:
	s_mov_b32 s3, -1
                                        ; implicit-def: $vgpr6
	s_branch .LBB30_1523
.LBB30_1519:
	s_mov_b32 s3, -1
                                        ; implicit-def: $vgpr6
.LBB30_1520:
	s_andn2_b32 vcc_lo, exec_lo, s3
	s_cbranch_vccnz .LBB30_1522
; %bb.1521:
	global_load_dword v6, v[0:1], off
	s_waitcnt vmcnt(0)
	v_bfe_u32 v7, v6, 16, 1
	v_cmp_o_f32_e32 vcc_lo, v6, v6
	v_add3_u32 v6, v6, v7, 0x7fff
	v_mov_b32_e32 v7, 0x7fc0
	v_cndmask_b32_sdwa v6, v7, v6, vcc_lo dst_sel:DWORD dst_unused:UNUSED_PAD src0_sel:DWORD src1_sel:WORD_1
.LBB30_1522:
	s_mov_b32 s3, 0
.LBB30_1523:
	s_andn2_b32 vcc_lo, exec_lo, s3
	s_cbranch_vccnz .LBB30_1525
; %bb.1524:
	global_load_ushort v6, v[0:1], off
	s_waitcnt vmcnt(0)
	v_cvt_f32_f16_e32 v7, v6
	v_cmp_o_f16_e32 vcc_lo, v6, v6
	v_bfe_u32 v8, v7, 16, 1
	v_add3_u32 v6, v7, v8, 0x7fff
	v_mov_b32_e32 v7, 0x7fc0
	v_cndmask_b32_sdwa v6, v7, v6, vcc_lo dst_sel:DWORD dst_unused:UNUSED_PAD src0_sel:DWORD src1_sel:WORD_1
.LBB30_1525:
	s_mov_b32 s3, 0
.LBB30_1526:
	s_andn2_b32 vcc_lo, exec_lo, s3
	s_cbranch_vccnz .LBB30_1546
; %bb.1527:
	s_cmp_lt_i32 s0, 2
	s_cbranch_scc1 .LBB30_1531
; %bb.1528:
	s_cmp_lt_i32 s0, 3
	s_cbranch_scc1 .LBB30_1532
; %bb.1529:
	s_cmp_gt_i32 s0, 3
	s_cbranch_scc0 .LBB30_1533
; %bb.1530:
	global_load_dwordx2 v[6:7], v[0:1], off
	s_mov_b32 s3, 0
	s_waitcnt vmcnt(0)
	v_xor_b32_e32 v8, v6, v7
	v_ffbh_i32_e32 v9, v7
	v_ashrrev_i32_e32 v8, 31, v8
	v_add_nc_u32_e32 v9, -1, v9
	v_add_nc_u32_e32 v8, 32, v8
	v_min_u32_e32 v8, v9, v8
	v_lshlrev_b64 v[6:7], v8, v[6:7]
	v_min_u32_e32 v6, 1, v6
	v_or_b32_e32 v6, v7, v6
	v_sub_nc_u32_e32 v7, 32, v8
	v_cvt_f32_i32_e32 v6, v6
	v_ldexp_f32 v6, v6, v7
	v_bfe_u32 v7, v6, 16, 1
	v_add3_u32 v6, v6, v7, 0x7fff
	v_lshrrev_b32_e32 v6, 16, v6
	s_branch .LBB30_1534
.LBB30_1531:
	s_mov_b32 s3, -1
                                        ; implicit-def: $vgpr6
	s_branch .LBB30_1540
.LBB30_1532:
	s_mov_b32 s3, -1
                                        ; implicit-def: $vgpr6
	s_branch .LBB30_1537
.LBB30_1533:
	s_mov_b32 s3, -1
                                        ; implicit-def: $vgpr6
.LBB30_1534:
	s_andn2_b32 vcc_lo, exec_lo, s3
	s_cbranch_vccnz .LBB30_1536
; %bb.1535:
	global_load_dword v6, v[0:1], off
	s_waitcnt vmcnt(0)
	v_cvt_f32_i32_e32 v6, v6
	v_bfe_u32 v7, v6, 16, 1
	v_add3_u32 v6, v6, v7, 0x7fff
	v_lshrrev_b32_e32 v6, 16, v6
.LBB30_1536:
	s_mov_b32 s3, 0
.LBB30_1537:
	s_andn2_b32 vcc_lo, exec_lo, s3
	s_cbranch_vccnz .LBB30_1539
; %bb.1538:
	global_load_sshort v6, v[0:1], off
	s_waitcnt vmcnt(0)
	v_cvt_f32_i32_e32 v6, v6
	v_bfe_u32 v7, v6, 16, 1
	v_add3_u32 v6, v6, v7, 0x7fff
	v_lshrrev_b32_e32 v6, 16, v6
.LBB30_1539:
	s_mov_b32 s3, 0
.LBB30_1540:
	s_andn2_b32 vcc_lo, exec_lo, s3
	s_cbranch_vccnz .LBB30_1546
; %bb.1541:
	s_cmp_gt_i32 s0, 0
	s_mov_b32 s0, 0
	s_cbranch_scc0 .LBB30_1543
; %bb.1542:
	global_load_sbyte v6, v[0:1], off
	s_waitcnt vmcnt(0)
	v_cvt_f32_i32_e32 v6, v6
	v_bfe_u32 v7, v6, 16, 1
	v_add3_u32 v6, v6, v7, 0x7fff
	v_lshrrev_b32_e32 v6, 16, v6
	s_branch .LBB30_1544
.LBB30_1543:
	s_mov_b32 s0, -1
                                        ; implicit-def: $vgpr6
.LBB30_1544:
	s_andn2_b32 vcc_lo, exec_lo, s0
	s_cbranch_vccnz .LBB30_1546
; %bb.1545:
	global_load_ubyte v0, v[0:1], off
	s_waitcnt vmcnt(0)
	v_cvt_f32_ubyte0_e32 v0, v0
	v_bfe_u32 v1, v0, 16, 1
	v_add3_u32 v0, v0, v1, 0x7fff
	v_lshrrev_b32_e32 v6, 16, v0
.LBB30_1546:
	s_mov_b32 s10, -1
.LBB30_1547:
	s_andn2_b32 vcc_lo, exec_lo, s10
	s_cbranch_vccnz .LBB30_1981
; %bb.1548:
	s_waitcnt vmcnt(0)
	v_lshlrev_b32_e32 v0, 16, v3
	s_mov_b32 s0, 0x3b2d2a58
	v_mul_lo_u32 v2, s2, v2
	s_and_b32 s12, s1, 0xff
	s_cmp_lt_i32 s12, 11
	v_rcp_f32_e64 v1, |v0|
	v_cmp_gt_f32_e64 vcc_lo, |v0|, 1.0
	v_cndmask_b32_e64 v1, |v0|, v1, vcc_lo
	v_mul_f32_e32 v3, v1, v1
	v_fmaak_f32 v7, s0, v3, 0xbc7a590c
	v_fmaak_f32 v7, v3, v7, 0x3d29fb3f
	;; [unrolled: 1-line block ×7, first 2 shown]
	v_mul_f32_e32 v3, v3, v7
	v_ashrrev_i32_e32 v7, 31, v2
	v_fmac_f32_e32 v1, v1, v3
	v_sub_f32_e32 v3, 0x3fc90fdb, v1
	v_cndmask_b32_e32 v1, v1, v3, vcc_lo
	v_mov_b32_e32 v3, 0x7fc0
	v_bfi_b32 v0, 0x7fffffff, v1, v0
	v_bfe_u32 v1, v0, 16, 1
	v_cmp_o_f32_e32 vcc_lo, v0, v0
	v_add3_u32 v8, v0, v1, 0x7fff
	v_add_co_u32 v0, s0, s8, v2
	v_add_co_ci_u32_e64 v1, null, s9, v7, s0
	v_cndmask_b32_sdwa v3, v3, v8, vcc_lo dst_sel:DWORD dst_unused:UNUSED_PAD src0_sel:DWORD src1_sel:WORD_1
	s_cbranch_scc1 .LBB30_1626
; %bb.1549:
	s_and_b32 s1, 0xffff, s12
	s_mov_b32 s10, -1
	s_mov_b32 s3, 0
	s_cmp_gt_i32 s1, 25
	s_mov_b32 s5, 0
	s_mov_b32 s0, 0
	s_cbranch_scc0 .LBB30_1582
; %bb.1550:
	s_cmp_gt_i32 s1, 28
	s_cbranch_scc0 .LBB30_1565
; %bb.1551:
	s_cmp_gt_i32 s1, 43
	;; [unrolled: 3-line block ×3, first 2 shown]
	s_cbranch_scc0 .LBB30_1555
; %bb.1553:
	s_mov_b32 s0, -1
	s_mov_b32 s10, 0
	s_cmp_eq_u32 s1, 46
	s_cbranch_scc0 .LBB30_1555
; %bb.1554:
	v_and_b32_e32 v7, 0xffff, v3
	s_mov_b32 s0, 0
	s_mov_b32 s5, -1
	global_store_dword v[0:1], v7, off
.LBB30_1555:
	s_and_b32 vcc_lo, exec_lo, s10
	s_cbranch_vccz .LBB30_1560
; %bb.1556:
	s_cmp_eq_u32 s1, 44
	s_mov_b32 s0, -1
	s_cbranch_scc0 .LBB30_1560
; %bb.1557:
	v_and_b32_e32 v7, 0xffff, v3
	v_mov_b32_e32 v8, 0xff
	s_mov_b32 s5, exec_lo
	v_bfe_u32 v9, v7, 7, 8
	v_cmpx_ne_u32_e32 0xff, v9
	s_cbranch_execz .LBB30_1559
; %bb.1558:
	v_lshlrev_b32_e32 v8, 16, v7
	v_and_b32_e32 v10, 64, v7
	v_lshrrev_b32_e32 v7, 7, v7
	v_and_or_b32 v8, 0x3f0000, v8, v9
	v_cmp_ne_u32_e32 vcc_lo, 0, v10
	v_cmp_ne_u32_e64 s0, 0, v8
	s_and_b32 s0, vcc_lo, s0
	v_cndmask_b32_e64 v8, 0, 1, s0
	v_add_nc_u32_e32 v8, v7, v8
.LBB30_1559:
	s_or_b32 exec_lo, exec_lo, s5
	s_mov_b32 s0, 0
	s_mov_b32 s5, -1
	global_store_byte v[0:1], v8, off
.LBB30_1560:
	s_mov_b32 s10, 0
.LBB30_1561:
	s_and_b32 vcc_lo, exec_lo, s10
	s_cbranch_vccz .LBB30_1564
; %bb.1562:
	s_cmp_eq_u32 s1, 29
	s_mov_b32 s0, -1
	s_cbranch_scc0 .LBB30_1564
; %bb.1563:
	v_lshlrev_b32_e32 v7, 16, v3
	s_mov_b32 s0, 0
	s_mov_b32 s5, -1
	v_trunc_f32_e32 v7, v7
	v_mul_f32_e32 v8, 0x2f800000, v7
	v_floor_f32_e32 v8, v8
	v_fmamk_f32 v7, v8, 0xcf800000, v7
	v_cvt_u32_f32_e32 v8, v8
	v_cvt_u32_f32_e32 v7, v7
	global_store_dwordx2 v[0:1], v[7:8], off
.LBB30_1564:
	s_mov_b32 s10, 0
.LBB30_1565:
	s_and_b32 vcc_lo, exec_lo, s10
	s_cbranch_vccz .LBB30_1581
; %bb.1566:
	s_cmp_lt_i32 s1, 27
	s_mov_b32 s5, -1
	s_cbranch_scc1 .LBB30_1572
; %bb.1567:
	s_cmp_gt_i32 s1, 27
	s_cbranch_scc0 .LBB30_1569
; %bb.1568:
	v_lshlrev_b32_e32 v7, 16, v3
	s_mov_b32 s5, 0
	v_cvt_u32_f32_e32 v7, v7
	global_store_dword v[0:1], v7, off
.LBB30_1569:
	s_andn2_b32 vcc_lo, exec_lo, s5
	s_cbranch_vccnz .LBB30_1571
; %bb.1570:
	v_lshlrev_b32_e32 v7, 16, v3
	v_cvt_u32_f32_e32 v7, v7
	global_store_short v[0:1], v7, off
.LBB30_1571:
	s_mov_b32 s5, 0
.LBB30_1572:
	s_andn2_b32 vcc_lo, exec_lo, s5
	s_cbranch_vccnz .LBB30_1580
; %bb.1573:
	v_lshlrev_b32_e32 v9, 16, v3
	v_mov_b32_e32 v10, 0x80
	s_mov_b32 s5, exec_lo
	v_and_b32_e32 v8, 0x7fffffff, v9
	v_cmpx_gt_u32_e32 0x43800000, v8
	s_cbranch_execz .LBB30_1579
; %bb.1574:
	v_and_b32_e32 v7, 0xffff, v3
	v_cmp_lt_u32_e32 vcc_lo, 0x3bffffff, v8
	s_mov_b32 s10, 0
                                        ; implicit-def: $vgpr8
	s_and_saveexec_b32 s11, vcc_lo
	s_xor_b32 s11, exec_lo, s11
	s_cbranch_execz .LBB30_2028
; %bb.1575:
	v_bfe_u32 v8, v7, 4, 1
	s_mov_b32 s10, exec_lo
	v_add3_u32 v8, v9, v8, 0x487ffff
                                        ; implicit-def: $vgpr9
	v_lshrrev_b32_e32 v8, 20, v8
	s_andn2_saveexec_b32 s11, s11
	s_cbranch_execnz .LBB30_2029
.LBB30_1576:
	s_or_b32 exec_lo, exec_lo, s11
	v_mov_b32_e32 v10, 0
	s_and_saveexec_b32 s11, s10
.LBB30_1577:
	v_lshrrev_b32_e32 v7, 8, v7
	v_and_or_b32 v10, 0x80, v7, v8
.LBB30_1578:
	s_or_b32 exec_lo, exec_lo, s11
.LBB30_1579:
	s_or_b32 exec_lo, exec_lo, s5
	global_store_byte v[0:1], v10, off
.LBB30_1580:
	s_mov_b32 s5, -1
.LBB30_1581:
	s_mov_b32 s10, 0
.LBB30_1582:
	s_and_b32 vcc_lo, exec_lo, s10
	s_cbranch_vccz .LBB30_1622
; %bb.1583:
	s_cmp_gt_i32 s1, 22
	s_mov_b32 s3, -1
	s_cbranch_scc0 .LBB30_1615
; %bb.1584:
	s_cmp_lt_i32 s1, 24
	s_cbranch_scc1 .LBB30_1604
; %bb.1585:
	s_cmp_gt_i32 s1, 24
	s_cbranch_scc0 .LBB30_1593
; %bb.1586:
	v_lshlrev_b32_e32 v9, 16, v3
	v_mov_b32_e32 v10, 0x80
	s_mov_b32 s3, exec_lo
	v_and_b32_e32 v8, 0x7fffffff, v9
	v_cmpx_gt_u32_e32 0x47800000, v8
	s_cbranch_execz .LBB30_1592
; %bb.1587:
	v_and_b32_e32 v7, 0xffff, v3
	v_cmp_lt_u32_e32 vcc_lo, 0x37ffffff, v8
	s_mov_b32 s5, 0
                                        ; implicit-def: $vgpr8
	s_and_saveexec_b32 s10, vcc_lo
	s_xor_b32 s10, exec_lo, s10
	s_cbranch_execz .LBB30_2031
; %bb.1588:
	v_bfe_u32 v8, v7, 5, 1
	s_mov_b32 s5, exec_lo
	v_add3_u32 v8, v9, v8, 0x88fffff
                                        ; implicit-def: $vgpr9
	v_lshrrev_b32_e32 v8, 21, v8
	s_andn2_saveexec_b32 s10, s10
	s_cbranch_execnz .LBB30_2032
.LBB30_1589:
	s_or_b32 exec_lo, exec_lo, s10
	v_mov_b32_e32 v10, 0
	s_and_saveexec_b32 s10, s5
.LBB30_1590:
	v_lshrrev_b32_e32 v7, 8, v7
	v_and_or_b32 v10, 0x80, v7, v8
.LBB30_1591:
	s_or_b32 exec_lo, exec_lo, s10
.LBB30_1592:
	s_or_b32 exec_lo, exec_lo, s3
	s_mov_b32 s3, 0
	global_store_byte v[0:1], v10, off
.LBB30_1593:
	s_and_b32 vcc_lo, exec_lo, s3
	s_cbranch_vccz .LBB30_1603
; %bb.1594:
	v_lshlrev_b32_e32 v9, 16, v3
	v_and_b32_e32 v7, 0xffff, v3
	s_mov_b32 s3, exec_lo
                                        ; implicit-def: $vgpr8
	v_and_b32_e32 v10, 0x7fffffff, v9
	v_cmpx_gt_u32_e32 0x43f00000, v10
	s_xor_b32 s3, exec_lo, s3
	s_cbranch_execz .LBB30_1600
; %bb.1595:
	s_mov_b32 s5, exec_lo
                                        ; implicit-def: $vgpr8
	v_cmpx_lt_u32_e32 0x3c7fffff, v10
	s_xor_b32 s5, exec_lo, s5
; %bb.1596:
	v_bfe_u32 v8, v7, 4, 1
	v_add3_u32 v8, v9, v8, 0x407ffff
	v_and_b32_e32 v9, 0xff00000, v8
	v_lshrrev_b32_e32 v8, 20, v8
	v_cmp_ne_u32_e32 vcc_lo, 0x7f00000, v9
                                        ; implicit-def: $vgpr9
	v_cndmask_b32_e32 v8, 0x7e, v8, vcc_lo
; %bb.1597:
	s_andn2_saveexec_b32 s5, s5
; %bb.1598:
	v_add_f32_e64 v8, 0x46800000, |v9|
; %bb.1599:
	s_or_b32 exec_lo, exec_lo, s5
                                        ; implicit-def: $vgpr10
.LBB30_1600:
	s_andn2_saveexec_b32 s3, s3
; %bb.1601:
	v_mov_b32_e32 v8, 0x7f
	v_cmp_lt_u32_e32 vcc_lo, 0x7f800000, v10
	v_cndmask_b32_e32 v8, 0x7e, v8, vcc_lo
; %bb.1602:
	s_or_b32 exec_lo, exec_lo, s3
	v_lshrrev_b32_e32 v7, 8, v7
	v_and_or_b32 v7, 0x80, v7, v8
	global_store_byte v[0:1], v7, off
.LBB30_1603:
	s_mov_b32 s3, 0
.LBB30_1604:
	s_andn2_b32 vcc_lo, exec_lo, s3
	s_cbranch_vccnz .LBB30_1614
; %bb.1605:
	v_lshlrev_b32_e32 v9, 16, v3
	v_and_b32_e32 v7, 0xffff, v3
	s_mov_b32 s3, exec_lo
                                        ; implicit-def: $vgpr8
	v_and_b32_e32 v10, 0x7fffffff, v9
	v_cmpx_gt_u32_e32 0x47800000, v10
	s_xor_b32 s3, exec_lo, s3
	s_cbranch_execz .LBB30_1611
; %bb.1606:
	s_mov_b32 s5, exec_lo
                                        ; implicit-def: $vgpr8
	v_cmpx_lt_u32_e32 0x387fffff, v10
	s_xor_b32 s5, exec_lo, s5
; %bb.1607:
	v_bfe_u32 v8, v7, 5, 1
	v_add3_u32 v8, v9, v8, 0x80fffff
                                        ; implicit-def: $vgpr9
	v_lshrrev_b32_e32 v8, 21, v8
; %bb.1608:
	s_andn2_saveexec_b32 s5, s5
; %bb.1609:
	v_add_f32_e64 v8, 0x43000000, |v9|
; %bb.1610:
	s_or_b32 exec_lo, exec_lo, s5
                                        ; implicit-def: $vgpr10
.LBB30_1611:
	s_andn2_saveexec_b32 s3, s3
; %bb.1612:
	v_mov_b32_e32 v8, 0x7f
	v_cmp_lt_u32_e32 vcc_lo, 0x7f800000, v10
	v_cndmask_b32_e32 v8, 0x7c, v8, vcc_lo
; %bb.1613:
	s_or_b32 exec_lo, exec_lo, s3
	v_lshrrev_b32_e32 v7, 8, v7
	v_and_or_b32 v7, 0x80, v7, v8
	global_store_byte v[0:1], v7, off
.LBB30_1614:
	s_mov_b32 s3, 0
	s_mov_b32 s5, -1
.LBB30_1615:
	s_andn2_b32 vcc_lo, exec_lo, s3
	s_mov_b32 s3, 0
	s_cbranch_vccnz .LBB30_1622
; %bb.1616:
	s_cmp_gt_i32 s1, 14
	s_mov_b32 s3, -1
	s_cbranch_scc0 .LBB30_1620
; %bb.1617:
	s_cmp_eq_u32 s1, 15
	s_mov_b32 s0, -1
	s_cbranch_scc0 .LBB30_1619
; %bb.1618:
	s_mov_b32 s0, 0
	s_mov_b32 s5, -1
	global_store_short v[0:1], v3, off
.LBB30_1619:
	s_mov_b32 s3, 0
.LBB30_1620:
	s_and_b32 vcc_lo, exec_lo, s3
	s_mov_b32 s3, 0
	s_cbranch_vccz .LBB30_1622
; %bb.1621:
	s_cmp_lg_u32 s1, 11
	s_mov_b32 s3, -1
	s_cselect_b32 s0, -1, 0
.LBB30_1622:
	s_and_b32 vcc_lo, exec_lo, s0
	s_cbranch_vccnz .LBB30_2030
; %bb.1623:
	s_andn2_b32 vcc_lo, exec_lo, s3
	s_cbranch_vccnz .LBB30_1625
.LBB30_1624:
	v_and_b32_e32 v7, 0x7fff, v3
	s_mov_b32 s5, -1
	v_cmp_ne_u16_e32 vcc_lo, 0, v7
	v_cndmask_b32_e64 v7, 0, 1, vcc_lo
	global_store_byte v[0:1], v7, off
.LBB30_1625:
	s_mov_b32 s0, 0
	s_branch .LBB30_1627
.LBB30_1626:
	s_mov_b32 s0, -1
	s_mov_b32 s5, 0
.LBB30_1627:
	s_and_b32 vcc_lo, exec_lo, s0
	s_cbranch_vccz .LBB30_1666
; %bb.1628:
	s_and_b32 s0, 0xffff, s12
	s_mov_b32 s1, -1
	s_cmp_lt_i32 s0, 5
	s_cbranch_scc1 .LBB30_1649
; %bb.1629:
	s_cmp_lt_i32 s0, 8
	s_cbranch_scc1 .LBB30_1639
; %bb.1630:
	;; [unrolled: 3-line block ×3, first 2 shown]
	s_cmp_gt_i32 s0, 9
	s_cbranch_scc0 .LBB30_1633
; %bb.1632:
	v_lshlrev_b32_e32 v7, 16, v3
	v_mov_b32_e32 v9, 0
	s_mov_b32 s1, 0
	v_cvt_f64_f32_e32 v[7:8], v7
	v_mov_b32_e32 v10, v9
	global_store_dwordx4 v[0:1], v[7:10], off
.LBB30_1633:
	s_andn2_b32 vcc_lo, exec_lo, s1
	s_cbranch_vccnz .LBB30_1635
; %bb.1634:
	v_lshlrev_b32_e32 v7, 16, v3
	v_mov_b32_e32 v8, 0
	global_store_dwordx2 v[0:1], v[7:8], off
.LBB30_1635:
	s_mov_b32 s1, 0
.LBB30_1636:
	s_andn2_b32 vcc_lo, exec_lo, s1
	s_cbranch_vccnz .LBB30_1638
; %bb.1637:
	v_lshlrev_b32_e32 v7, 16, v3
	v_cvt_f16_f32_e32 v7, v7
	v_and_b32_e32 v7, 0xffff, v7
	global_store_dword v[0:1], v7, off
.LBB30_1638:
	s_mov_b32 s1, 0
.LBB30_1639:
	s_andn2_b32 vcc_lo, exec_lo, s1
	s_cbranch_vccnz .LBB30_1648
; %bb.1640:
	s_cmp_lt_i32 s0, 6
	s_mov_b32 s1, -1
	s_cbranch_scc1 .LBB30_1646
; %bb.1641:
	s_cmp_gt_i32 s0, 6
	s_cbranch_scc0 .LBB30_1643
; %bb.1642:
	v_lshlrev_b32_e32 v7, 16, v3
	s_mov_b32 s1, 0
	v_cvt_f64_f32_e32 v[7:8], v7
	global_store_dwordx2 v[0:1], v[7:8], off
.LBB30_1643:
	s_andn2_b32 vcc_lo, exec_lo, s1
	s_cbranch_vccnz .LBB30_1645
; %bb.1644:
	v_lshlrev_b32_e32 v7, 16, v3
	global_store_dword v[0:1], v7, off
.LBB30_1645:
	s_mov_b32 s1, 0
.LBB30_1646:
	s_andn2_b32 vcc_lo, exec_lo, s1
	s_cbranch_vccnz .LBB30_1648
; %bb.1647:
	v_lshlrev_b32_e32 v7, 16, v3
	v_cvt_f16_f32_e32 v7, v7
	global_store_short v[0:1], v7, off
.LBB30_1648:
	s_mov_b32 s1, 0
.LBB30_1649:
	s_andn2_b32 vcc_lo, exec_lo, s1
	s_cbranch_vccnz .LBB30_1665
; %bb.1650:
	s_cmp_lt_i32 s0, 2
	s_mov_b32 s1, -1
	s_cbranch_scc1 .LBB30_1660
; %bb.1651:
	s_cmp_lt_i32 s0, 3
	s_cbranch_scc1 .LBB30_1657
; %bb.1652:
	s_cmp_gt_i32 s0, 3
	s_cbranch_scc0 .LBB30_1654
; %bb.1653:
	v_lshlrev_b32_e32 v7, 16, v3
	s_mov_b32 s1, 0
	v_trunc_f32_e32 v7, v7
	v_mul_f32_e64 v8, 0x2f800000, |v7|
	v_ashrrev_i32_e32 v10, 31, v7
	v_floor_f32_e32 v8, v8
	v_fma_f32 v9, 0xcf800000, v8, |v7|
	v_cvt_u32_f32_e32 v8, v8
	v_cvt_u32_f32_e32 v7, v9
	v_xor_b32_e32 v8, v8, v10
	v_xor_b32_e32 v7, v7, v10
	v_sub_co_u32 v7, vcc_lo, v7, v10
	v_sub_co_ci_u32_e64 v8, null, v8, v10, vcc_lo
	global_store_dwordx2 v[0:1], v[7:8], off
.LBB30_1654:
	s_andn2_b32 vcc_lo, exec_lo, s1
	s_cbranch_vccnz .LBB30_1656
; %bb.1655:
	v_lshlrev_b32_e32 v7, 16, v3
	v_cvt_i32_f32_e32 v7, v7
	global_store_dword v[0:1], v7, off
.LBB30_1656:
	s_mov_b32 s1, 0
.LBB30_1657:
	s_andn2_b32 vcc_lo, exec_lo, s1
	s_cbranch_vccnz .LBB30_1659
; %bb.1658:
	v_lshlrev_b32_e32 v7, 16, v3
	v_cvt_i32_f32_e32 v7, v7
	global_store_short v[0:1], v7, off
.LBB30_1659:
	s_mov_b32 s1, 0
.LBB30_1660:
	s_andn2_b32 vcc_lo, exec_lo, s1
	s_cbranch_vccnz .LBB30_1665
; %bb.1661:
	v_lshlrev_b32_e32 v3, 16, v3
	s_cmp_gt_i32 s0, 0
	s_mov_b32 s0, -1
	s_cbranch_scc0 .LBB30_1663
; %bb.1662:
	v_cvt_i32_f32_e32 v7, v3
	s_mov_b32 s0, 0
	global_store_byte v[0:1], v7, off
.LBB30_1663:
	s_andn2_b32 vcc_lo, exec_lo, s0
	s_cbranch_vccnz .LBB30_1665
; %bb.1664:
	v_trunc_f32_e32 v3, v3
	v_mul_f32_e64 v7, 0x2f800000, |v3|
	v_floor_f32_e32 v7, v7
	v_fma_f32 v7, 0xcf800000, v7, |v3|
	v_ashrrev_i32_e32 v3, 31, v3
	v_cvt_u32_f32_e32 v7, v7
	v_xor_b32_e32 v7, v7, v3
	v_sub_nc_u32_e32 v3, v7, v3
	global_store_byte v[0:1], v3, off
.LBB30_1665:
	s_mov_b32 s5, -1
.LBB30_1666:
	s_andn2_b32 vcc_lo, exec_lo, s5
	s_cbranch_vccnz .LBB30_1981
; %bb.1667:
	v_lshlrev_b32_e32 v0, 16, v4
	s_mov_b32 s0, 0x3b2d2a58
	s_lshl_b32 s1, s2, 7
	s_cmp_lt_i32 s12, 11
	v_add_nc_u32_e32 v2, s1, v2
	v_rcp_f32_e64 v1, |v0|
	v_cmp_gt_f32_e64 vcc_lo, |v0|, 1.0
	v_cndmask_b32_e64 v1, |v0|, v1, vcc_lo
	v_mul_f32_e32 v3, v1, v1
	v_fmaak_f32 v4, s0, v3, 0xbc7a590c
	v_fmaak_f32 v4, v3, v4, 0x3d29fb3f
	;; [unrolled: 1-line block ×7, first 2 shown]
	v_mul_f32_e32 v3, v3, v4
	v_fmac_f32_e32 v1, v1, v3
	v_sub_f32_e32 v3, 0x3fc90fdb, v1
	v_cndmask_b32_e32 v1, v1, v3, vcc_lo
	v_mov_b32_e32 v3, 0x7fc0
	v_bfi_b32 v0, 0x7fffffff, v1, v0
	v_bfe_u32 v1, v0, 16, 1
	v_cmp_o_f32_e32 vcc_lo, v0, v0
	v_add3_u32 v0, v0, v1, 0x7fff
	v_ashrrev_i32_e32 v1, 31, v2
	v_cndmask_b32_sdwa v3, v3, v0, vcc_lo dst_sel:DWORD dst_unused:UNUSED_PAD src0_sel:DWORD src1_sel:WORD_1
	v_add_co_u32 v0, vcc_lo, s8, v2
	v_add_co_ci_u32_e64 v1, null, s9, v1, vcc_lo
	s_cbranch_scc1 .LBB30_1745
; %bb.1668:
	s_and_b32 s2, 0xffff, s12
	s_mov_b32 s10, -1
	s_mov_b32 s3, 0
	s_cmp_gt_i32 s2, 25
	s_mov_b32 s5, 0
	s_mov_b32 s0, 0
	s_cbranch_scc0 .LBB30_1701
; %bb.1669:
	s_cmp_gt_i32 s2, 28
	s_cbranch_scc0 .LBB30_1684
; %bb.1670:
	s_cmp_gt_i32 s2, 43
	s_cbranch_scc0 .LBB30_1680
; %bb.1671:
	s_cmp_gt_i32 s2, 45
	s_cbranch_scc0 .LBB30_1674
; %bb.1672:
	s_mov_b32 s0, -1
	s_mov_b32 s10, 0
	s_cmp_eq_u32 s2, 46
	s_cbranch_scc0 .LBB30_1674
; %bb.1673:
	v_and_b32_e32 v4, 0xffff, v3
	s_mov_b32 s0, 0
	s_mov_b32 s5, -1
	global_store_dword v[0:1], v4, off
.LBB30_1674:
	s_and_b32 vcc_lo, exec_lo, s10
	s_cbranch_vccz .LBB30_1679
; %bb.1675:
	s_cmp_eq_u32 s2, 44
	s_mov_b32 s0, -1
	s_cbranch_scc0 .LBB30_1679
; %bb.1676:
	v_and_b32_e32 v4, 0xffff, v3
	v_mov_b32_e32 v7, 0xff
	s_mov_b32 s5, exec_lo
	v_bfe_u32 v8, v4, 7, 8
	v_cmpx_ne_u32_e32 0xff, v8
	s_cbranch_execz .LBB30_1678
; %bb.1677:
	v_lshlrev_b32_e32 v7, 16, v4
	v_and_b32_e32 v9, 64, v4
	v_lshrrev_b32_e32 v4, 7, v4
	v_and_or_b32 v7, 0x3f0000, v7, v8
	v_cmp_ne_u32_e32 vcc_lo, 0, v9
	v_cmp_ne_u32_e64 s0, 0, v7
	s_and_b32 s0, vcc_lo, s0
	v_cndmask_b32_e64 v7, 0, 1, s0
	v_add_nc_u32_e32 v7, v4, v7
.LBB30_1678:
	s_or_b32 exec_lo, exec_lo, s5
	s_mov_b32 s0, 0
	s_mov_b32 s5, -1
	global_store_byte v[0:1], v7, off
.LBB30_1679:
	s_mov_b32 s10, 0
.LBB30_1680:
	s_and_b32 vcc_lo, exec_lo, s10
	s_cbranch_vccz .LBB30_1683
; %bb.1681:
	s_cmp_eq_u32 s2, 29
	s_mov_b32 s0, -1
	s_cbranch_scc0 .LBB30_1683
; %bb.1682:
	v_lshlrev_b32_e32 v4, 16, v3
	s_mov_b32 s0, 0
	s_mov_b32 s5, -1
	v_trunc_f32_e32 v4, v4
	v_mul_f32_e32 v7, 0x2f800000, v4
	v_floor_f32_e32 v7, v7
	v_fmamk_f32 v4, v7, 0xcf800000, v4
	v_cvt_u32_f32_e32 v8, v7
	v_cvt_u32_f32_e32 v7, v4
	global_store_dwordx2 v[0:1], v[7:8], off
.LBB30_1683:
	s_mov_b32 s10, 0
.LBB30_1684:
	s_and_b32 vcc_lo, exec_lo, s10
	s_cbranch_vccz .LBB30_1700
; %bb.1685:
	s_cmp_lt_i32 s2, 27
	s_mov_b32 s5, -1
	s_cbranch_scc1 .LBB30_1691
; %bb.1686:
	s_cmp_gt_i32 s2, 27
	s_cbranch_scc0 .LBB30_1688
; %bb.1687:
	v_lshlrev_b32_e32 v4, 16, v3
	s_mov_b32 s5, 0
	v_cvt_u32_f32_e32 v4, v4
	global_store_dword v[0:1], v4, off
.LBB30_1688:
	s_andn2_b32 vcc_lo, exec_lo, s5
	s_cbranch_vccnz .LBB30_1690
; %bb.1689:
	v_lshlrev_b32_e32 v4, 16, v3
	v_cvt_u32_f32_e32 v4, v4
	global_store_short v[0:1], v4, off
.LBB30_1690:
	s_mov_b32 s5, 0
.LBB30_1691:
	s_andn2_b32 vcc_lo, exec_lo, s5
	s_cbranch_vccnz .LBB30_1699
; %bb.1692:
	v_lshlrev_b32_e32 v8, 16, v3
	v_mov_b32_e32 v9, 0x80
	s_mov_b32 s5, exec_lo
	v_and_b32_e32 v7, 0x7fffffff, v8
	v_cmpx_gt_u32_e32 0x43800000, v7
	s_cbranch_execz .LBB30_1698
; %bb.1693:
	v_and_b32_e32 v4, 0xffff, v3
	v_cmp_lt_u32_e32 vcc_lo, 0x3bffffff, v7
	s_mov_b32 s10, 0
                                        ; implicit-def: $vgpr7
	s_and_saveexec_b32 s11, vcc_lo
	s_xor_b32 s11, exec_lo, s11
	s_cbranch_execz .LBB30_2033
; %bb.1694:
	v_bfe_u32 v7, v4, 4, 1
	s_mov_b32 s10, exec_lo
	v_add3_u32 v7, v8, v7, 0x487ffff
                                        ; implicit-def: $vgpr8
	v_lshrrev_b32_e32 v7, 20, v7
	s_andn2_saveexec_b32 s11, s11
	s_cbranch_execnz .LBB30_2034
.LBB30_1695:
	s_or_b32 exec_lo, exec_lo, s11
	v_mov_b32_e32 v9, 0
	s_and_saveexec_b32 s11, s10
.LBB30_1696:
	v_lshrrev_b32_e32 v4, 8, v4
	v_and_or_b32 v9, 0x80, v4, v7
.LBB30_1697:
	s_or_b32 exec_lo, exec_lo, s11
.LBB30_1698:
	s_or_b32 exec_lo, exec_lo, s5
	global_store_byte v[0:1], v9, off
.LBB30_1699:
	s_mov_b32 s5, -1
.LBB30_1700:
	s_mov_b32 s10, 0
.LBB30_1701:
	s_and_b32 vcc_lo, exec_lo, s10
	s_cbranch_vccz .LBB30_1741
; %bb.1702:
	s_cmp_gt_i32 s2, 22
	s_mov_b32 s3, -1
	s_cbranch_scc0 .LBB30_1734
; %bb.1703:
	s_cmp_lt_i32 s2, 24
	s_cbranch_scc1 .LBB30_1723
; %bb.1704:
	s_cmp_gt_i32 s2, 24
	s_cbranch_scc0 .LBB30_1712
; %bb.1705:
	v_lshlrev_b32_e32 v8, 16, v3
	v_mov_b32_e32 v9, 0x80
	s_mov_b32 s3, exec_lo
	v_and_b32_e32 v7, 0x7fffffff, v8
	v_cmpx_gt_u32_e32 0x47800000, v7
	s_cbranch_execz .LBB30_1711
; %bb.1706:
	v_and_b32_e32 v4, 0xffff, v3
	v_cmp_lt_u32_e32 vcc_lo, 0x37ffffff, v7
	s_mov_b32 s5, 0
                                        ; implicit-def: $vgpr7
	s_and_saveexec_b32 s10, vcc_lo
	s_xor_b32 s10, exec_lo, s10
	s_cbranch_execz .LBB30_2036
; %bb.1707:
	v_bfe_u32 v7, v4, 5, 1
	s_mov_b32 s5, exec_lo
	v_add3_u32 v7, v8, v7, 0x88fffff
                                        ; implicit-def: $vgpr8
	v_lshrrev_b32_e32 v7, 21, v7
	s_andn2_saveexec_b32 s10, s10
	s_cbranch_execnz .LBB30_2037
.LBB30_1708:
	s_or_b32 exec_lo, exec_lo, s10
	v_mov_b32_e32 v9, 0
	s_and_saveexec_b32 s10, s5
.LBB30_1709:
	v_lshrrev_b32_e32 v4, 8, v4
	v_and_or_b32 v9, 0x80, v4, v7
.LBB30_1710:
	s_or_b32 exec_lo, exec_lo, s10
.LBB30_1711:
	s_or_b32 exec_lo, exec_lo, s3
	s_mov_b32 s3, 0
	global_store_byte v[0:1], v9, off
.LBB30_1712:
	s_and_b32 vcc_lo, exec_lo, s3
	s_cbranch_vccz .LBB30_1722
; %bb.1713:
	v_lshlrev_b32_e32 v8, 16, v3
	v_and_b32_e32 v4, 0xffff, v3
	s_mov_b32 s3, exec_lo
                                        ; implicit-def: $vgpr7
	v_and_b32_e32 v9, 0x7fffffff, v8
	v_cmpx_gt_u32_e32 0x43f00000, v9
	s_xor_b32 s3, exec_lo, s3
	s_cbranch_execz .LBB30_1719
; %bb.1714:
	s_mov_b32 s5, exec_lo
                                        ; implicit-def: $vgpr7
	v_cmpx_lt_u32_e32 0x3c7fffff, v9
	s_xor_b32 s5, exec_lo, s5
; %bb.1715:
	v_bfe_u32 v7, v4, 4, 1
	v_add3_u32 v7, v8, v7, 0x407ffff
	v_and_b32_e32 v8, 0xff00000, v7
	v_lshrrev_b32_e32 v7, 20, v7
	v_cmp_ne_u32_e32 vcc_lo, 0x7f00000, v8
                                        ; implicit-def: $vgpr8
	v_cndmask_b32_e32 v7, 0x7e, v7, vcc_lo
; %bb.1716:
	s_andn2_saveexec_b32 s5, s5
; %bb.1717:
	v_add_f32_e64 v7, 0x46800000, |v8|
; %bb.1718:
	s_or_b32 exec_lo, exec_lo, s5
                                        ; implicit-def: $vgpr9
.LBB30_1719:
	s_andn2_saveexec_b32 s3, s3
; %bb.1720:
	v_mov_b32_e32 v7, 0x7f
	v_cmp_lt_u32_e32 vcc_lo, 0x7f800000, v9
	v_cndmask_b32_e32 v7, 0x7e, v7, vcc_lo
; %bb.1721:
	s_or_b32 exec_lo, exec_lo, s3
	v_lshrrev_b32_e32 v4, 8, v4
	v_and_or_b32 v4, 0x80, v4, v7
	global_store_byte v[0:1], v4, off
.LBB30_1722:
	s_mov_b32 s3, 0
.LBB30_1723:
	s_andn2_b32 vcc_lo, exec_lo, s3
	s_cbranch_vccnz .LBB30_1733
; %bb.1724:
	v_lshlrev_b32_e32 v8, 16, v3
	v_and_b32_e32 v4, 0xffff, v3
	s_mov_b32 s3, exec_lo
                                        ; implicit-def: $vgpr7
	v_and_b32_e32 v9, 0x7fffffff, v8
	v_cmpx_gt_u32_e32 0x47800000, v9
	s_xor_b32 s3, exec_lo, s3
	s_cbranch_execz .LBB30_1730
; %bb.1725:
	s_mov_b32 s5, exec_lo
                                        ; implicit-def: $vgpr7
	v_cmpx_lt_u32_e32 0x387fffff, v9
	s_xor_b32 s5, exec_lo, s5
; %bb.1726:
	v_bfe_u32 v7, v4, 5, 1
	v_add3_u32 v7, v8, v7, 0x80fffff
                                        ; implicit-def: $vgpr8
	v_lshrrev_b32_e32 v7, 21, v7
; %bb.1727:
	s_andn2_saveexec_b32 s5, s5
; %bb.1728:
	v_add_f32_e64 v7, 0x43000000, |v8|
; %bb.1729:
	s_or_b32 exec_lo, exec_lo, s5
                                        ; implicit-def: $vgpr9
.LBB30_1730:
	s_andn2_saveexec_b32 s3, s3
; %bb.1731:
	v_mov_b32_e32 v7, 0x7f
	v_cmp_lt_u32_e32 vcc_lo, 0x7f800000, v9
	v_cndmask_b32_e32 v7, 0x7c, v7, vcc_lo
; %bb.1732:
	s_or_b32 exec_lo, exec_lo, s3
	v_lshrrev_b32_e32 v4, 8, v4
	v_and_or_b32 v4, 0x80, v4, v7
	global_store_byte v[0:1], v4, off
.LBB30_1733:
	s_mov_b32 s3, 0
	s_mov_b32 s5, -1
.LBB30_1734:
	s_andn2_b32 vcc_lo, exec_lo, s3
	s_mov_b32 s3, 0
	s_cbranch_vccnz .LBB30_1741
; %bb.1735:
	s_cmp_gt_i32 s2, 14
	s_mov_b32 s3, -1
	s_cbranch_scc0 .LBB30_1739
; %bb.1736:
	s_cmp_eq_u32 s2, 15
	s_mov_b32 s0, -1
	s_cbranch_scc0 .LBB30_1738
; %bb.1737:
	s_mov_b32 s0, 0
	s_mov_b32 s5, -1
	global_store_short v[0:1], v3, off
.LBB30_1738:
	s_mov_b32 s3, 0
.LBB30_1739:
	s_and_b32 vcc_lo, exec_lo, s3
	s_mov_b32 s3, 0
	s_cbranch_vccz .LBB30_1741
; %bb.1740:
	s_cmp_lg_u32 s2, 11
	s_mov_b32 s3, -1
	s_cselect_b32 s0, -1, 0
.LBB30_1741:
	s_and_b32 vcc_lo, exec_lo, s0
	s_cbranch_vccnz .LBB30_2035
; %bb.1742:
	s_andn2_b32 vcc_lo, exec_lo, s3
	s_cbranch_vccnz .LBB30_1744
.LBB30_1743:
	v_and_b32_e32 v4, 0x7fff, v3
	s_mov_b32 s5, -1
	v_cmp_ne_u16_e32 vcc_lo, 0, v4
	v_cndmask_b32_e64 v4, 0, 1, vcc_lo
	global_store_byte v[0:1], v4, off
.LBB30_1744:
	s_mov_b32 s0, 0
	s_branch .LBB30_1746
.LBB30_1745:
	s_mov_b32 s0, -1
	s_mov_b32 s5, 0
.LBB30_1746:
	s_and_b32 vcc_lo, exec_lo, s0
	s_cbranch_vccz .LBB30_1785
; %bb.1747:
	s_and_b32 s0, 0xffff, s12
	s_mov_b32 s2, -1
	s_cmp_lt_i32 s0, 5
	s_cbranch_scc1 .LBB30_1768
; %bb.1748:
	s_cmp_lt_i32 s0, 8
	s_cbranch_scc1 .LBB30_1758
; %bb.1749:
	;; [unrolled: 3-line block ×3, first 2 shown]
	s_cmp_gt_i32 s0, 9
	s_cbranch_scc0 .LBB30_1752
; %bb.1751:
	v_lshlrev_b32_e32 v4, 16, v3
	v_mov_b32_e32 v9, 0
	s_mov_b32 s2, 0
	v_cvt_f64_f32_e32 v[7:8], v4
	v_mov_b32_e32 v10, v9
	global_store_dwordx4 v[0:1], v[7:10], off
.LBB30_1752:
	s_andn2_b32 vcc_lo, exec_lo, s2
	s_cbranch_vccnz .LBB30_1754
; %bb.1753:
	v_lshlrev_b32_e32 v7, 16, v3
	v_mov_b32_e32 v8, 0
	global_store_dwordx2 v[0:1], v[7:8], off
.LBB30_1754:
	s_mov_b32 s2, 0
.LBB30_1755:
	s_andn2_b32 vcc_lo, exec_lo, s2
	s_cbranch_vccnz .LBB30_1757
; %bb.1756:
	v_lshlrev_b32_e32 v4, 16, v3
	v_cvt_f16_f32_e32 v4, v4
	v_and_b32_e32 v4, 0xffff, v4
	global_store_dword v[0:1], v4, off
.LBB30_1757:
	s_mov_b32 s2, 0
.LBB30_1758:
	s_andn2_b32 vcc_lo, exec_lo, s2
	s_cbranch_vccnz .LBB30_1767
; %bb.1759:
	s_cmp_lt_i32 s0, 6
	s_mov_b32 s2, -1
	s_cbranch_scc1 .LBB30_1765
; %bb.1760:
	s_cmp_gt_i32 s0, 6
	s_cbranch_scc0 .LBB30_1762
; %bb.1761:
	v_lshlrev_b32_e32 v4, 16, v3
	s_mov_b32 s2, 0
	v_cvt_f64_f32_e32 v[7:8], v4
	global_store_dwordx2 v[0:1], v[7:8], off
.LBB30_1762:
	s_andn2_b32 vcc_lo, exec_lo, s2
	s_cbranch_vccnz .LBB30_1764
; %bb.1763:
	v_lshlrev_b32_e32 v4, 16, v3
	global_store_dword v[0:1], v4, off
.LBB30_1764:
	s_mov_b32 s2, 0
.LBB30_1765:
	s_andn2_b32 vcc_lo, exec_lo, s2
	s_cbranch_vccnz .LBB30_1767
; %bb.1766:
	v_lshlrev_b32_e32 v4, 16, v3
	v_cvt_f16_f32_e32 v4, v4
	global_store_short v[0:1], v4, off
.LBB30_1767:
	s_mov_b32 s2, 0
.LBB30_1768:
	s_andn2_b32 vcc_lo, exec_lo, s2
	s_cbranch_vccnz .LBB30_1784
; %bb.1769:
	s_cmp_lt_i32 s0, 2
	s_mov_b32 s2, -1
	s_cbranch_scc1 .LBB30_1779
; %bb.1770:
	s_cmp_lt_i32 s0, 3
	s_cbranch_scc1 .LBB30_1776
; %bb.1771:
	s_cmp_gt_i32 s0, 3
	s_cbranch_scc0 .LBB30_1773
; %bb.1772:
	v_lshlrev_b32_e32 v4, 16, v3
	s_mov_b32 s2, 0
	v_trunc_f32_e32 v4, v4
	v_mul_f32_e64 v7, 0x2f800000, |v4|
	v_floor_f32_e32 v7, v7
	v_fma_f32 v8, 0xcf800000, v7, |v4|
	v_ashrrev_i32_e32 v4, 31, v4
	v_cvt_u32_f32_e32 v7, v7
	v_cvt_u32_f32_e32 v8, v8
	v_xor_b32_e32 v9, v7, v4
	v_xor_b32_e32 v8, v8, v4
	v_sub_co_u32 v7, vcc_lo, v8, v4
	v_sub_co_ci_u32_e64 v8, null, v9, v4, vcc_lo
	global_store_dwordx2 v[0:1], v[7:8], off
.LBB30_1773:
	s_andn2_b32 vcc_lo, exec_lo, s2
	s_cbranch_vccnz .LBB30_1775
; %bb.1774:
	v_lshlrev_b32_e32 v4, 16, v3
	v_cvt_i32_f32_e32 v4, v4
	global_store_dword v[0:1], v4, off
.LBB30_1775:
	s_mov_b32 s2, 0
.LBB30_1776:
	s_andn2_b32 vcc_lo, exec_lo, s2
	s_cbranch_vccnz .LBB30_1778
; %bb.1777:
	v_lshlrev_b32_e32 v4, 16, v3
	v_cvt_i32_f32_e32 v4, v4
	global_store_short v[0:1], v4, off
.LBB30_1778:
	s_mov_b32 s2, 0
.LBB30_1779:
	s_andn2_b32 vcc_lo, exec_lo, s2
	s_cbranch_vccnz .LBB30_1784
; %bb.1780:
	v_lshlrev_b32_e32 v3, 16, v3
	s_cmp_gt_i32 s0, 0
	s_mov_b32 s0, -1
	s_cbranch_scc0 .LBB30_1782
; %bb.1781:
	v_cvt_i32_f32_e32 v4, v3
	s_mov_b32 s0, 0
	global_store_byte v[0:1], v4, off
.LBB30_1782:
	s_andn2_b32 vcc_lo, exec_lo, s0
	s_cbranch_vccnz .LBB30_1784
; %bb.1783:
	v_trunc_f32_e32 v3, v3
	v_mul_f32_e64 v4, 0x2f800000, |v3|
	v_floor_f32_e32 v4, v4
	v_fma_f32 v4, 0xcf800000, v4, |v3|
	v_ashrrev_i32_e32 v3, 31, v3
	v_cvt_u32_f32_e32 v4, v4
	v_xor_b32_e32 v4, v4, v3
	v_sub_nc_u32_e32 v3, v4, v3
	global_store_byte v[0:1], v3, off
.LBB30_1784:
	s_mov_b32 s5, -1
.LBB30_1785:
	s_andn2_b32 vcc_lo, exec_lo, s5
	s_cbranch_vccnz .LBB30_1981
; %bb.1786:
	v_lshlrev_b32_e32 v0, 16, v5
	s_mov_b32 s0, 0x3b2d2a58
	v_add_nc_u32_e32 v2, s1, v2
	s_cmp_lt_i32 s12, 11
	v_rcp_f32_e64 v1, |v0|
	v_cmp_gt_f32_e64 vcc_lo, |v0|, 1.0
	v_cndmask_b32_e64 v1, |v0|, v1, vcc_lo
	v_mul_f32_e32 v3, v1, v1
	v_fmaak_f32 v4, s0, v3, 0xbc7a590c
	v_fmaak_f32 v4, v3, v4, 0x3d29fb3f
	;; [unrolled: 1-line block ×7, first 2 shown]
	v_mul_f32_e32 v3, v3, v4
	v_fmac_f32_e32 v1, v1, v3
	v_sub_f32_e32 v3, 0x3fc90fdb, v1
	v_cndmask_b32_e32 v1, v1, v3, vcc_lo
	v_mov_b32_e32 v3, 0x7fc0
	v_bfi_b32 v0, 0x7fffffff, v1, v0
	v_bfe_u32 v1, v0, 16, 1
	v_cmp_o_f32_e32 vcc_lo, v0, v0
	v_add3_u32 v0, v0, v1, 0x7fff
	v_ashrrev_i32_e32 v1, 31, v2
	v_cndmask_b32_sdwa v3, v3, v0, vcc_lo dst_sel:DWORD dst_unused:UNUSED_PAD src0_sel:DWORD src1_sel:WORD_1
	v_add_co_u32 v0, vcc_lo, s8, v2
	v_add_co_ci_u32_e64 v1, null, s9, v1, vcc_lo
	s_cbranch_scc1 .LBB30_1864
; %bb.1787:
	s_and_b32 s2, 0xffff, s12
	s_mov_b32 s10, -1
	s_mov_b32 s3, 0
	s_cmp_gt_i32 s2, 25
	s_mov_b32 s5, 0
	s_mov_b32 s0, 0
	s_cbranch_scc0 .LBB30_1820
; %bb.1788:
	s_cmp_gt_i32 s2, 28
	s_cbranch_scc0 .LBB30_1803
; %bb.1789:
	s_cmp_gt_i32 s2, 43
	;; [unrolled: 3-line block ×3, first 2 shown]
	s_cbranch_scc0 .LBB30_1793
; %bb.1791:
	s_mov_b32 s0, -1
	s_mov_b32 s10, 0
	s_cmp_eq_u32 s2, 46
	s_cbranch_scc0 .LBB30_1793
; %bb.1792:
	v_and_b32_e32 v4, 0xffff, v3
	s_mov_b32 s0, 0
	s_mov_b32 s5, -1
	global_store_dword v[0:1], v4, off
.LBB30_1793:
	s_and_b32 vcc_lo, exec_lo, s10
	s_cbranch_vccz .LBB30_1798
; %bb.1794:
	s_cmp_eq_u32 s2, 44
	s_mov_b32 s0, -1
	s_cbranch_scc0 .LBB30_1798
; %bb.1795:
	v_and_b32_e32 v4, 0xffff, v3
	v_mov_b32_e32 v5, 0xff
	s_mov_b32 s5, exec_lo
	v_bfe_u32 v7, v4, 7, 8
	v_cmpx_ne_u32_e32 0xff, v7
	s_cbranch_execz .LBB30_1797
; %bb.1796:
	v_lshlrev_b32_e32 v5, 16, v4
	v_and_b32_e32 v8, 64, v4
	v_lshrrev_b32_e32 v4, 7, v4
	v_and_or_b32 v5, 0x3f0000, v5, v7
	v_cmp_ne_u32_e32 vcc_lo, 0, v8
	v_cmp_ne_u32_e64 s0, 0, v5
	s_and_b32 s0, vcc_lo, s0
	v_cndmask_b32_e64 v5, 0, 1, s0
	v_add_nc_u32_e32 v5, v4, v5
.LBB30_1797:
	s_or_b32 exec_lo, exec_lo, s5
	s_mov_b32 s0, 0
	s_mov_b32 s5, -1
	global_store_byte v[0:1], v5, off
.LBB30_1798:
	s_mov_b32 s10, 0
.LBB30_1799:
	s_and_b32 vcc_lo, exec_lo, s10
	s_cbranch_vccz .LBB30_1802
; %bb.1800:
	s_cmp_eq_u32 s2, 29
	s_mov_b32 s0, -1
	s_cbranch_scc0 .LBB30_1802
; %bb.1801:
	v_lshlrev_b32_e32 v4, 16, v3
	s_mov_b32 s0, 0
	s_mov_b32 s5, -1
	v_trunc_f32_e32 v4, v4
	v_mul_f32_e32 v5, 0x2f800000, v4
	v_floor_f32_e32 v5, v5
	v_fmamk_f32 v4, v5, 0xcf800000, v4
	v_cvt_u32_f32_e32 v5, v5
	v_cvt_u32_f32_e32 v4, v4
	global_store_dwordx2 v[0:1], v[4:5], off
.LBB30_1802:
	s_mov_b32 s10, 0
.LBB30_1803:
	s_and_b32 vcc_lo, exec_lo, s10
	s_cbranch_vccz .LBB30_1819
; %bb.1804:
	s_cmp_lt_i32 s2, 27
	s_mov_b32 s5, -1
	s_cbranch_scc1 .LBB30_1810
; %bb.1805:
	s_cmp_gt_i32 s2, 27
	s_cbranch_scc0 .LBB30_1807
; %bb.1806:
	v_lshlrev_b32_e32 v4, 16, v3
	s_mov_b32 s5, 0
	v_cvt_u32_f32_e32 v4, v4
	global_store_dword v[0:1], v4, off
.LBB30_1807:
	s_andn2_b32 vcc_lo, exec_lo, s5
	s_cbranch_vccnz .LBB30_1809
; %bb.1808:
	v_lshlrev_b32_e32 v4, 16, v3
	v_cvt_u32_f32_e32 v4, v4
	global_store_short v[0:1], v4, off
.LBB30_1809:
	s_mov_b32 s5, 0
.LBB30_1810:
	s_andn2_b32 vcc_lo, exec_lo, s5
	s_cbranch_vccnz .LBB30_1818
; %bb.1811:
	v_lshlrev_b32_e32 v7, 16, v3
	v_mov_b32_e32 v8, 0x80
	s_mov_b32 s5, exec_lo
	v_and_b32_e32 v5, 0x7fffffff, v7
	v_cmpx_gt_u32_e32 0x43800000, v5
	s_cbranch_execz .LBB30_1817
; %bb.1812:
	v_and_b32_e32 v4, 0xffff, v3
	v_cmp_lt_u32_e32 vcc_lo, 0x3bffffff, v5
	s_mov_b32 s10, 0
                                        ; implicit-def: $vgpr5
	s_and_saveexec_b32 s11, vcc_lo
	s_xor_b32 s11, exec_lo, s11
	s_cbranch_execz .LBB30_2038
; %bb.1813:
	v_bfe_u32 v5, v4, 4, 1
	s_mov_b32 s10, exec_lo
	v_add3_u32 v5, v7, v5, 0x487ffff
                                        ; implicit-def: $vgpr7
	v_lshrrev_b32_e32 v5, 20, v5
	s_andn2_saveexec_b32 s11, s11
	s_cbranch_execnz .LBB30_2039
.LBB30_1814:
	s_or_b32 exec_lo, exec_lo, s11
	v_mov_b32_e32 v8, 0
	s_and_saveexec_b32 s11, s10
.LBB30_1815:
	v_lshrrev_b32_e32 v4, 8, v4
	v_and_or_b32 v8, 0x80, v4, v5
.LBB30_1816:
	s_or_b32 exec_lo, exec_lo, s11
.LBB30_1817:
	s_or_b32 exec_lo, exec_lo, s5
	global_store_byte v[0:1], v8, off
.LBB30_1818:
	s_mov_b32 s5, -1
.LBB30_1819:
	s_mov_b32 s10, 0
.LBB30_1820:
	s_and_b32 vcc_lo, exec_lo, s10
	s_cbranch_vccz .LBB30_1860
; %bb.1821:
	s_cmp_gt_i32 s2, 22
	s_mov_b32 s3, -1
	s_cbranch_scc0 .LBB30_1853
; %bb.1822:
	s_cmp_lt_i32 s2, 24
	s_cbranch_scc1 .LBB30_1842
; %bb.1823:
	s_cmp_gt_i32 s2, 24
	s_cbranch_scc0 .LBB30_1831
; %bb.1824:
	v_lshlrev_b32_e32 v7, 16, v3
	v_mov_b32_e32 v8, 0x80
	s_mov_b32 s3, exec_lo
	v_and_b32_e32 v5, 0x7fffffff, v7
	v_cmpx_gt_u32_e32 0x47800000, v5
	s_cbranch_execz .LBB30_1830
; %bb.1825:
	v_and_b32_e32 v4, 0xffff, v3
	v_cmp_lt_u32_e32 vcc_lo, 0x37ffffff, v5
	s_mov_b32 s5, 0
                                        ; implicit-def: $vgpr5
	s_and_saveexec_b32 s10, vcc_lo
	s_xor_b32 s10, exec_lo, s10
	s_cbranch_execz .LBB30_2041
; %bb.1826:
	v_bfe_u32 v5, v4, 5, 1
	s_mov_b32 s5, exec_lo
	v_add3_u32 v5, v7, v5, 0x88fffff
                                        ; implicit-def: $vgpr7
	v_lshrrev_b32_e32 v5, 21, v5
	s_andn2_saveexec_b32 s10, s10
	s_cbranch_execnz .LBB30_2042
.LBB30_1827:
	s_or_b32 exec_lo, exec_lo, s10
	v_mov_b32_e32 v8, 0
	s_and_saveexec_b32 s10, s5
.LBB30_1828:
	v_lshrrev_b32_e32 v4, 8, v4
	v_and_or_b32 v8, 0x80, v4, v5
.LBB30_1829:
	s_or_b32 exec_lo, exec_lo, s10
.LBB30_1830:
	s_or_b32 exec_lo, exec_lo, s3
	s_mov_b32 s3, 0
	global_store_byte v[0:1], v8, off
.LBB30_1831:
	s_and_b32 vcc_lo, exec_lo, s3
	s_cbranch_vccz .LBB30_1841
; %bb.1832:
	v_lshlrev_b32_e32 v7, 16, v3
	v_and_b32_e32 v4, 0xffff, v3
	s_mov_b32 s3, exec_lo
                                        ; implicit-def: $vgpr5
	v_and_b32_e32 v8, 0x7fffffff, v7
	v_cmpx_gt_u32_e32 0x43f00000, v8
	s_xor_b32 s3, exec_lo, s3
	s_cbranch_execz .LBB30_1838
; %bb.1833:
	s_mov_b32 s5, exec_lo
                                        ; implicit-def: $vgpr5
	v_cmpx_lt_u32_e32 0x3c7fffff, v8
	s_xor_b32 s5, exec_lo, s5
; %bb.1834:
	v_bfe_u32 v5, v4, 4, 1
	v_add3_u32 v5, v7, v5, 0x407ffff
	v_and_b32_e32 v7, 0xff00000, v5
	v_lshrrev_b32_e32 v5, 20, v5
	v_cmp_ne_u32_e32 vcc_lo, 0x7f00000, v7
                                        ; implicit-def: $vgpr7
	v_cndmask_b32_e32 v5, 0x7e, v5, vcc_lo
; %bb.1835:
	s_andn2_saveexec_b32 s5, s5
; %bb.1836:
	v_add_f32_e64 v5, 0x46800000, |v7|
; %bb.1837:
	s_or_b32 exec_lo, exec_lo, s5
                                        ; implicit-def: $vgpr8
.LBB30_1838:
	s_andn2_saveexec_b32 s3, s3
; %bb.1839:
	v_mov_b32_e32 v5, 0x7f
	v_cmp_lt_u32_e32 vcc_lo, 0x7f800000, v8
	v_cndmask_b32_e32 v5, 0x7e, v5, vcc_lo
; %bb.1840:
	s_or_b32 exec_lo, exec_lo, s3
	v_lshrrev_b32_e32 v4, 8, v4
	v_and_or_b32 v4, 0x80, v4, v5
	global_store_byte v[0:1], v4, off
.LBB30_1841:
	s_mov_b32 s3, 0
.LBB30_1842:
	s_andn2_b32 vcc_lo, exec_lo, s3
	s_cbranch_vccnz .LBB30_1852
; %bb.1843:
	v_lshlrev_b32_e32 v7, 16, v3
	v_and_b32_e32 v4, 0xffff, v3
	s_mov_b32 s3, exec_lo
                                        ; implicit-def: $vgpr5
	v_and_b32_e32 v8, 0x7fffffff, v7
	v_cmpx_gt_u32_e32 0x47800000, v8
	s_xor_b32 s3, exec_lo, s3
	s_cbranch_execz .LBB30_1849
; %bb.1844:
	s_mov_b32 s5, exec_lo
                                        ; implicit-def: $vgpr5
	v_cmpx_lt_u32_e32 0x387fffff, v8
	s_xor_b32 s5, exec_lo, s5
; %bb.1845:
	v_bfe_u32 v5, v4, 5, 1
	v_add3_u32 v5, v7, v5, 0x80fffff
                                        ; implicit-def: $vgpr7
	v_lshrrev_b32_e32 v5, 21, v5
; %bb.1846:
	s_andn2_saveexec_b32 s5, s5
; %bb.1847:
	v_add_f32_e64 v5, 0x43000000, |v7|
; %bb.1848:
	s_or_b32 exec_lo, exec_lo, s5
                                        ; implicit-def: $vgpr8
.LBB30_1849:
	s_andn2_saveexec_b32 s3, s3
; %bb.1850:
	v_mov_b32_e32 v5, 0x7f
	v_cmp_lt_u32_e32 vcc_lo, 0x7f800000, v8
	v_cndmask_b32_e32 v5, 0x7c, v5, vcc_lo
; %bb.1851:
	s_or_b32 exec_lo, exec_lo, s3
	v_lshrrev_b32_e32 v4, 8, v4
	v_and_or_b32 v4, 0x80, v4, v5
	global_store_byte v[0:1], v4, off
.LBB30_1852:
	s_mov_b32 s3, 0
	s_mov_b32 s5, -1
.LBB30_1853:
	s_andn2_b32 vcc_lo, exec_lo, s3
	s_mov_b32 s3, 0
	s_cbranch_vccnz .LBB30_1860
; %bb.1854:
	s_cmp_gt_i32 s2, 14
	s_mov_b32 s3, -1
	s_cbranch_scc0 .LBB30_1858
; %bb.1855:
	s_cmp_eq_u32 s2, 15
	s_mov_b32 s0, -1
	s_cbranch_scc0 .LBB30_1857
; %bb.1856:
	s_mov_b32 s0, 0
	s_mov_b32 s5, -1
	global_store_short v[0:1], v3, off
.LBB30_1857:
	s_mov_b32 s3, 0
.LBB30_1858:
	s_and_b32 vcc_lo, exec_lo, s3
	s_mov_b32 s3, 0
	s_cbranch_vccz .LBB30_1860
; %bb.1859:
	s_cmp_lg_u32 s2, 11
	s_mov_b32 s3, -1
	s_cselect_b32 s0, -1, 0
.LBB30_1860:
	s_and_b32 vcc_lo, exec_lo, s0
	s_cbranch_vccnz .LBB30_2040
; %bb.1861:
	s_andn2_b32 vcc_lo, exec_lo, s3
	s_cbranch_vccnz .LBB30_1863
.LBB30_1862:
	v_and_b32_e32 v4, 0x7fff, v3
	s_mov_b32 s5, -1
	v_cmp_ne_u16_e32 vcc_lo, 0, v4
	v_cndmask_b32_e64 v4, 0, 1, vcc_lo
	global_store_byte v[0:1], v4, off
.LBB30_1863:
	s_mov_b32 s0, 0
	s_branch .LBB30_1865
.LBB30_1864:
	s_mov_b32 s0, -1
	s_mov_b32 s5, 0
.LBB30_1865:
	s_and_b32 vcc_lo, exec_lo, s0
	s_cbranch_vccz .LBB30_1904
; %bb.1866:
	s_and_b32 s0, 0xffff, s12
	s_mov_b32 s2, -1
	s_cmp_lt_i32 s0, 5
	s_cbranch_scc1 .LBB30_1887
; %bb.1867:
	s_cmp_lt_i32 s0, 8
	s_cbranch_scc1 .LBB30_1877
; %bb.1868:
	;; [unrolled: 3-line block ×3, first 2 shown]
	s_cmp_gt_i32 s0, 9
	s_cbranch_scc0 .LBB30_1871
; %bb.1870:
	v_lshlrev_b32_e32 v4, 16, v3
	v_mov_b32_e32 v9, 0
	s_mov_b32 s2, 0
	v_cvt_f64_f32_e32 v[7:8], v4
	v_mov_b32_e32 v10, v9
	global_store_dwordx4 v[0:1], v[7:10], off
.LBB30_1871:
	s_andn2_b32 vcc_lo, exec_lo, s2
	s_cbranch_vccnz .LBB30_1873
; %bb.1872:
	v_lshlrev_b32_e32 v4, 16, v3
	v_mov_b32_e32 v5, 0
	global_store_dwordx2 v[0:1], v[4:5], off
.LBB30_1873:
	s_mov_b32 s2, 0
.LBB30_1874:
	s_andn2_b32 vcc_lo, exec_lo, s2
	s_cbranch_vccnz .LBB30_1876
; %bb.1875:
	v_lshlrev_b32_e32 v4, 16, v3
	v_cvt_f16_f32_e32 v4, v4
	v_and_b32_e32 v4, 0xffff, v4
	global_store_dword v[0:1], v4, off
.LBB30_1876:
	s_mov_b32 s2, 0
.LBB30_1877:
	s_andn2_b32 vcc_lo, exec_lo, s2
	s_cbranch_vccnz .LBB30_1886
; %bb.1878:
	s_cmp_lt_i32 s0, 6
	s_mov_b32 s2, -1
	s_cbranch_scc1 .LBB30_1884
; %bb.1879:
	s_cmp_gt_i32 s0, 6
	s_cbranch_scc0 .LBB30_1881
; %bb.1880:
	v_lshlrev_b32_e32 v4, 16, v3
	s_mov_b32 s2, 0
	v_cvt_f64_f32_e32 v[4:5], v4
	global_store_dwordx2 v[0:1], v[4:5], off
.LBB30_1881:
	s_andn2_b32 vcc_lo, exec_lo, s2
	s_cbranch_vccnz .LBB30_1883
; %bb.1882:
	v_lshlrev_b32_e32 v4, 16, v3
	global_store_dword v[0:1], v4, off
.LBB30_1883:
	s_mov_b32 s2, 0
.LBB30_1884:
	s_andn2_b32 vcc_lo, exec_lo, s2
	s_cbranch_vccnz .LBB30_1886
; %bb.1885:
	v_lshlrev_b32_e32 v4, 16, v3
	v_cvt_f16_f32_e32 v4, v4
	global_store_short v[0:1], v4, off
.LBB30_1886:
	s_mov_b32 s2, 0
.LBB30_1887:
	s_andn2_b32 vcc_lo, exec_lo, s2
	s_cbranch_vccnz .LBB30_1903
; %bb.1888:
	s_cmp_lt_i32 s0, 2
	s_mov_b32 s2, -1
	s_cbranch_scc1 .LBB30_1898
; %bb.1889:
	s_cmp_lt_i32 s0, 3
	s_cbranch_scc1 .LBB30_1895
; %bb.1890:
	s_cmp_gt_i32 s0, 3
	s_cbranch_scc0 .LBB30_1892
; %bb.1891:
	v_lshlrev_b32_e32 v4, 16, v3
	s_mov_b32 s2, 0
	v_trunc_f32_e32 v4, v4
	v_mul_f32_e64 v5, 0x2f800000, |v4|
	v_ashrrev_i32_e32 v8, 31, v4
	v_floor_f32_e32 v5, v5
	v_fma_f32 v7, 0xcf800000, v5, |v4|
	v_cvt_u32_f32_e32 v5, v5
	v_cvt_u32_f32_e32 v4, v7
	v_xor_b32_e32 v5, v5, v8
	v_xor_b32_e32 v4, v4, v8
	v_sub_co_u32 v4, vcc_lo, v4, v8
	v_sub_co_ci_u32_e64 v5, null, v5, v8, vcc_lo
	global_store_dwordx2 v[0:1], v[4:5], off
.LBB30_1892:
	s_andn2_b32 vcc_lo, exec_lo, s2
	s_cbranch_vccnz .LBB30_1894
; %bb.1893:
	v_lshlrev_b32_e32 v4, 16, v3
	v_cvt_i32_f32_e32 v4, v4
	global_store_dword v[0:1], v4, off
.LBB30_1894:
	s_mov_b32 s2, 0
.LBB30_1895:
	s_andn2_b32 vcc_lo, exec_lo, s2
	s_cbranch_vccnz .LBB30_1897
; %bb.1896:
	v_lshlrev_b32_e32 v4, 16, v3
	v_cvt_i32_f32_e32 v4, v4
	global_store_short v[0:1], v4, off
.LBB30_1897:
	s_mov_b32 s2, 0
.LBB30_1898:
	s_andn2_b32 vcc_lo, exec_lo, s2
	s_cbranch_vccnz .LBB30_1903
; %bb.1899:
	v_lshlrev_b32_e32 v3, 16, v3
	s_cmp_gt_i32 s0, 0
	s_mov_b32 s0, -1
	s_cbranch_scc0 .LBB30_1901
; %bb.1900:
	v_cvt_i32_f32_e32 v4, v3
	s_mov_b32 s0, 0
	global_store_byte v[0:1], v4, off
.LBB30_1901:
	s_andn2_b32 vcc_lo, exec_lo, s0
	s_cbranch_vccnz .LBB30_1903
; %bb.1902:
	v_trunc_f32_e32 v3, v3
	v_mul_f32_e64 v4, 0x2f800000, |v3|
	v_floor_f32_e32 v4, v4
	v_fma_f32 v4, 0xcf800000, v4, |v3|
	v_ashrrev_i32_e32 v3, 31, v3
	v_cvt_u32_f32_e32 v4, v4
	v_xor_b32_e32 v4, v4, v3
	v_sub_nc_u32_e32 v3, v4, v3
	global_store_byte v[0:1], v3, off
.LBB30_1903:
	s_mov_b32 s5, -1
.LBB30_1904:
	s_andn2_b32 vcc_lo, exec_lo, s5
	s_cbranch_vccnz .LBB30_1981
; %bb.1905:
	v_lshlrev_b32_e32 v0, 16, v6
	s_mov_b32 s0, 0x3b2d2a58
	v_add_nc_u32_e32 v2, s1, v2
	s_cmp_lt_i32 s12, 11
	v_rcp_f32_e64 v1, |v0|
	v_cmp_gt_f32_e64 vcc_lo, |v0|, 1.0
	v_cndmask_b32_e64 v1, |v0|, v1, vcc_lo
	v_mul_f32_e32 v3, v1, v1
	v_fmaak_f32 v4, s0, v3, 0xbc7a590c
	v_fmaak_f32 v4, v3, v4, 0x3d29fb3f
	;; [unrolled: 1-line block ×7, first 2 shown]
	v_mul_f32_e32 v3, v3, v4
	v_fmac_f32_e32 v1, v1, v3
	v_sub_f32_e32 v3, 0x3fc90fdb, v1
	v_cndmask_b32_e32 v1, v1, v3, vcc_lo
	v_mov_b32_e32 v3, 0x7fc0
	v_bfi_b32 v0, 0x7fffffff, v1, v0
	v_bfe_u32 v1, v0, 16, 1
	v_cmp_o_f32_e32 vcc_lo, v0, v0
	v_add3_u32 v0, v0, v1, 0x7fff
	v_ashrrev_i32_e32 v1, 31, v2
	v_cndmask_b32_sdwa v3, v3, v0, vcc_lo dst_sel:DWORD dst_unused:UNUSED_PAD src0_sel:DWORD src1_sel:WORD_1
	v_add_co_u32 v0, vcc_lo, s8, v2
	v_add_co_ci_u32_e64 v1, null, s9, v1, vcc_lo
	s_cbranch_scc1 .LBB30_2026
; %bb.1906:
	s_and_b32 s1, 0xffff, s12
	s_mov_b32 s3, -1
	s_mov_b32 s2, 0
	s_cmp_gt_i32 s1, 25
	s_mov_b32 s0, 0
	s_cbranch_scc0 .LBB30_1939
; %bb.1907:
	s_cmp_gt_i32 s1, 28
	s_cbranch_scc0 .LBB30_1923
; %bb.1908:
	s_cmp_gt_i32 s1, 43
	;; [unrolled: 3-line block ×3, first 2 shown]
	s_cbranch_scc0 .LBB30_1913
; %bb.1910:
	s_cmp_eq_u32 s1, 46
	s_mov_b32 s0, -1
	s_cbranch_scc0 .LBB30_1912
; %bb.1911:
	v_and_b32_e32 v2, 0xffff, v3
	s_mov_b32 s0, 0
	global_store_dword v[0:1], v2, off
.LBB30_1912:
	s_mov_b32 s3, 0
.LBB30_1913:
	s_and_b32 vcc_lo, exec_lo, s3
	s_cbranch_vccz .LBB30_1918
; %bb.1914:
	s_cmp_eq_u32 s1, 44
	s_mov_b32 s0, -1
	s_cbranch_scc0 .LBB30_1918
; %bb.1915:
	v_and_b32_e32 v2, 0xffff, v3
	v_mov_b32_e32 v4, 0xff
	s_mov_b32 s3, exec_lo
	v_bfe_u32 v5, v2, 7, 8
	v_cmpx_ne_u32_e32 0xff, v5
	s_cbranch_execz .LBB30_1917
; %bb.1916:
	v_lshlrev_b32_e32 v4, 16, v2
	v_and_b32_e32 v6, 64, v2
	v_lshrrev_b32_e32 v2, 7, v2
	v_and_or_b32 v4, 0x3f0000, v4, v5
	v_cmp_ne_u32_e32 vcc_lo, 0, v6
	v_cmp_ne_u32_e64 s0, 0, v4
	s_and_b32 s0, vcc_lo, s0
	v_cndmask_b32_e64 v4, 0, 1, s0
	v_add_nc_u32_e32 v4, v2, v4
.LBB30_1917:
	s_or_b32 exec_lo, exec_lo, s3
	s_mov_b32 s0, 0
	global_store_byte v[0:1], v4, off
.LBB30_1918:
	s_mov_b32 s3, 0
.LBB30_1919:
	s_and_b32 vcc_lo, exec_lo, s3
	s_cbranch_vccz .LBB30_1922
; %bb.1920:
	s_cmp_eq_u32 s1, 29
	s_mov_b32 s0, -1
	s_cbranch_scc0 .LBB30_1922
; %bb.1921:
	v_lshlrev_b32_e32 v2, 16, v3
	s_mov_b32 s0, 0
	v_trunc_f32_e32 v2, v2
	v_mul_f32_e32 v4, 0x2f800000, v2
	v_floor_f32_e32 v4, v4
	v_fmamk_f32 v2, v4, 0xcf800000, v2
	v_cvt_u32_f32_e32 v5, v4
	v_cvt_u32_f32_e32 v4, v2
	global_store_dwordx2 v[0:1], v[4:5], off
.LBB30_1922:
	s_mov_b32 s3, 0
.LBB30_1923:
	s_and_b32 vcc_lo, exec_lo, s3
	s_cbranch_vccz .LBB30_1938
; %bb.1924:
	s_cmp_lt_i32 s1, 27
	s_mov_b32 s3, -1
	s_cbranch_scc1 .LBB30_1930
; %bb.1925:
	s_cmp_gt_i32 s1, 27
	s_cbranch_scc0 .LBB30_1927
; %bb.1926:
	v_lshlrev_b32_e32 v2, 16, v3
	s_mov_b32 s3, 0
	v_cvt_u32_f32_e32 v2, v2
	global_store_dword v[0:1], v2, off
.LBB30_1927:
	s_andn2_b32 vcc_lo, exec_lo, s3
	s_cbranch_vccnz .LBB30_1929
; %bb.1928:
	v_lshlrev_b32_e32 v2, 16, v3
	v_cvt_u32_f32_e32 v2, v2
	global_store_short v[0:1], v2, off
.LBB30_1929:
	s_mov_b32 s3, 0
.LBB30_1930:
	s_andn2_b32 vcc_lo, exec_lo, s3
	s_cbranch_vccnz .LBB30_1938
; %bb.1931:
	v_lshlrev_b32_e32 v5, 16, v3
	v_mov_b32_e32 v6, 0x80
	s_mov_b32 s3, exec_lo
	v_and_b32_e32 v4, 0x7fffffff, v5
	v_cmpx_gt_u32_e32 0x43800000, v4
	s_cbranch_execz .LBB30_1937
; %bb.1932:
	v_and_b32_e32 v2, 0xffff, v3
	v_cmp_lt_u32_e32 vcc_lo, 0x3bffffff, v4
	s_mov_b32 s5, 0
                                        ; implicit-def: $vgpr4
	s_and_saveexec_b32 s8, vcc_lo
	s_xor_b32 s8, exec_lo, s8
	s_cbranch_execz .LBB30_2043
; %bb.1933:
	v_bfe_u32 v4, v2, 4, 1
	s_mov_b32 s5, exec_lo
	v_add3_u32 v4, v5, v4, 0x487ffff
                                        ; implicit-def: $vgpr5
	v_lshrrev_b32_e32 v4, 20, v4
	s_andn2_saveexec_b32 s8, s8
	s_cbranch_execnz .LBB30_2044
.LBB30_1934:
	s_or_b32 exec_lo, exec_lo, s8
	v_mov_b32_e32 v6, 0
	s_and_saveexec_b32 s8, s5
.LBB30_1935:
	v_lshrrev_b32_e32 v2, 8, v2
	v_and_or_b32 v6, 0x80, v2, v4
.LBB30_1936:
	s_or_b32 exec_lo, exec_lo, s8
.LBB30_1937:
	s_or_b32 exec_lo, exec_lo, s3
	global_store_byte v[0:1], v6, off
.LBB30_1938:
	s_mov_b32 s3, 0
.LBB30_1939:
	s_and_b32 vcc_lo, exec_lo, s3
	s_cbranch_vccz .LBB30_1979
; %bb.1940:
	s_cmp_gt_i32 s1, 22
	s_mov_b32 s2, -1
	s_cbranch_scc0 .LBB30_1972
; %bb.1941:
	s_cmp_lt_i32 s1, 24
	s_cbranch_scc1 .LBB30_1961
; %bb.1942:
	s_cmp_gt_i32 s1, 24
	s_cbranch_scc0 .LBB30_1950
; %bb.1943:
	v_lshlrev_b32_e32 v5, 16, v3
	v_mov_b32_e32 v6, 0x80
	s_mov_b32 s2, exec_lo
	v_and_b32_e32 v4, 0x7fffffff, v5
	v_cmpx_gt_u32_e32 0x47800000, v4
	s_cbranch_execz .LBB30_1949
; %bb.1944:
	v_and_b32_e32 v2, 0xffff, v3
	v_cmp_lt_u32_e32 vcc_lo, 0x37ffffff, v4
	s_mov_b32 s3, 0
                                        ; implicit-def: $vgpr4
	s_and_saveexec_b32 s5, vcc_lo
	s_xor_b32 s5, exec_lo, s5
	s_cbranch_execz .LBB30_2046
; %bb.1945:
	v_bfe_u32 v4, v2, 5, 1
	s_mov_b32 s3, exec_lo
	v_add3_u32 v4, v5, v4, 0x88fffff
                                        ; implicit-def: $vgpr5
	v_lshrrev_b32_e32 v4, 21, v4
	s_andn2_saveexec_b32 s5, s5
	s_cbranch_execnz .LBB30_2047
.LBB30_1946:
	s_or_b32 exec_lo, exec_lo, s5
	v_mov_b32_e32 v6, 0
	s_and_saveexec_b32 s5, s3
.LBB30_1947:
	v_lshrrev_b32_e32 v2, 8, v2
	v_and_or_b32 v6, 0x80, v2, v4
.LBB30_1948:
	s_or_b32 exec_lo, exec_lo, s5
.LBB30_1949:
	s_or_b32 exec_lo, exec_lo, s2
	s_mov_b32 s2, 0
	global_store_byte v[0:1], v6, off
.LBB30_1950:
	s_and_b32 vcc_lo, exec_lo, s2
	s_cbranch_vccz .LBB30_1960
; %bb.1951:
	v_lshlrev_b32_e32 v5, 16, v3
	v_and_b32_e32 v2, 0xffff, v3
	s_mov_b32 s2, exec_lo
                                        ; implicit-def: $vgpr4
	v_and_b32_e32 v6, 0x7fffffff, v5
	v_cmpx_gt_u32_e32 0x43f00000, v6
	s_xor_b32 s2, exec_lo, s2
	s_cbranch_execz .LBB30_1957
; %bb.1952:
	s_mov_b32 s3, exec_lo
                                        ; implicit-def: $vgpr4
	v_cmpx_lt_u32_e32 0x3c7fffff, v6
	s_xor_b32 s3, exec_lo, s3
; %bb.1953:
	v_bfe_u32 v4, v2, 4, 1
	v_add3_u32 v4, v5, v4, 0x407ffff
	v_and_b32_e32 v5, 0xff00000, v4
	v_lshrrev_b32_e32 v4, 20, v4
	v_cmp_ne_u32_e32 vcc_lo, 0x7f00000, v5
                                        ; implicit-def: $vgpr5
	v_cndmask_b32_e32 v4, 0x7e, v4, vcc_lo
; %bb.1954:
	s_andn2_saveexec_b32 s3, s3
; %bb.1955:
	v_add_f32_e64 v4, 0x46800000, |v5|
; %bb.1956:
	s_or_b32 exec_lo, exec_lo, s3
                                        ; implicit-def: $vgpr6
.LBB30_1957:
	s_andn2_saveexec_b32 s2, s2
; %bb.1958:
	v_mov_b32_e32 v4, 0x7f
	v_cmp_lt_u32_e32 vcc_lo, 0x7f800000, v6
	v_cndmask_b32_e32 v4, 0x7e, v4, vcc_lo
; %bb.1959:
	s_or_b32 exec_lo, exec_lo, s2
	v_lshrrev_b32_e32 v2, 8, v2
	v_and_or_b32 v2, 0x80, v2, v4
	global_store_byte v[0:1], v2, off
.LBB30_1960:
	s_mov_b32 s2, 0
.LBB30_1961:
	s_andn2_b32 vcc_lo, exec_lo, s2
	s_cbranch_vccnz .LBB30_1971
; %bb.1962:
	v_lshlrev_b32_e32 v5, 16, v3
	v_and_b32_e32 v2, 0xffff, v3
	s_mov_b32 s2, exec_lo
                                        ; implicit-def: $vgpr4
	v_and_b32_e32 v6, 0x7fffffff, v5
	v_cmpx_gt_u32_e32 0x47800000, v6
	s_xor_b32 s2, exec_lo, s2
	s_cbranch_execz .LBB30_1968
; %bb.1963:
	s_mov_b32 s3, exec_lo
                                        ; implicit-def: $vgpr4
	v_cmpx_lt_u32_e32 0x387fffff, v6
	s_xor_b32 s3, exec_lo, s3
; %bb.1964:
	v_bfe_u32 v4, v2, 5, 1
	v_add3_u32 v4, v5, v4, 0x80fffff
                                        ; implicit-def: $vgpr5
	v_lshrrev_b32_e32 v4, 21, v4
; %bb.1965:
	s_andn2_saveexec_b32 s3, s3
; %bb.1966:
	v_add_f32_e64 v4, 0x43000000, |v5|
; %bb.1967:
	s_or_b32 exec_lo, exec_lo, s3
                                        ; implicit-def: $vgpr6
.LBB30_1968:
	s_andn2_saveexec_b32 s2, s2
; %bb.1969:
	v_mov_b32_e32 v4, 0x7f
	v_cmp_lt_u32_e32 vcc_lo, 0x7f800000, v6
	v_cndmask_b32_e32 v4, 0x7c, v4, vcc_lo
; %bb.1970:
	s_or_b32 exec_lo, exec_lo, s2
	v_lshrrev_b32_e32 v2, 8, v2
	v_and_or_b32 v2, 0x80, v2, v4
	global_store_byte v[0:1], v2, off
.LBB30_1971:
	s_mov_b32 s2, 0
.LBB30_1972:
	s_andn2_b32 vcc_lo, exec_lo, s2
	s_mov_b32 s2, 0
	s_cbranch_vccnz .LBB30_1979
; %bb.1973:
	s_cmp_gt_i32 s1, 14
	s_mov_b32 s2, -1
	s_cbranch_scc0 .LBB30_1977
; %bb.1974:
	s_cmp_eq_u32 s1, 15
	s_mov_b32 s0, -1
	s_cbranch_scc0 .LBB30_1976
; %bb.1975:
	s_mov_b32 s0, 0
	global_store_short v[0:1], v3, off
.LBB30_1976:
	s_mov_b32 s2, 0
.LBB30_1977:
	s_and_b32 vcc_lo, exec_lo, s2
	s_mov_b32 s2, 0
	s_cbranch_vccz .LBB30_1979
; %bb.1978:
	s_cmp_lg_u32 s1, 11
	s_mov_b32 s2, -1
	s_cselect_b32 s0, -1, 0
.LBB30_1979:
	s_and_b32 vcc_lo, exec_lo, s0
	s_cbranch_vccnz .LBB30_2045
.LBB30_1980:
	s_mov_b32 s0, 0
	s_branch .LBB30_1982
.LBB30_1981:
	s_mov_b32 s0, 0
	s_mov_b32 s2, 0
                                        ; implicit-def: $sgpr12
                                        ; implicit-def: $vgpr0_vgpr1
                                        ; implicit-def: $vgpr3
.LBB30_1982:
	s_andn2_b32 s1, s7, exec_lo
	s_and_b32 s3, s4, exec_lo
	s_and_b32 s0, s0, exec_lo
	;; [unrolled: 1-line block ×3, first 2 shown]
	s_or_b32 s7, s1, s3
.LBB30_1983:
	s_or_b32 exec_lo, exec_lo, s6
	s_and_saveexec_b32 s1, s7
	s_cbranch_execz .LBB30_1986
; %bb.1984:
	; divergent unreachable
	s_or_b32 exec_lo, exec_lo, s1
	s_and_saveexec_b32 s1, s4
	s_xor_b32 s1, exec_lo, s1
	s_cbranch_execnz .LBB30_1987
.LBB30_1985:
	s_or_b32 exec_lo, exec_lo, s1
	s_and_saveexec_b32 s1, s0
	s_cbranch_execnz .LBB30_1988
	s_branch .LBB30_2025
.LBB30_1986:
	s_or_b32 exec_lo, exec_lo, s1
	s_and_saveexec_b32 s1, s4
	s_xor_b32 s1, exec_lo, s1
	s_cbranch_execz .LBB30_1985
.LBB30_1987:
	s_waitcnt vmcnt(0)
	v_and_b32_e32 v2, 0x7fff, v3
	v_cmp_ne_u16_e32 vcc_lo, 0, v2
	v_cndmask_b32_e64 v2, 0, 1, vcc_lo
	global_store_byte v[0:1], v2, off
	s_or_b32 exec_lo, exec_lo, s1
	s_and_saveexec_b32 s1, s0
	s_cbranch_execz .LBB30_2025
.LBB30_1988:
	s_sext_i32_i16 s1, s12
	s_mov_b32 s0, -1
	s_cmp_lt_i32 s1, 5
	s_cbranch_scc1 .LBB30_2009
; %bb.1989:
	s_cmp_lt_i32 s1, 8
	s_cbranch_scc1 .LBB30_1999
; %bb.1990:
	;; [unrolled: 3-line block ×3, first 2 shown]
	s_cmp_gt_i32 s1, 9
	s_cbranch_scc0 .LBB30_1993
; %bb.1992:
	s_waitcnt vmcnt(0)
	v_lshlrev_b32_e32 v2, 16, v3
	v_mov_b32_e32 v6, 0
	s_mov_b32 s0, 0
	v_cvt_f64_f32_e32 v[4:5], v2
	v_mov_b32_e32 v7, v6
	global_store_dwordx4 v[0:1], v[4:7], off
.LBB30_1993:
	s_andn2_b32 vcc_lo, exec_lo, s0
	s_cbranch_vccnz .LBB30_1995
; %bb.1994:
	s_waitcnt vmcnt(0)
	v_lshlrev_b32_e32 v4, 16, v3
	v_mov_b32_e32 v5, 0
	global_store_dwordx2 v[0:1], v[4:5], off
.LBB30_1995:
	s_mov_b32 s0, 0
.LBB30_1996:
	s_andn2_b32 vcc_lo, exec_lo, s0
	s_cbranch_vccnz .LBB30_1998
; %bb.1997:
	s_waitcnt vmcnt(0)
	v_lshlrev_b32_e32 v2, 16, v3
	v_cvt_f16_f32_e32 v2, v2
	v_and_b32_e32 v2, 0xffff, v2
	global_store_dword v[0:1], v2, off
.LBB30_1998:
	s_mov_b32 s0, 0
.LBB30_1999:
	s_andn2_b32 vcc_lo, exec_lo, s0
	s_cbranch_vccnz .LBB30_2008
; %bb.2000:
	s_sext_i32_i16 s1, s12
	s_mov_b32 s0, -1
	s_cmp_lt_i32 s1, 6
	s_cbranch_scc1 .LBB30_2006
; %bb.2001:
	s_cmp_gt_i32 s1, 6
	s_cbranch_scc0 .LBB30_2003
; %bb.2002:
	s_waitcnt vmcnt(0)
	v_lshlrev_b32_e32 v2, 16, v3
	s_mov_b32 s0, 0
	v_cvt_f64_f32_e32 v[4:5], v2
	global_store_dwordx2 v[0:1], v[4:5], off
.LBB30_2003:
	s_andn2_b32 vcc_lo, exec_lo, s0
	s_cbranch_vccnz .LBB30_2005
; %bb.2004:
	s_waitcnt vmcnt(0)
	v_lshlrev_b32_e32 v2, 16, v3
	global_store_dword v[0:1], v2, off
.LBB30_2005:
	s_mov_b32 s0, 0
.LBB30_2006:
	s_andn2_b32 vcc_lo, exec_lo, s0
	s_cbranch_vccnz .LBB30_2008
; %bb.2007:
	s_waitcnt vmcnt(0)
	v_lshlrev_b32_e32 v2, 16, v3
	v_cvt_f16_f32_e32 v2, v2
	global_store_short v[0:1], v2, off
.LBB30_2008:
	s_mov_b32 s0, 0
.LBB30_2009:
	s_andn2_b32 vcc_lo, exec_lo, s0
	s_cbranch_vccnz .LBB30_2025
; %bb.2010:
	s_sext_i32_i16 s1, s12
	s_mov_b32 s0, -1
	s_cmp_lt_i32 s1, 2
	s_cbranch_scc1 .LBB30_2020
; %bb.2011:
	s_cmp_lt_i32 s1, 3
	s_cbranch_scc1 .LBB30_2017
; %bb.2012:
	s_cmp_gt_i32 s1, 3
	s_cbranch_scc0 .LBB30_2014
; %bb.2013:
	s_waitcnt vmcnt(0)
	v_lshlrev_b32_e32 v2, 16, v3
	s_mov_b32 s0, 0
	v_trunc_f32_e32 v2, v2
	v_mul_f32_e64 v4, 0x2f800000, |v2|
	v_floor_f32_e32 v4, v4
	v_fma_f32 v5, 0xcf800000, v4, |v2|
	v_ashrrev_i32_e32 v2, 31, v2
	v_cvt_u32_f32_e32 v4, v4
	v_cvt_u32_f32_e32 v5, v5
	v_xor_b32_e32 v6, v4, v2
	v_xor_b32_e32 v5, v5, v2
	v_sub_co_u32 v4, vcc_lo, v5, v2
	v_sub_co_ci_u32_e64 v5, null, v6, v2, vcc_lo
	global_store_dwordx2 v[0:1], v[4:5], off
.LBB30_2014:
	s_andn2_b32 vcc_lo, exec_lo, s0
	s_cbranch_vccnz .LBB30_2016
; %bb.2015:
	s_waitcnt vmcnt(0)
	v_lshlrev_b32_e32 v2, 16, v3
	v_cvt_i32_f32_e32 v2, v2
	global_store_dword v[0:1], v2, off
.LBB30_2016:
	s_mov_b32 s0, 0
.LBB30_2017:
	s_andn2_b32 vcc_lo, exec_lo, s0
	s_cbranch_vccnz .LBB30_2019
; %bb.2018:
	s_waitcnt vmcnt(0)
	v_lshlrev_b32_e32 v2, 16, v3
	v_cvt_i32_f32_e32 v2, v2
	global_store_short v[0:1], v2, off
.LBB30_2019:
	s_mov_b32 s0, 0
.LBB30_2020:
	s_andn2_b32 vcc_lo, exec_lo, s0
	s_cbranch_vccnz .LBB30_2025
; %bb.2021:
	s_waitcnt vmcnt(0)
	v_lshlrev_b32_e32 v2, 16, v3
	s_sext_i32_i16 s0, s12
	s_cmp_gt_i32 s0, 0
	s_mov_b32 s0, -1
	s_cbranch_scc0 .LBB30_2023
; %bb.2022:
	v_cvt_i32_f32_e32 v3, v2
	s_mov_b32 s0, 0
	global_store_byte v[0:1], v3, off
.LBB30_2023:
	s_andn2_b32 vcc_lo, exec_lo, s0
	s_cbranch_vccnz .LBB30_2025
; %bb.2024:
	v_trunc_f32_e32 v2, v2
	v_mul_f32_e64 v3, 0x2f800000, |v2|
	v_floor_f32_e32 v3, v3
	v_fma_f32 v3, 0xcf800000, v3, |v2|
	v_ashrrev_i32_e32 v2, 31, v2
	v_cvt_u32_f32_e32 v3, v3
	v_xor_b32_e32 v3, v3, v2
	v_sub_nc_u32_e32 v2, v3, v2
	global_store_byte v[0:1], v2, off
	s_endpgm
.LBB30_2025:
	s_endpgm
.LBB30_2026:
	s_mov_b32 s2, 0
	s_mov_b32 s0, -1
	s_branch .LBB30_1982
.LBB30_2027:
	s_or_b32 s4, s4, exec_lo
	s_trap 2
	s_cbranch_execz .LBB30_1496
	s_branch .LBB30_1497
.LBB30_2028:
	s_andn2_saveexec_b32 s11, s11
	s_cbranch_execz .LBB30_1576
.LBB30_2029:
	v_add_f32_e64 v8, 0x46000000, |v9|
	s_andn2_b32 s10, s10, exec_lo
	v_and_b32_e32 v8, 0xff, v8
	v_cmp_ne_u32_e32 vcc_lo, 0, v8
	s_and_b32 s13, vcc_lo, exec_lo
	s_or_b32 s10, s10, s13
	s_or_b32 exec_lo, exec_lo, s11
	v_mov_b32_e32 v10, 0
	s_and_saveexec_b32 s11, s10
	s_cbranch_execnz .LBB30_1577
	s_branch .LBB30_1578
.LBB30_2030:
	s_or_b32 s4, s4, exec_lo
	s_trap 2
	s_cbranch_execz .LBB30_1624
	s_branch .LBB30_1625
.LBB30_2031:
	s_andn2_saveexec_b32 s10, s10
	s_cbranch_execz .LBB30_1589
.LBB30_2032:
	v_add_f32_e64 v8, 0x42800000, |v9|
	s_andn2_b32 s5, s5, exec_lo
	v_and_b32_e32 v8, 0xff, v8
	v_cmp_ne_u32_e32 vcc_lo, 0, v8
	s_and_b32 s11, vcc_lo, exec_lo
	s_or_b32 s5, s5, s11
	s_or_b32 exec_lo, exec_lo, s10
	v_mov_b32_e32 v10, 0
	s_and_saveexec_b32 s10, s5
	s_cbranch_execnz .LBB30_1590
	s_branch .LBB30_1591
.LBB30_2033:
	s_andn2_saveexec_b32 s11, s11
	s_cbranch_execz .LBB30_1695
.LBB30_2034:
	v_add_f32_e64 v7, 0x46000000, |v8|
	s_andn2_b32 s10, s10, exec_lo
	v_and_b32_e32 v7, 0xff, v7
	v_cmp_ne_u32_e32 vcc_lo, 0, v7
	s_and_b32 s13, vcc_lo, exec_lo
	s_or_b32 s10, s10, s13
	s_or_b32 exec_lo, exec_lo, s11
	v_mov_b32_e32 v9, 0
	s_and_saveexec_b32 s11, s10
	s_cbranch_execnz .LBB30_1696
	s_branch .LBB30_1697
.LBB30_2035:
	s_or_b32 s4, s4, exec_lo
	s_trap 2
	s_cbranch_execz .LBB30_1743
	s_branch .LBB30_1744
.LBB30_2036:
	s_andn2_saveexec_b32 s10, s10
	s_cbranch_execz .LBB30_1708
.LBB30_2037:
	v_add_f32_e64 v7, 0x42800000, |v8|
	s_andn2_b32 s5, s5, exec_lo
	v_and_b32_e32 v7, 0xff, v7
	v_cmp_ne_u32_e32 vcc_lo, 0, v7
	s_and_b32 s11, vcc_lo, exec_lo
	s_or_b32 s5, s5, s11
	s_or_b32 exec_lo, exec_lo, s10
	v_mov_b32_e32 v9, 0
	s_and_saveexec_b32 s10, s5
	s_cbranch_execnz .LBB30_1709
	s_branch .LBB30_1710
.LBB30_2038:
	s_andn2_saveexec_b32 s11, s11
	s_cbranch_execz .LBB30_1814
.LBB30_2039:
	v_add_f32_e64 v5, 0x46000000, |v7|
	s_andn2_b32 s10, s10, exec_lo
	v_and_b32_e32 v5, 0xff, v5
	v_cmp_ne_u32_e32 vcc_lo, 0, v5
	s_and_b32 s13, vcc_lo, exec_lo
	s_or_b32 s10, s10, s13
	s_or_b32 exec_lo, exec_lo, s11
	v_mov_b32_e32 v8, 0
	s_and_saveexec_b32 s11, s10
	s_cbranch_execnz .LBB30_1815
	s_branch .LBB30_1816
.LBB30_2040:
	s_or_b32 s4, s4, exec_lo
	s_trap 2
	s_cbranch_execz .LBB30_1862
	s_branch .LBB30_1863
.LBB30_2041:
	s_andn2_saveexec_b32 s10, s10
	s_cbranch_execz .LBB30_1827
.LBB30_2042:
	v_add_f32_e64 v5, 0x42800000, |v7|
	s_andn2_b32 s5, s5, exec_lo
	v_and_b32_e32 v5, 0xff, v5
	v_cmp_ne_u32_e32 vcc_lo, 0, v5
	s_and_b32 s11, vcc_lo, exec_lo
	s_or_b32 s5, s5, s11
	s_or_b32 exec_lo, exec_lo, s10
	v_mov_b32_e32 v8, 0
	s_and_saveexec_b32 s10, s5
	s_cbranch_execnz .LBB30_1828
	s_branch .LBB30_1829
.LBB30_2043:
	s_andn2_saveexec_b32 s8, s8
	s_cbranch_execz .LBB30_1934
.LBB30_2044:
	v_add_f32_e64 v4, 0x46000000, |v5|
	s_andn2_b32 s5, s5, exec_lo
	v_and_b32_e32 v4, 0xff, v4
	v_cmp_ne_u32_e32 vcc_lo, 0, v4
	s_and_b32 s9, vcc_lo, exec_lo
	s_or_b32 s5, s5, s9
	s_or_b32 exec_lo, exec_lo, s8
	v_mov_b32_e32 v6, 0
	s_and_saveexec_b32 s8, s5
	s_cbranch_execnz .LBB30_1935
	s_branch .LBB30_1936
.LBB30_2045:
	s_mov_b32 s2, 0
	s_or_b32 s4, s4, exec_lo
	s_trap 2
	s_branch .LBB30_1980
.LBB30_2046:
	s_andn2_saveexec_b32 s5, s5
	s_cbranch_execz .LBB30_1946
.LBB30_2047:
	v_add_f32_e64 v4, 0x42800000, |v5|
	s_andn2_b32 s3, s3, exec_lo
	v_and_b32_e32 v4, 0xff, v4
	v_cmp_ne_u32_e32 vcc_lo, 0, v4
	s_and_b32 s8, vcc_lo, exec_lo
	s_or_b32 s3, s3, s8
	s_or_b32 exec_lo, exec_lo, s5
	v_mov_b32_e32 v6, 0
	s_and_saveexec_b32 s5, s3
	s_cbranch_execnz .LBB30_1947
	s_branch .LBB30_1948
	.section	.rodata,"a",@progbits
	.p2align	6, 0x0
	.amdhsa_kernel _ZN2at6native32elementwise_kernel_manual_unrollILi128ELi4EZNS0_15gpu_kernel_implIZZZNS0_16atan_kernel_cudaERNS_18TensorIteratorBaseEENKUlvE0_clEvENKUlvE2_clEvEUlN3c108BFloat16EE_EEvS4_RKT_EUlibE_EEviT1_
		.amdhsa_group_segment_fixed_size 0
		.amdhsa_private_segment_fixed_size 0
		.amdhsa_kernarg_size 40
		.amdhsa_user_sgpr_count 6
		.amdhsa_user_sgpr_private_segment_buffer 1
		.amdhsa_user_sgpr_dispatch_ptr 0
		.amdhsa_user_sgpr_queue_ptr 0
		.amdhsa_user_sgpr_kernarg_segment_ptr 1
		.amdhsa_user_sgpr_dispatch_id 0
		.amdhsa_user_sgpr_flat_scratch_init 0
		.amdhsa_user_sgpr_private_segment_size 0
		.amdhsa_wavefront_size32 1
		.amdhsa_uses_dynamic_stack 0
		.amdhsa_system_sgpr_private_segment_wavefront_offset 0
		.amdhsa_system_sgpr_workgroup_id_x 1
		.amdhsa_system_sgpr_workgroup_id_y 0
		.amdhsa_system_sgpr_workgroup_id_z 0
		.amdhsa_system_sgpr_workgroup_info 0
		.amdhsa_system_vgpr_workitem_id 0
		.amdhsa_next_free_vgpr 12
		.amdhsa_next_free_sgpr 26
		.amdhsa_reserve_vcc 1
		.amdhsa_reserve_flat_scratch 0
		.amdhsa_float_round_mode_32 0
		.amdhsa_float_round_mode_16_64 0
		.amdhsa_float_denorm_mode_32 3
		.amdhsa_float_denorm_mode_16_64 3
		.amdhsa_dx10_clamp 1
		.amdhsa_ieee_mode 1
		.amdhsa_fp16_overflow 0
		.amdhsa_workgroup_processor_mode 1
		.amdhsa_memory_ordered 1
		.amdhsa_forward_progress 1
		.amdhsa_shared_vgpr_count 0
		.amdhsa_exception_fp_ieee_invalid_op 0
		.amdhsa_exception_fp_denorm_src 0
		.amdhsa_exception_fp_ieee_div_zero 0
		.amdhsa_exception_fp_ieee_overflow 0
		.amdhsa_exception_fp_ieee_underflow 0
		.amdhsa_exception_fp_ieee_inexact 0
		.amdhsa_exception_int_div_zero 0
	.end_amdhsa_kernel
	.section	.text._ZN2at6native32elementwise_kernel_manual_unrollILi128ELi4EZNS0_15gpu_kernel_implIZZZNS0_16atan_kernel_cudaERNS_18TensorIteratorBaseEENKUlvE0_clEvENKUlvE2_clEvEUlN3c108BFloat16EE_EEvS4_RKT_EUlibE_EEviT1_,"axG",@progbits,_ZN2at6native32elementwise_kernel_manual_unrollILi128ELi4EZNS0_15gpu_kernel_implIZZZNS0_16atan_kernel_cudaERNS_18TensorIteratorBaseEENKUlvE0_clEvENKUlvE2_clEvEUlN3c108BFloat16EE_EEvS4_RKT_EUlibE_EEviT1_,comdat
.Lfunc_end30:
	.size	_ZN2at6native32elementwise_kernel_manual_unrollILi128ELi4EZNS0_15gpu_kernel_implIZZZNS0_16atan_kernel_cudaERNS_18TensorIteratorBaseEENKUlvE0_clEvENKUlvE2_clEvEUlN3c108BFloat16EE_EEvS4_RKT_EUlibE_EEviT1_, .Lfunc_end30-_ZN2at6native32elementwise_kernel_manual_unrollILi128ELi4EZNS0_15gpu_kernel_implIZZZNS0_16atan_kernel_cudaERNS_18TensorIteratorBaseEENKUlvE0_clEvENKUlvE2_clEvEUlN3c108BFloat16EE_EEvS4_RKT_EUlibE_EEviT1_
                                        ; -- End function
	.set _ZN2at6native32elementwise_kernel_manual_unrollILi128ELi4EZNS0_15gpu_kernel_implIZZZNS0_16atan_kernel_cudaERNS_18TensorIteratorBaseEENKUlvE0_clEvENKUlvE2_clEvEUlN3c108BFloat16EE_EEvS4_RKT_EUlibE_EEviT1_.num_vgpr, 12
	.set _ZN2at6native32elementwise_kernel_manual_unrollILi128ELi4EZNS0_15gpu_kernel_implIZZZNS0_16atan_kernel_cudaERNS_18TensorIteratorBaseEENKUlvE0_clEvENKUlvE2_clEvEUlN3c108BFloat16EE_EEvS4_RKT_EUlibE_EEviT1_.num_agpr, 0
	.set _ZN2at6native32elementwise_kernel_manual_unrollILi128ELi4EZNS0_15gpu_kernel_implIZZZNS0_16atan_kernel_cudaERNS_18TensorIteratorBaseEENKUlvE0_clEvENKUlvE2_clEvEUlN3c108BFloat16EE_EEvS4_RKT_EUlibE_EEviT1_.numbered_sgpr, 26
	.set _ZN2at6native32elementwise_kernel_manual_unrollILi128ELi4EZNS0_15gpu_kernel_implIZZZNS0_16atan_kernel_cudaERNS_18TensorIteratorBaseEENKUlvE0_clEvENKUlvE2_clEvEUlN3c108BFloat16EE_EEvS4_RKT_EUlibE_EEviT1_.num_named_barrier, 0
	.set _ZN2at6native32elementwise_kernel_manual_unrollILi128ELi4EZNS0_15gpu_kernel_implIZZZNS0_16atan_kernel_cudaERNS_18TensorIteratorBaseEENKUlvE0_clEvENKUlvE2_clEvEUlN3c108BFloat16EE_EEvS4_RKT_EUlibE_EEviT1_.private_seg_size, 0
	.set _ZN2at6native32elementwise_kernel_manual_unrollILi128ELi4EZNS0_15gpu_kernel_implIZZZNS0_16atan_kernel_cudaERNS_18TensorIteratorBaseEENKUlvE0_clEvENKUlvE2_clEvEUlN3c108BFloat16EE_EEvS4_RKT_EUlibE_EEviT1_.uses_vcc, 1
	.set _ZN2at6native32elementwise_kernel_manual_unrollILi128ELi4EZNS0_15gpu_kernel_implIZZZNS0_16atan_kernel_cudaERNS_18TensorIteratorBaseEENKUlvE0_clEvENKUlvE2_clEvEUlN3c108BFloat16EE_EEvS4_RKT_EUlibE_EEviT1_.uses_flat_scratch, 0
	.set _ZN2at6native32elementwise_kernel_manual_unrollILi128ELi4EZNS0_15gpu_kernel_implIZZZNS0_16atan_kernel_cudaERNS_18TensorIteratorBaseEENKUlvE0_clEvENKUlvE2_clEvEUlN3c108BFloat16EE_EEvS4_RKT_EUlibE_EEviT1_.has_dyn_sized_stack, 0
	.set _ZN2at6native32elementwise_kernel_manual_unrollILi128ELi4EZNS0_15gpu_kernel_implIZZZNS0_16atan_kernel_cudaERNS_18TensorIteratorBaseEENKUlvE0_clEvENKUlvE2_clEvEUlN3c108BFloat16EE_EEvS4_RKT_EUlibE_EEviT1_.has_recursion, 0
	.set _ZN2at6native32elementwise_kernel_manual_unrollILi128ELi4EZNS0_15gpu_kernel_implIZZZNS0_16atan_kernel_cudaERNS_18TensorIteratorBaseEENKUlvE0_clEvENKUlvE2_clEvEUlN3c108BFloat16EE_EEvS4_RKT_EUlibE_EEviT1_.has_indirect_call, 0
	.section	.AMDGPU.csdata,"",@progbits
; Kernel info:
; codeLenInByte = 38064
; TotalNumSgprs: 28
; NumVgprs: 12
; ScratchSize: 0
; MemoryBound: 0
; FloatMode: 240
; IeeeMode: 1
; LDSByteSize: 0 bytes/workgroup (compile time only)
; SGPRBlocks: 0
; VGPRBlocks: 1
; NumSGPRsForWavesPerEU: 28
; NumVGPRsForWavesPerEU: 12
; Occupancy: 16
; WaveLimiterHint : 0
; COMPUTE_PGM_RSRC2:SCRATCH_EN: 0
; COMPUTE_PGM_RSRC2:USER_SGPR: 6
; COMPUTE_PGM_RSRC2:TRAP_HANDLER: 0
; COMPUTE_PGM_RSRC2:TGID_X_EN: 1
; COMPUTE_PGM_RSRC2:TGID_Y_EN: 0
; COMPUTE_PGM_RSRC2:TGID_Z_EN: 0
; COMPUTE_PGM_RSRC2:TIDIG_COMP_CNT: 0
	.section	.text._ZN2at6native32elementwise_kernel_manual_unrollILi128ELi4EZNS0_15gpu_kernel_implIZZZNS0_16atan_kernel_cudaERNS_18TensorIteratorBaseEENKUlvE0_clEvENKUlvE2_clEvEUlN3c108BFloat16EE_EEvS4_RKT_EUlibE0_EEviT1_,"axG",@progbits,_ZN2at6native32elementwise_kernel_manual_unrollILi128ELi4EZNS0_15gpu_kernel_implIZZZNS0_16atan_kernel_cudaERNS_18TensorIteratorBaseEENKUlvE0_clEvENKUlvE2_clEvEUlN3c108BFloat16EE_EEvS4_RKT_EUlibE0_EEviT1_,comdat
	.globl	_ZN2at6native32elementwise_kernel_manual_unrollILi128ELi4EZNS0_15gpu_kernel_implIZZZNS0_16atan_kernel_cudaERNS_18TensorIteratorBaseEENKUlvE0_clEvENKUlvE2_clEvEUlN3c108BFloat16EE_EEvS4_RKT_EUlibE0_EEviT1_ ; -- Begin function _ZN2at6native32elementwise_kernel_manual_unrollILi128ELi4EZNS0_15gpu_kernel_implIZZZNS0_16atan_kernel_cudaERNS_18TensorIteratorBaseEENKUlvE0_clEvENKUlvE2_clEvEUlN3c108BFloat16EE_EEvS4_RKT_EUlibE0_EEviT1_
	.p2align	8
	.type	_ZN2at6native32elementwise_kernel_manual_unrollILi128ELi4EZNS0_15gpu_kernel_implIZZZNS0_16atan_kernel_cudaERNS_18TensorIteratorBaseEENKUlvE0_clEvENKUlvE2_clEvEUlN3c108BFloat16EE_EEvS4_RKT_EUlibE0_EEviT1_,@function
_ZN2at6native32elementwise_kernel_manual_unrollILi128ELi4EZNS0_15gpu_kernel_implIZZZNS0_16atan_kernel_cudaERNS_18TensorIteratorBaseEENKUlvE0_clEvENKUlvE2_clEvEUlN3c108BFloat16EE_EEvS4_RKT_EUlibE0_EEviT1_: ; @_ZN2at6native32elementwise_kernel_manual_unrollILi128ELi4EZNS0_15gpu_kernel_implIZZZNS0_16atan_kernel_cudaERNS_18TensorIteratorBaseEENKUlvE0_clEvENKUlvE2_clEvEUlN3c108BFloat16EE_EEvS4_RKT_EUlibE0_EEviT1_
; %bb.0:
	s_clause 0x1
	s_load_dword s24, s[4:5], 0x8
	s_load_dword s33, s[4:5], 0x0
	v_lshl_or_b32 v8, s6, 9, v0
	s_add_u32 s2, s4, 8
	s_addc_u32 s3, s5, 0
	s_mov_b32 s1, -1
	s_mov_b32 s26, 0
	v_or_b32_e32 v15, 0x180, v8
	s_mov_b32 s12, 0
	s_mov_b32 s0, exec_lo
	s_waitcnt lgkmcnt(0)
	s_add_i32 s25, s24, -1
	s_cmp_gt_u32 s25, 1
	s_cselect_b32 s27, -1, 0
	v_cmpx_le_i32_e64 s33, v15
	s_xor_b32 s28, exec_lo, s0
	s_cbranch_execz .LBB31_1089
; %bb.1:
	v_mov_b32_e32 v0, 0
	s_clause 0x3
	s_load_dwordx4 s[16:19], s[2:3], 0x4
	s_load_dwordx2 s[6:7], s[2:3], 0x14
	s_load_dwordx4 s[12:15], s[2:3], 0xc4
	s_load_dwordx4 s[8:11], s[2:3], 0x148
	s_cmp_lg_u32 s24, 0
	s_mov_b32 s39, 0
	s_cselect_b32 s34, -1, 0
	global_load_ushort v0, v0, s[2:3] offset:345
	s_add_u32 s20, s2, 0xc4
	s_addc_u32 s21, s3, 0
	s_min_u32 s35, s25, 15
	s_cmp_gt_u32 s24, 1
	s_mov_b32 s37, 0
	s_cselect_b32 s31, -1, 0
	s_mov_b32 s36, 0
	s_mov_b32 s38, exec_lo
	s_waitcnt vmcnt(0)
	v_readfirstlane_b32 s29, v0
	s_and_b32 s0, 0xffff, s29
	s_lshr_b32 s30, s0, 8
	v_cmpx_gt_i32_e64 s33, v8
	s_cbranch_execz .LBB31_266
; %bb.2:
	s_andn2_b32 vcc_lo, exec_lo, s27
	s_cbranch_vccnz .LBB31_7
; %bb.3:
	s_andn2_b32 vcc_lo, exec_lo, s34
	s_cbranch_vccnz .LBB31_8
; %bb.4:
	s_add_i32 s37, s35, 1
	s_cmp_eq_u32 s25, 2
	s_cbranch_scc1 .LBB31_9
; %bb.5:
	v_mov_b32_e32 v2, 0
	v_mov_b32_e32 v0, 0
	v_mov_b32_e32 v1, v8
	s_and_b32 s36, s37, 28
	s_mov_b32 s40, 0
	s_mov_b64 s[0:1], s[2:3]
	s_mov_b64 s[22:23], s[20:21]
.LBB31_6:                               ; =>This Inner Loop Header: Depth=1
	s_clause 0x1
	s_load_dwordx8 s[44:51], s[0:1], 0x4
	s_load_dwordx4 s[60:63], s[0:1], 0x24
	s_load_dwordx8 s[52:59], s[22:23], 0x0
	s_add_u32 s0, s0, 48
	s_addc_u32 s1, s1, 0
	s_add_i32 s40, s40, 4
	s_add_u32 s22, s22, 32
	s_addc_u32 s23, s23, 0
	s_cmp_lg_u32 s36, s40
	s_waitcnt lgkmcnt(0)
	v_mul_hi_u32 v3, s45, v1
	v_add_nc_u32_e32 v3, v1, v3
	v_lshrrev_b32_e32 v3, s46, v3
	v_mul_hi_u32 v4, s48, v3
	v_mul_lo_u32 v6, v3, s44
	v_add_nc_u32_e32 v4, v3, v4
	v_sub_nc_u32_e32 v1, v1, v6
	v_lshrrev_b32_e32 v4, s49, v4
	v_mul_lo_u32 v6, v1, s52
	v_mul_lo_u32 v9, v1, s53
	v_mul_hi_u32 v5, s51, v4
	v_add_nc_u32_e32 v5, v4, v5
	v_lshrrev_b32_e32 v5, s60, v5
	v_mul_hi_u32 v7, s62, v5
	v_mul_lo_u32 v10, v5, s50
	v_add_nc_u32_e32 v1, v5, v7
	v_mul_lo_u32 v7, v4, s47
	v_sub_nc_u32_e32 v4, v4, v10
	v_lshrrev_b32_e32 v1, s63, v1
	v_mul_lo_u32 v10, v4, s56
	v_mul_lo_u32 v4, v4, s57
	v_sub_nc_u32_e32 v3, v3, v7
	v_mul_lo_u32 v11, v1, s61
	v_mul_lo_u32 v7, v3, s54
	;; [unrolled: 1-line block ×3, first 2 shown]
	v_sub_nc_u32_e32 v5, v5, v11
	v_add3_u32 v0, v6, v0, v7
	v_mul_lo_u32 v11, v5, s58
	v_mul_lo_u32 v5, v5, s59
	v_add3_u32 v2, v9, v2, v3
	v_add3_u32 v0, v10, v0, v11
	;; [unrolled: 1-line block ×3, first 2 shown]
	s_cbranch_scc1 .LBB31_6
	s_branch .LBB31_10
.LBB31_7:
                                        ; implicit-def: $vgpr0
                                        ; implicit-def: $vgpr2
	s_branch .LBB31_14
.LBB31_8:
	v_mov_b32_e32 v0, 0
	v_mov_b32_e32 v2, 0
	s_branch .LBB31_13
.LBB31_9:
	v_mov_b32_e32 v0, 0
	v_mov_b32_e32 v2, 0
	;; [unrolled: 1-line block ×3, first 2 shown]
.LBB31_10:
	s_and_b32 s37, s37, 3
	s_cmp_eq_u32 s37, 0
	s_cbranch_scc1 .LBB31_13
; %bb.11:
	s_lshl_b32 s0, s36, 3
	s_mul_i32 s22, s36, 12
	s_add_u32 s0, s2, s0
	s_addc_u32 s1, s3, 0
	s_add_u32 s0, s0, 0xc4
	s_addc_u32 s1, s1, 0
	;; [unrolled: 2-line block ×3, first 2 shown]
	.p2align	6
.LBB31_12:                              ; =>This Inner Loop Header: Depth=1
	s_clause 0x1
	s_load_dwordx2 s[40:41], s[22:23], 0x4
	s_load_dword s36, s[22:23], 0xc
	s_load_dwordx2 s[42:43], s[0:1], 0x0
	s_add_u32 s22, s22, 12
	s_addc_u32 s23, s23, 0
	s_add_u32 s0, s0, 8
	s_addc_u32 s1, s1, 0
	s_add_i32 s37, s37, -1
	s_cmp_lg_u32 s37, 0
	s_waitcnt lgkmcnt(0)
	v_mul_hi_u32 v3, s41, v1
	v_add_nc_u32_e32 v3, v1, v3
	v_lshrrev_b32_e32 v4, s36, v3
	v_mul_lo_u32 v3, v4, s40
	v_sub_nc_u32_e32 v3, v1, v3
	v_mad_u64_u32 v[0:1], null, v3, s42, v[0:1]
	v_mad_u64_u32 v[2:3], null, v3, s43, v[2:3]
	v_mov_b32_e32 v1, v4
	s_cbranch_scc1 .LBB31_12
.LBB31_13:
	s_cbranch_execnz .LBB31_16
.LBB31_14:
	s_waitcnt lgkmcnt(0)
	v_mul_hi_u32 v0, s17, v8
	s_andn2_b32 vcc_lo, exec_lo, s31
	v_add_nc_u32_e32 v0, v8, v0
	v_lshrrev_b32_e32 v1, s18, v0
	v_mul_lo_u32 v0, v1, s16
	v_sub_nc_u32_e32 v2, v8, v0
	v_mul_lo_u32 v0, v2, s12
	v_mul_lo_u32 v2, v2, s13
	s_cbranch_vccnz .LBB31_16
; %bb.15:
	v_mul_hi_u32 v3, s6, v1
	v_add_nc_u32_e32 v3, v1, v3
	v_lshrrev_b32_e32 v3, s7, v3
	v_mul_lo_u32 v3, v3, s19
	v_sub_nc_u32_e32 v3, v1, v3
	v_mad_u64_u32 v[0:1], null, v3, s14, v[0:1]
	v_mad_u64_u32 v[2:3], null, v3, s15, v[2:3]
.LBB31_16:
	s_waitcnt lgkmcnt(0)
	v_add_co_u32 v1, s0, s10, v2
	v_add_co_ci_u32_e64 v2, null, s11, 0, s0
	s_and_b32 s0, 0xffff, s30
	s_cmp_lt_i32 s0, 11
	s_cbranch_scc1 .LBB31_23
; %bb.17:
	s_cmp_gt_i32 s0, 25
	s_cbranch_scc0 .LBB31_32
; %bb.18:
	s_cmp_gt_i32 s0, 28
	s_cbranch_scc0 .LBB31_35
	;; [unrolled: 3-line block ×4, first 2 shown]
; %bb.21:
	s_cmp_eq_u32 s0, 46
	s_mov_b32 s23, 0
	s_cbranch_scc0 .LBB31_41
; %bb.22:
	global_load_dword v3, v[1:2], off
	s_mov_b32 s22, -1
	s_mov_b32 s1, 0
	s_branch .LBB31_43
.LBB31_23:
	s_mov_b32 s1, 0
	s_mov_b32 s22, 0
                                        ; implicit-def: $vgpr3
	s_cbranch_execnz .LBB31_216
.LBB31_24:
	s_andn2_b32 vcc_lo, exec_lo, s22
	s_cbranch_vccnz .LBB31_263
.LBB31_25:
	s_waitcnt vmcnt(0)
	v_lshlrev_b32_e32 v1, 16, v3
	s_mov_b32 s0, 0x3b2d2a58
	s_and_b32 s22, s29, 0xff
	s_cmp_lt_i32 s22, 11
	v_rcp_f32_e64 v2, |v1|
	v_cmp_gt_f32_e64 vcc_lo, |v1|, 1.0
	v_cndmask_b32_e64 v2, |v1|, v2, vcc_lo
	v_mul_f32_e32 v3, v2, v2
	v_fmaak_f32 v4, s0, v3, 0xbc7a590c
	v_add_co_u32 v0, s0, s8, v0
	v_fmaak_f32 v4, v3, v4, 0x3d29fb3f
	v_fmaak_f32 v4, v3, v4, 0xbd97d4d7
	;; [unrolled: 1-line block ×6, first 2 shown]
	v_mul_f32_e32 v3, v3, v4
	v_fmac_f32_e32 v2, v2, v3
	v_sub_f32_e32 v3, 0x3fc90fdb, v2
	v_cndmask_b32_e32 v2, v2, v3, vcc_lo
	v_mov_b32_e32 v3, 0x7fc0
	v_bfi_b32 v1, 0x7fffffff, v2, v1
	v_bfe_u32 v2, v1, 16, 1
	v_cmp_o_f32_e32 vcc_lo, v1, v1
	v_add3_u32 v2, v1, v2, 0x7fff
	v_add_co_ci_u32_e64 v1, null, s9, 0, s0
	v_cndmask_b32_sdwa v2, v3, v2, vcc_lo dst_sel:DWORD dst_unused:UNUSED_PAD src0_sel:DWORD src1_sel:WORD_1
	s_cbranch_scc1 .LBB31_33
; %bb.26:
	s_and_b32 s23, 0xffff, s22
	s_cmp_gt_i32 s23, 25
	s_cbranch_scc0 .LBB31_36
; %bb.27:
	s_cmp_gt_i32 s23, 28
	s_cbranch_scc0 .LBB31_38
; %bb.28:
	;; [unrolled: 3-line block ×4, first 2 shown]
	s_mov_b32 s37, 0
	s_mov_b32 s0, -1
	s_cmp_eq_u32 s23, 46
	s_mov_b32 s36, 0
	s_cbranch_scc0 .LBB31_47
; %bb.31:
	v_and_b32_e32 v3, 0xffff, v2
	s_mov_b32 s36, -1
	s_mov_b32 s0, 0
	global_store_dword v[0:1], v3, off
	s_branch .LBB31_47
.LBB31_32:
	s_mov_b32 s1, 0
	s_mov_b32 s22, 0
                                        ; implicit-def: $vgpr3
	s_cbranch_execnz .LBB31_181
	s_branch .LBB31_215
.LBB31_33:
	s_mov_b32 s0, 0
	s_mov_b32 s36, 0
	s_cbranch_execnz .LBB31_116
.LBB31_34:
	s_andn2_b32 vcc_lo, exec_lo, s36
	s_cbranch_vccz .LBB31_154
	s_branch .LBB31_264
.LBB31_35:
	s_mov_b32 s23, -1
	s_mov_b32 s1, 0
	s_mov_b32 s22, 0
                                        ; implicit-def: $vgpr3
	s_branch .LBB31_162
.LBB31_36:
	s_mov_b32 s37, -1
	s_mov_b32 s0, 0
	s_mov_b32 s36, 0
	s_branch .LBB31_74
.LBB31_37:
	s_mov_b32 s23, -1
	s_mov_b32 s1, 0
	s_mov_b32 s22, 0
                                        ; implicit-def: $vgpr3
	s_branch .LBB31_157
.LBB31_38:
	s_mov_b32 s37, -1
	s_mov_b32 s0, 0
	s_mov_b32 s36, 0
	s_branch .LBB31_57
.LBB31_39:
	s_mov_b32 s23, -1
	s_mov_b32 s1, 0
	s_branch .LBB31_42
.LBB31_40:
	s_mov_b32 s37, -1
	s_mov_b32 s0, 0
	s_mov_b32 s36, 0
	s_branch .LBB31_53
.LBB31_41:
	s_mov_b32 s1, -1
.LBB31_42:
	s_mov_b32 s22, 0
                                        ; implicit-def: $vgpr3
.LBB31_43:
	s_and_b32 vcc_lo, exec_lo, s23
	s_cbranch_vccz .LBB31_156
; %bb.44:
	s_cmp_eq_u32 s0, 44
	s_cbranch_scc0 .LBB31_155
; %bb.45:
	global_load_ubyte v3, v[1:2], off
	s_mov_b32 s1, 0
	s_mov_b32 s22, -1
	s_waitcnt vmcnt(0)
	v_lshlrev_b32_e32 v4, 23, v3
	v_cmp_ne_u32_e32 vcc_lo, 0xff, v3
	v_cndmask_b32_e32 v4, 0x7f800001, v4, vcc_lo
	v_cmp_ne_u32_e32 vcc_lo, 0, v3
	v_cndmask_b32_e32 v3, 0x400000, v4, vcc_lo
	v_mov_b32_e32 v4, 0x7fc0
	v_cmp_o_f32_e32 vcc_lo, v3, v3
	v_add_nc_u32_e32 v3, 0x7fff, v3
	v_cndmask_b32_sdwa v3, v4, v3, vcc_lo dst_sel:DWORD dst_unused:UNUSED_PAD src0_sel:DWORD src1_sel:WORD_1
	s_branch .LBB31_156
.LBB31_46:
	s_mov_b32 s37, -1
	s_mov_b32 s0, 0
	s_mov_b32 s36, 0
.LBB31_47:
	s_and_b32 vcc_lo, exec_lo, s37
	s_cbranch_vccz .LBB31_52
; %bb.48:
	s_cmp_eq_u32 s23, 44
	s_mov_b32 s0, -1
	s_cbranch_scc0 .LBB31_52
; %bb.49:
	v_and_b32_e32 v3, 0xffff, v2
	v_mov_b32_e32 v4, 0xff
	s_mov_b32 s36, exec_lo
	v_bfe_u32 v5, v3, 7, 8
	v_cmpx_ne_u32_e32 0xff, v5
	s_cbranch_execz .LBB31_51
; %bb.50:
	v_lshlrev_b32_e32 v4, 16, v3
	v_and_b32_e32 v6, 64, v3
	v_lshrrev_b32_e32 v3, 7, v3
	v_and_or_b32 v4, 0x3f0000, v4, v5
	v_cmp_ne_u32_e32 vcc_lo, 0, v6
	v_cmp_ne_u32_e64 s0, 0, v4
	s_and_b32 s0, vcc_lo, s0
	v_cndmask_b32_e64 v4, 0, 1, s0
	v_add_nc_u32_e32 v4, v3, v4
.LBB31_51:
	s_or_b32 exec_lo, exec_lo, s36
	s_mov_b32 s36, -1
	s_mov_b32 s0, 0
	global_store_byte v[0:1], v4, off
.LBB31_52:
	s_mov_b32 s37, 0
.LBB31_53:
	s_and_b32 vcc_lo, exec_lo, s37
	s_cbranch_vccz .LBB31_56
; %bb.54:
	s_cmp_eq_u32 s23, 29
	s_mov_b32 s0, -1
	s_cbranch_scc0 .LBB31_56
; %bb.55:
	v_lshlrev_b32_e32 v3, 16, v2
	s_mov_b32 s36, -1
	s_mov_b32 s0, 0
	s_mov_b32 s37, 0
	v_trunc_f32_e32 v3, v3
	v_mul_f32_e32 v4, 0x2f800000, v3
	v_floor_f32_e32 v4, v4
	v_fmamk_f32 v3, v4, 0xcf800000, v3
	v_cvt_u32_f32_e32 v4, v4
	v_cvt_u32_f32_e32 v3, v3
	global_store_dwordx2 v[0:1], v[3:4], off
	s_branch .LBB31_57
.LBB31_56:
	s_mov_b32 s37, 0
.LBB31_57:
	s_and_b32 vcc_lo, exec_lo, s37
	s_cbranch_vccz .LBB31_73
; %bb.58:
	s_cmp_lt_i32 s23, 27
	s_mov_b32 s36, -1
	s_cbranch_scc1 .LBB31_64
; %bb.59:
	s_cmp_gt_i32 s23, 27
	s_cbranch_scc0 .LBB31_61
; %bb.60:
	v_lshlrev_b32_e32 v3, 16, v2
	s_mov_b32 s36, 0
	v_cvt_u32_f32_e32 v3, v3
	global_store_dword v[0:1], v3, off
.LBB31_61:
	s_andn2_b32 vcc_lo, exec_lo, s36
	s_cbranch_vccnz .LBB31_63
; %bb.62:
	v_lshlrev_b32_e32 v3, 16, v2
	v_cvt_u32_f32_e32 v3, v3
	global_store_short v[0:1], v3, off
.LBB31_63:
	s_mov_b32 s36, 0
.LBB31_64:
	s_andn2_b32 vcc_lo, exec_lo, s36
	s_cbranch_vccnz .LBB31_72
; %bb.65:
	v_lshlrev_b32_e32 v5, 16, v2
	v_mov_b32_e32 v6, 0x80
	s_mov_b32 s36, exec_lo
	v_and_b32_e32 v4, 0x7fffffff, v5
	v_cmpx_gt_u32_e32 0x43800000, v4
	s_cbranch_execz .LBB31_71
; %bb.66:
	v_and_b32_e32 v3, 0xffff, v2
	v_cmp_lt_u32_e32 vcc_lo, 0x3bffffff, v4
	s_mov_b32 s37, 0
                                        ; implicit-def: $vgpr4
	s_and_saveexec_b32 s40, vcc_lo
	s_xor_b32 s40, exec_lo, s40
	s_cbranch_execz .LBB31_307
; %bb.67:
	v_bfe_u32 v4, v3, 4, 1
	s_mov_b32 s37, exec_lo
	v_add3_u32 v4, v5, v4, 0x487ffff
                                        ; implicit-def: $vgpr5
	v_lshrrev_b32_e32 v4, 20, v4
	s_andn2_saveexec_b32 s40, s40
	s_cbranch_execnz .LBB31_308
.LBB31_68:
	s_or_b32 exec_lo, exec_lo, s40
	v_mov_b32_e32 v6, 0
	s_and_saveexec_b32 s40, s37
.LBB31_69:
	v_lshrrev_b32_e32 v3, 8, v3
	v_and_or_b32 v6, 0x80, v3, v4
.LBB31_70:
	s_or_b32 exec_lo, exec_lo, s40
.LBB31_71:
	s_or_b32 exec_lo, exec_lo, s36
	global_store_byte v[0:1], v6, off
.LBB31_72:
	s_mov_b32 s36, -1
.LBB31_73:
	s_mov_b32 s37, 0
.LBB31_74:
	s_and_b32 vcc_lo, exec_lo, s37
	s_cbranch_vccz .LBB31_115
; %bb.75:
	s_cmp_gt_i32 s23, 22
	s_mov_b32 s37, -1
	s_cbranch_scc0 .LBB31_107
; %bb.76:
	s_cmp_lt_i32 s23, 24
	s_mov_b32 s36, -1
	s_cbranch_scc1 .LBB31_96
; %bb.77:
	s_cmp_gt_i32 s23, 24
	s_cbranch_scc0 .LBB31_85
; %bb.78:
	v_lshlrev_b32_e32 v5, 16, v2
	v_mov_b32_e32 v6, 0x80
	s_mov_b32 s36, exec_lo
	v_and_b32_e32 v4, 0x7fffffff, v5
	v_cmpx_gt_u32_e32 0x47800000, v4
	s_cbranch_execz .LBB31_84
; %bb.79:
	v_and_b32_e32 v3, 0xffff, v2
	v_cmp_lt_u32_e32 vcc_lo, 0x37ffffff, v4
	s_mov_b32 s37, 0
                                        ; implicit-def: $vgpr4
	s_and_saveexec_b32 s40, vcc_lo
	s_xor_b32 s40, exec_lo, s40
	s_cbranch_execz .LBB31_311
; %bb.80:
	v_bfe_u32 v4, v3, 5, 1
	s_mov_b32 s37, exec_lo
	v_add3_u32 v4, v5, v4, 0x88fffff
                                        ; implicit-def: $vgpr5
	v_lshrrev_b32_e32 v4, 21, v4
	s_andn2_saveexec_b32 s40, s40
	s_cbranch_execnz .LBB31_312
.LBB31_81:
	s_or_b32 exec_lo, exec_lo, s40
	v_mov_b32_e32 v6, 0
	s_and_saveexec_b32 s40, s37
.LBB31_82:
	v_lshrrev_b32_e32 v3, 8, v3
	v_and_or_b32 v6, 0x80, v3, v4
.LBB31_83:
	s_or_b32 exec_lo, exec_lo, s40
.LBB31_84:
	s_or_b32 exec_lo, exec_lo, s36
	s_mov_b32 s36, 0
	global_store_byte v[0:1], v6, off
.LBB31_85:
	s_and_b32 vcc_lo, exec_lo, s36
	s_cbranch_vccz .LBB31_95
; %bb.86:
	v_lshlrev_b32_e32 v5, 16, v2
	v_and_b32_e32 v3, 0xffff, v2
	s_mov_b32 s36, exec_lo
                                        ; implicit-def: $vgpr4
	v_and_b32_e32 v6, 0x7fffffff, v5
	v_cmpx_gt_u32_e32 0x43f00000, v6
	s_xor_b32 s36, exec_lo, s36
	s_cbranch_execz .LBB31_92
; %bb.87:
	s_mov_b32 s37, exec_lo
                                        ; implicit-def: $vgpr4
	v_cmpx_lt_u32_e32 0x3c7fffff, v6
	s_xor_b32 s37, exec_lo, s37
; %bb.88:
	v_bfe_u32 v4, v3, 4, 1
	v_add3_u32 v4, v5, v4, 0x407ffff
	v_and_b32_e32 v5, 0xff00000, v4
	v_lshrrev_b32_e32 v4, 20, v4
	v_cmp_ne_u32_e32 vcc_lo, 0x7f00000, v5
                                        ; implicit-def: $vgpr5
	v_cndmask_b32_e32 v4, 0x7e, v4, vcc_lo
; %bb.89:
	s_andn2_saveexec_b32 s37, s37
; %bb.90:
	v_add_f32_e64 v4, 0x46800000, |v5|
; %bb.91:
	s_or_b32 exec_lo, exec_lo, s37
                                        ; implicit-def: $vgpr6
.LBB31_92:
	s_andn2_saveexec_b32 s36, s36
; %bb.93:
	v_mov_b32_e32 v4, 0x7f
	v_cmp_lt_u32_e32 vcc_lo, 0x7f800000, v6
	v_cndmask_b32_e32 v4, 0x7e, v4, vcc_lo
; %bb.94:
	s_or_b32 exec_lo, exec_lo, s36
	v_lshrrev_b32_e32 v3, 8, v3
	v_and_or_b32 v3, 0x80, v3, v4
	global_store_byte v[0:1], v3, off
.LBB31_95:
	s_mov_b32 s36, 0
.LBB31_96:
	s_andn2_b32 vcc_lo, exec_lo, s36
	s_cbranch_vccnz .LBB31_106
; %bb.97:
	v_lshlrev_b32_e32 v5, 16, v2
	v_and_b32_e32 v3, 0xffff, v2
	s_mov_b32 s36, exec_lo
                                        ; implicit-def: $vgpr4
	v_and_b32_e32 v6, 0x7fffffff, v5
	v_cmpx_gt_u32_e32 0x47800000, v6
	s_xor_b32 s36, exec_lo, s36
	s_cbranch_execz .LBB31_103
; %bb.98:
	s_mov_b32 s37, exec_lo
                                        ; implicit-def: $vgpr4
	v_cmpx_lt_u32_e32 0x387fffff, v6
	s_xor_b32 s37, exec_lo, s37
; %bb.99:
	v_bfe_u32 v4, v3, 5, 1
	v_add3_u32 v4, v5, v4, 0x80fffff
                                        ; implicit-def: $vgpr5
	v_lshrrev_b32_e32 v4, 21, v4
; %bb.100:
	s_andn2_saveexec_b32 s37, s37
; %bb.101:
	v_add_f32_e64 v4, 0x43000000, |v5|
; %bb.102:
	s_or_b32 exec_lo, exec_lo, s37
                                        ; implicit-def: $vgpr6
.LBB31_103:
	s_andn2_saveexec_b32 s36, s36
; %bb.104:
	v_mov_b32_e32 v4, 0x7f
	v_cmp_lt_u32_e32 vcc_lo, 0x7f800000, v6
	v_cndmask_b32_e32 v4, 0x7c, v4, vcc_lo
; %bb.105:
	s_or_b32 exec_lo, exec_lo, s36
	v_lshrrev_b32_e32 v3, 8, v3
	v_and_or_b32 v3, 0x80, v3, v4
	global_store_byte v[0:1], v3, off
.LBB31_106:
	s_mov_b32 s37, 0
	s_mov_b32 s36, -1
.LBB31_107:
	s_andn2_b32 vcc_lo, exec_lo, s37
	s_cbranch_vccnz .LBB31_115
; %bb.108:
	s_cmp_gt_i32 s23, 14
	s_mov_b32 s37, -1
	s_cbranch_scc0 .LBB31_112
; %bb.109:
	s_cmp_eq_u32 s23, 15
	s_mov_b32 s0, -1
	s_cbranch_scc0 .LBB31_111
; %bb.110:
	s_mov_b32 s36, -1
	s_mov_b32 s0, 0
	global_store_short v[0:1], v2, off
.LBB31_111:
	s_mov_b32 s37, 0
.LBB31_112:
	s_and_b32 vcc_lo, exec_lo, s37
	s_cbranch_vccz .LBB31_115
; %bb.113:
	s_cmp_eq_u32 s23, 11
	s_mov_b32 s0, -1
	s_cbranch_scc0 .LBB31_115
; %bb.114:
	v_and_b32_e32 v3, 0x7fff, v2
	s_mov_b32 s0, 0
	s_mov_b32 s36, -1
	v_cmp_ne_u16_e32 vcc_lo, 0, v3
	v_cndmask_b32_e64 v3, 0, 1, vcc_lo
	global_store_byte v[0:1], v3, off
.LBB31_115:
	s_branch .LBB31_34
.LBB31_116:
	s_and_b32 s22, 0xffff, s22
	s_mov_b32 s23, -1
	s_cmp_lt_i32 s22, 5
	s_cbranch_scc1 .LBB31_137
; %bb.117:
	s_cmp_lt_i32 s22, 8
	s_cbranch_scc1 .LBB31_127
; %bb.118:
	;; [unrolled: 3-line block ×3, first 2 shown]
	s_cmp_gt_i32 s22, 9
	s_cbranch_scc0 .LBB31_121
; %bb.120:
	v_lshlrev_b32_e32 v3, 16, v2
	v_mov_b32_e32 v5, 0
	s_mov_b32 s23, 0
	v_cvt_f64_f32_e32 v[3:4], v3
	v_mov_b32_e32 v6, v5
	global_store_dwordx4 v[0:1], v[3:6], off
.LBB31_121:
	s_andn2_b32 vcc_lo, exec_lo, s23
	s_cbranch_vccnz .LBB31_123
; %bb.122:
	v_lshlrev_b32_e32 v3, 16, v2
	v_mov_b32_e32 v4, 0
	global_store_dwordx2 v[0:1], v[3:4], off
.LBB31_123:
	s_mov_b32 s23, 0
.LBB31_124:
	s_andn2_b32 vcc_lo, exec_lo, s23
	s_cbranch_vccnz .LBB31_126
; %bb.125:
	v_lshlrev_b32_e32 v3, 16, v2
	v_cvt_f16_f32_e32 v3, v3
	v_and_b32_e32 v3, 0xffff, v3
	global_store_dword v[0:1], v3, off
.LBB31_126:
	s_mov_b32 s23, 0
.LBB31_127:
	s_andn2_b32 vcc_lo, exec_lo, s23
	s_cbranch_vccnz .LBB31_136
; %bb.128:
	s_cmp_lt_i32 s22, 6
	s_mov_b32 s23, -1
	s_cbranch_scc1 .LBB31_134
; %bb.129:
	s_cmp_gt_i32 s22, 6
	s_cbranch_scc0 .LBB31_131
; %bb.130:
	v_lshlrev_b32_e32 v3, 16, v2
	s_mov_b32 s23, 0
	v_cvt_f64_f32_e32 v[3:4], v3
	global_store_dwordx2 v[0:1], v[3:4], off
.LBB31_131:
	s_andn2_b32 vcc_lo, exec_lo, s23
	s_cbranch_vccnz .LBB31_133
; %bb.132:
	v_lshlrev_b32_e32 v3, 16, v2
	global_store_dword v[0:1], v3, off
.LBB31_133:
	s_mov_b32 s23, 0
.LBB31_134:
	s_andn2_b32 vcc_lo, exec_lo, s23
	s_cbranch_vccnz .LBB31_136
; %bb.135:
	v_lshlrev_b32_e32 v3, 16, v2
	v_cvt_f16_f32_e32 v3, v3
	global_store_short v[0:1], v3, off
.LBB31_136:
	s_mov_b32 s23, 0
.LBB31_137:
	s_andn2_b32 vcc_lo, exec_lo, s23
	s_cbranch_vccnz .LBB31_153
; %bb.138:
	s_cmp_lt_i32 s22, 2
	s_mov_b32 s23, -1
	s_cbranch_scc1 .LBB31_148
; %bb.139:
	s_cmp_lt_i32 s22, 3
	s_cbranch_scc1 .LBB31_145
; %bb.140:
	s_cmp_gt_i32 s22, 3
	s_cbranch_scc0 .LBB31_142
; %bb.141:
	v_lshlrev_b32_e32 v3, 16, v2
	s_mov_b32 s23, 0
	v_trunc_f32_e32 v3, v3
	v_mul_f32_e64 v4, 0x2f800000, |v3|
	v_ashrrev_i32_e32 v6, 31, v3
	v_floor_f32_e32 v4, v4
	v_fma_f32 v5, 0xcf800000, v4, |v3|
	v_cvt_u32_f32_e32 v4, v4
	v_cvt_u32_f32_e32 v3, v5
	v_xor_b32_e32 v4, v4, v6
	v_xor_b32_e32 v3, v3, v6
	v_sub_co_u32 v3, vcc_lo, v3, v6
	v_sub_co_ci_u32_e64 v4, null, v4, v6, vcc_lo
	global_store_dwordx2 v[0:1], v[3:4], off
.LBB31_142:
	s_andn2_b32 vcc_lo, exec_lo, s23
	s_cbranch_vccnz .LBB31_144
; %bb.143:
	v_lshlrev_b32_e32 v3, 16, v2
	v_cvt_i32_f32_e32 v3, v3
	global_store_dword v[0:1], v3, off
.LBB31_144:
	s_mov_b32 s23, 0
.LBB31_145:
	s_andn2_b32 vcc_lo, exec_lo, s23
	s_cbranch_vccnz .LBB31_147
; %bb.146:
	v_lshlrev_b32_e32 v3, 16, v2
	v_cvt_i32_f32_e32 v3, v3
	global_store_short v[0:1], v3, off
.LBB31_147:
	s_mov_b32 s23, 0
.LBB31_148:
	s_andn2_b32 vcc_lo, exec_lo, s23
	s_cbranch_vccnz .LBB31_153
; %bb.149:
	s_cmp_gt_i32 s22, 0
	s_mov_b32 s22, -1
	s_cbranch_scc0 .LBB31_151
; %bb.150:
	v_lshlrev_b32_e32 v3, 16, v2
	s_mov_b32 s22, 0
	v_cvt_i32_f32_e32 v3, v3
	global_store_byte v[0:1], v3, off
.LBB31_151:
	s_andn2_b32 vcc_lo, exec_lo, s22
	s_cbranch_vccnz .LBB31_153
; %bb.152:
	v_lshlrev_b32_e32 v2, 16, v2
	v_trunc_f32_e32 v2, v2
	v_mul_f32_e64 v3, 0x2f800000, |v2|
	v_floor_f32_e32 v3, v3
	v_fma_f32 v3, 0xcf800000, v3, |v2|
	v_ashrrev_i32_e32 v2, 31, v2
	v_cvt_u32_f32_e32 v3, v3
	v_xor_b32_e32 v3, v3, v2
	v_sub_nc_u32_e32 v2, v3, v2
	global_store_byte v[0:1], v2, off
.LBB31_153:
.LBB31_154:
	v_add_nc_u32_e32 v8, 0x80, v8
	s_mov_b32 s22, -1
	s_branch .LBB31_265
.LBB31_155:
	s_mov_b32 s1, -1
                                        ; implicit-def: $vgpr3
.LBB31_156:
	s_mov_b32 s23, 0
.LBB31_157:
	s_and_b32 vcc_lo, exec_lo, s23
	s_cbranch_vccz .LBB31_161
; %bb.158:
	s_cmp_eq_u32 s0, 29
	s_cbranch_scc0 .LBB31_160
; %bb.159:
	global_load_dwordx2 v[3:4], v[1:2], off
	s_mov_b32 s22, -1
	s_mov_b32 s1, 0
	s_mov_b32 s23, 0
	s_waitcnt vmcnt(0)
	v_ffbh_u32_e32 v5, v4
	v_min_u32_e32 v5, 32, v5
	v_lshlrev_b64 v[3:4], v5, v[3:4]
	v_min_u32_e32 v3, 1, v3
	v_or_b32_e32 v3, v4, v3
	v_sub_nc_u32_e32 v4, 32, v5
	v_cvt_f32_u32_e32 v3, v3
	v_ldexp_f32 v3, v3, v4
	v_bfe_u32 v4, v3, 16, 1
	v_add3_u32 v3, v3, v4, 0x7fff
	v_lshrrev_b32_e32 v3, 16, v3
	s_branch .LBB31_162
.LBB31_160:
	s_mov_b32 s1, -1
                                        ; implicit-def: $vgpr3
.LBB31_161:
	s_mov_b32 s23, 0
.LBB31_162:
	s_and_b32 vcc_lo, exec_lo, s23
	s_cbranch_vccz .LBB31_180
; %bb.163:
	s_cmp_lt_i32 s0, 27
	s_cbranch_scc1 .LBB31_166
; %bb.164:
	s_cmp_gt_i32 s0, 27
	s_cbranch_scc0 .LBB31_167
; %bb.165:
	global_load_dword v3, v[1:2], off
	s_mov_b32 s22, 0
	s_waitcnt vmcnt(0)
	v_cvt_f32_u32_e32 v3, v3
	v_bfe_u32 v4, v3, 16, 1
	v_add3_u32 v3, v3, v4, 0x7fff
	v_lshrrev_b32_e32 v3, 16, v3
	s_branch .LBB31_168
.LBB31_166:
	s_mov_b32 s22, -1
                                        ; implicit-def: $vgpr3
	s_branch .LBB31_171
.LBB31_167:
	s_mov_b32 s22, -1
                                        ; implicit-def: $vgpr3
.LBB31_168:
	s_andn2_b32 vcc_lo, exec_lo, s22
	s_cbranch_vccnz .LBB31_170
; %bb.169:
	global_load_ushort v3, v[1:2], off
	s_waitcnt vmcnt(0)
	v_cvt_f32_u32_e32 v3, v3
	v_bfe_u32 v4, v3, 16, 1
	v_add3_u32 v3, v3, v4, 0x7fff
	v_lshrrev_b32_e32 v3, 16, v3
.LBB31_170:
	s_mov_b32 s22, 0
.LBB31_171:
	s_andn2_b32 vcc_lo, exec_lo, s22
	s_cbranch_vccnz .LBB31_179
; %bb.172:
	global_load_ubyte v3, v[1:2], off
	s_mov_b32 s22, 0
	s_mov_b32 s23, exec_lo
	s_waitcnt vmcnt(0)
	v_cmpx_lt_i16_e32 0x7f, v3
	s_xor_b32 s23, exec_lo, s23
	s_cbranch_execz .LBB31_192
; %bb.173:
	s_mov_b32 s22, -1
	s_mov_b32 s36, exec_lo
	v_cmpx_eq_u16_e32 0x80, v3
; %bb.174:
	s_xor_b32 s22, exec_lo, -1
; %bb.175:
	s_or_b32 exec_lo, exec_lo, s36
	s_and_b32 s22, s22, exec_lo
	s_or_saveexec_b32 s23, s23
	v_mov_b32_e32 v4, 0x7f800001
	s_xor_b32 exec_lo, exec_lo, s23
	s_cbranch_execnz .LBB31_193
.LBB31_176:
	s_or_b32 exec_lo, exec_lo, s23
	s_and_saveexec_b32 s23, s22
	s_cbranch_execz .LBB31_178
.LBB31_177:
	v_and_b32_e32 v4, 0xffff, v3
	v_lshlrev_b32_e32 v3, 24, v3
	v_and_b32_e32 v5, 7, v4
	v_bfe_u32 v9, v4, 3, 4
	v_and_b32_e32 v3, 0x80000000, v3
	v_ffbh_u32_e32 v6, v5
	v_cmp_eq_u32_e32 vcc_lo, 0, v9
	v_min_u32_e32 v6, 32, v6
	v_subrev_nc_u32_e32 v7, 28, v6
	v_sub_nc_u32_e32 v6, 29, v6
	v_lshlrev_b32_e32 v4, v7, v4
	v_cndmask_b32_e32 v6, v9, v6, vcc_lo
	v_and_b32_e32 v4, 7, v4
	v_cndmask_b32_e32 v4, v5, v4, vcc_lo
	v_lshl_add_u32 v5, v6, 23, 0x3b800000
	v_lshlrev_b32_e32 v4, 20, v4
	v_or3_b32 v4, v3, v5, v4
.LBB31_178:
	s_or_b32 exec_lo, exec_lo, s23
	v_bfe_u32 v3, v4, 16, 1
	v_cmp_o_f32_e32 vcc_lo, v4, v4
	v_add3_u32 v3, v4, v3, 0x7fff
	v_mov_b32_e32 v4, 0x7fc0
	v_cndmask_b32_sdwa v3, v4, v3, vcc_lo dst_sel:DWORD dst_unused:UNUSED_PAD src0_sel:DWORD src1_sel:WORD_1
.LBB31_179:
	s_mov_b32 s22, -1
.LBB31_180:
	s_branch .LBB31_215
.LBB31_181:
	s_cmp_gt_i32 s0, 22
	s_cbranch_scc0 .LBB31_191
; %bb.182:
	s_cmp_lt_i32 s0, 24
	s_cbranch_scc1 .LBB31_194
; %bb.183:
	s_cmp_gt_i32 s0, 24
	s_cbranch_scc0 .LBB31_195
; %bb.184:
	global_load_ubyte v3, v[1:2], off
	s_mov_b32 s22, 0
	s_mov_b32 s23, exec_lo
	s_waitcnt vmcnt(0)
	v_cmpx_lt_i16_e32 0x7f, v3
	s_xor_b32 s23, exec_lo, s23
	s_cbranch_execz .LBB31_207
; %bb.185:
	s_mov_b32 s22, -1
	s_mov_b32 s36, exec_lo
	v_cmpx_eq_u16_e32 0x80, v3
; %bb.186:
	s_xor_b32 s22, exec_lo, -1
; %bb.187:
	s_or_b32 exec_lo, exec_lo, s36
	s_and_b32 s22, s22, exec_lo
	s_or_saveexec_b32 s23, s23
	v_mov_b32_e32 v4, 0x7f800001
	s_xor_b32 exec_lo, exec_lo, s23
	s_cbranch_execnz .LBB31_208
.LBB31_188:
	s_or_b32 exec_lo, exec_lo, s23
	s_and_saveexec_b32 s23, s22
	s_cbranch_execz .LBB31_190
.LBB31_189:
	v_and_b32_e32 v4, 0xffff, v3
	v_lshlrev_b32_e32 v3, 24, v3
	v_and_b32_e32 v5, 3, v4
	v_bfe_u32 v9, v4, 2, 5
	v_and_b32_e32 v3, 0x80000000, v3
	v_ffbh_u32_e32 v6, v5
	v_cmp_eq_u32_e32 vcc_lo, 0, v9
	v_min_u32_e32 v6, 32, v6
	v_subrev_nc_u32_e32 v7, 29, v6
	v_sub_nc_u32_e32 v6, 30, v6
	v_lshlrev_b32_e32 v4, v7, v4
	v_cndmask_b32_e32 v6, v9, v6, vcc_lo
	v_and_b32_e32 v4, 3, v4
	v_cndmask_b32_e32 v4, v5, v4, vcc_lo
	v_lshl_add_u32 v5, v6, 23, 0x37800000
	v_lshlrev_b32_e32 v4, 21, v4
	v_or3_b32 v4, v3, v5, v4
.LBB31_190:
	s_or_b32 exec_lo, exec_lo, s23
	v_bfe_u32 v3, v4, 16, 1
	v_cmp_o_f32_e32 vcc_lo, v4, v4
	s_mov_b32 s22, 0
	v_add3_u32 v3, v4, v3, 0x7fff
	v_mov_b32_e32 v4, 0x7fc0
	v_cndmask_b32_sdwa v3, v4, v3, vcc_lo dst_sel:DWORD dst_unused:UNUSED_PAD src0_sel:DWORD src1_sel:WORD_1
	s_branch .LBB31_196
.LBB31_191:
	s_mov_b32 s23, -1
                                        ; implicit-def: $vgpr3
	s_branch .LBB31_202
.LBB31_192:
	s_or_saveexec_b32 s23, s23
	v_mov_b32_e32 v4, 0x7f800001
	s_xor_b32 exec_lo, exec_lo, s23
	s_cbranch_execz .LBB31_176
.LBB31_193:
	v_cmp_ne_u16_e32 vcc_lo, 0, v3
	v_mov_b32_e32 v4, 0
	s_andn2_b32 s22, s22, exec_lo
	s_and_b32 s36, vcc_lo, exec_lo
	s_or_b32 s22, s22, s36
	s_or_b32 exec_lo, exec_lo, s23
	s_and_saveexec_b32 s23, s22
	s_cbranch_execnz .LBB31_177
	s_branch .LBB31_178
.LBB31_194:
	s_mov_b32 s22, -1
                                        ; implicit-def: $vgpr3
	s_branch .LBB31_199
.LBB31_195:
	s_mov_b32 s22, -1
                                        ; implicit-def: $vgpr3
.LBB31_196:
	s_and_b32 vcc_lo, exec_lo, s22
	s_cbranch_vccz .LBB31_198
; %bb.197:
	global_load_ubyte v3, v[1:2], off
	s_waitcnt vmcnt(0)
	v_lshlrev_b32_e32 v3, 24, v3
	v_and_b32_e32 v4, 0x7f000000, v3
	v_ffbh_u32_e32 v5, v4
	v_add_nc_u32_e32 v7, 0x1000000, v4
	v_cmp_ne_u32_e32 vcc_lo, 0, v4
	v_min_u32_e32 v5, 32, v5
	v_sub_nc_u32_e64 v5, v5, 4 clamp
	v_lshlrev_b32_e32 v6, v5, v4
	v_lshlrev_b32_e32 v5, 23, v5
	v_lshrrev_b32_e32 v6, 4, v6
	v_sub_nc_u32_e32 v5, v6, v5
	v_ashrrev_i32_e32 v6, 8, v7
	v_add_nc_u32_e32 v5, 0x3c000000, v5
	v_and_or_b32 v5, 0x7f800000, v6, v5
	v_cndmask_b32_e32 v4, 0, v5, vcc_lo
	v_and_or_b32 v3, 0x80000000, v3, v4
	v_bfe_u32 v4, v4, 16, 1
	v_cmp_o_f32_e32 vcc_lo, v3, v3
	v_add3_u32 v3, v3, v4, 0x7fff
	v_mov_b32_e32 v4, 0x7fc0
	v_cndmask_b32_sdwa v3, v4, v3, vcc_lo dst_sel:DWORD dst_unused:UNUSED_PAD src0_sel:DWORD src1_sel:WORD_1
.LBB31_198:
	s_mov_b32 s22, 0
.LBB31_199:
	s_andn2_b32 vcc_lo, exec_lo, s22
	s_cbranch_vccnz .LBB31_201
; %bb.200:
	global_load_ubyte v3, v[1:2], off
	s_waitcnt vmcnt(0)
	v_lshlrev_b32_e32 v4, 25, v3
	v_lshlrev_b16 v3, 8, v3
	v_lshrrev_b32_e32 v5, 4, v4
	v_and_or_b32 v6, 0x7f00, v3, 0.5
	v_cmp_gt_u32_e32 vcc_lo, 0x8000000, v4
	v_bfe_i32 v3, v3, 0, 16
	v_or_b32_e32 v5, 0x70000000, v5
	v_add_f32_e32 v6, -0.5, v6
	v_mul_f32_e32 v5, 0x7800000, v5
	v_cndmask_b32_e32 v4, v5, v6, vcc_lo
	v_and_or_b32 v3, 0x80000000, v3, v4
	v_bfe_u32 v4, v4, 16, 1
	v_cmp_o_f32_e32 vcc_lo, v3, v3
	v_add3_u32 v3, v3, v4, 0x7fff
	v_mov_b32_e32 v4, 0x7fc0
	v_cndmask_b32_sdwa v3, v4, v3, vcc_lo dst_sel:DWORD dst_unused:UNUSED_PAD src0_sel:DWORD src1_sel:WORD_1
.LBB31_201:
	s_mov_b32 s23, 0
	s_mov_b32 s22, -1
.LBB31_202:
	s_andn2_b32 vcc_lo, exec_lo, s23
	s_cbranch_vccnz .LBB31_215
; %bb.203:
	s_cmp_gt_i32 s0, 14
	s_cbranch_scc0 .LBB31_206
; %bb.204:
	s_cmp_eq_u32 s0, 15
	s_cbranch_scc0 .LBB31_209
; %bb.205:
	global_load_ushort v3, v[1:2], off
	s_mov_b32 s22, -1
	s_mov_b32 s1, 0
	s_branch .LBB31_210
.LBB31_206:
	s_mov_b32 s23, -1
                                        ; implicit-def: $vgpr3
	s_branch .LBB31_211
.LBB31_207:
	s_or_saveexec_b32 s23, s23
	v_mov_b32_e32 v4, 0x7f800001
	s_xor_b32 exec_lo, exec_lo, s23
	s_cbranch_execz .LBB31_188
.LBB31_208:
	v_cmp_ne_u16_e32 vcc_lo, 0, v3
	v_mov_b32_e32 v4, 0
	s_andn2_b32 s22, s22, exec_lo
	s_and_b32 s36, vcc_lo, exec_lo
	s_or_b32 s22, s22, s36
	s_or_b32 exec_lo, exec_lo, s23
	s_and_saveexec_b32 s23, s22
	s_cbranch_execnz .LBB31_189
	s_branch .LBB31_190
.LBB31_209:
	s_mov_b32 s1, -1
                                        ; implicit-def: $vgpr3
.LBB31_210:
	s_mov_b32 s23, 0
.LBB31_211:
	s_and_b32 vcc_lo, exec_lo, s23
	s_cbranch_vccz .LBB31_215
; %bb.212:
	s_cmp_eq_u32 s0, 11
	s_cbranch_scc0 .LBB31_214
; %bb.213:
	global_load_ubyte v3, v[1:2], off
	s_mov_b32 s1, 0
	s_mov_b32 s22, -1
	s_waitcnt vmcnt(0)
	v_cmp_ne_u16_e32 vcc_lo, 0, v3
	v_cndmask_b32_e64 v3, 0, 1.0, vcc_lo
	v_lshrrev_b32_e32 v3, 16, v3
	s_branch .LBB31_215
.LBB31_214:
	s_mov_b32 s1, -1
                                        ; implicit-def: $vgpr3
.LBB31_215:
	s_branch .LBB31_24
.LBB31_216:
	s_cmp_lt_i32 s0, 5
	s_cbranch_scc1 .LBB31_221
; %bb.217:
	s_cmp_lt_i32 s0, 8
	s_cbranch_scc1 .LBB31_222
; %bb.218:
	;; [unrolled: 3-line block ×3, first 2 shown]
	s_cmp_gt_i32 s0, 9
	s_cbranch_scc0 .LBB31_224
; %bb.220:
	global_load_dwordx2 v[3:4], v[1:2], off
	s_mov_b32 s22, 0
	s_waitcnt vmcnt(0)
	v_cvt_f32_f64_e32 v3, v[3:4]
	v_bfe_u32 v4, v3, 16, 1
	v_cmp_o_f32_e32 vcc_lo, v3, v3
	v_add3_u32 v3, v3, v4, 0x7fff
	v_mov_b32_e32 v4, 0x7fc0
	v_cndmask_b32_sdwa v3, v4, v3, vcc_lo dst_sel:DWORD dst_unused:UNUSED_PAD src0_sel:DWORD src1_sel:WORD_1
	s_branch .LBB31_225
.LBB31_221:
                                        ; implicit-def: $vgpr3
	s_branch .LBB31_243
.LBB31_222:
	s_mov_b32 s22, -1
                                        ; implicit-def: $vgpr3
	s_branch .LBB31_231
.LBB31_223:
	s_mov_b32 s22, -1
                                        ; implicit-def: $vgpr3
	s_branch .LBB31_228
.LBB31_224:
	s_mov_b32 s22, -1
                                        ; implicit-def: $vgpr3
.LBB31_225:
	s_andn2_b32 vcc_lo, exec_lo, s22
	s_cbranch_vccnz .LBB31_227
; %bb.226:
	global_load_dword v3, v[1:2], off
	s_waitcnt vmcnt(0)
	v_bfe_u32 v4, v3, 16, 1
	v_cmp_o_f32_e32 vcc_lo, v3, v3
	v_add3_u32 v3, v3, v4, 0x7fff
	v_mov_b32_e32 v4, 0x7fc0
	v_cndmask_b32_sdwa v3, v4, v3, vcc_lo dst_sel:DWORD dst_unused:UNUSED_PAD src0_sel:DWORD src1_sel:WORD_1
.LBB31_227:
	s_mov_b32 s22, 0
.LBB31_228:
	s_andn2_b32 vcc_lo, exec_lo, s22
	s_cbranch_vccnz .LBB31_230
; %bb.229:
	global_load_dword v3, v[1:2], off
	s_waitcnt vmcnt(0)
	v_cvt_f32_f16_e32 v4, v3
	v_cmp_o_f16_e32 vcc_lo, v3, v3
	v_bfe_u32 v5, v4, 16, 1
	v_add3_u32 v3, v4, v5, 0x7fff
	v_mov_b32_e32 v4, 0x7fc0
	v_cndmask_b32_sdwa v3, v4, v3, vcc_lo dst_sel:DWORD dst_unused:UNUSED_PAD src0_sel:DWORD src1_sel:WORD_1
.LBB31_230:
	s_mov_b32 s22, 0
.LBB31_231:
	s_andn2_b32 vcc_lo, exec_lo, s22
	s_cbranch_vccnz .LBB31_242
; %bb.232:
	s_cmp_lt_i32 s0, 6
	s_cbranch_scc1 .LBB31_235
; %bb.233:
	s_cmp_gt_i32 s0, 6
	s_cbranch_scc0 .LBB31_236
; %bb.234:
	global_load_dwordx2 v[3:4], v[1:2], off
	s_mov_b32 s22, 0
	s_waitcnt vmcnt(0)
	v_cvt_f32_f64_e32 v3, v[3:4]
	v_bfe_u32 v4, v3, 16, 1
	v_cmp_o_f32_e32 vcc_lo, v3, v3
	v_add3_u32 v3, v3, v4, 0x7fff
	v_mov_b32_e32 v4, 0x7fc0
	v_cndmask_b32_sdwa v3, v4, v3, vcc_lo dst_sel:DWORD dst_unused:UNUSED_PAD src0_sel:DWORD src1_sel:WORD_1
	s_branch .LBB31_237
.LBB31_235:
	s_mov_b32 s22, -1
                                        ; implicit-def: $vgpr3
	s_branch .LBB31_240
.LBB31_236:
	s_mov_b32 s22, -1
                                        ; implicit-def: $vgpr3
.LBB31_237:
	s_andn2_b32 vcc_lo, exec_lo, s22
	s_cbranch_vccnz .LBB31_239
; %bb.238:
	global_load_dword v3, v[1:2], off
	s_waitcnt vmcnt(0)
	v_bfe_u32 v4, v3, 16, 1
	v_cmp_o_f32_e32 vcc_lo, v3, v3
	v_add3_u32 v3, v3, v4, 0x7fff
	v_mov_b32_e32 v4, 0x7fc0
	v_cndmask_b32_sdwa v3, v4, v3, vcc_lo dst_sel:DWORD dst_unused:UNUSED_PAD src0_sel:DWORD src1_sel:WORD_1
.LBB31_239:
	s_mov_b32 s22, 0
.LBB31_240:
	s_andn2_b32 vcc_lo, exec_lo, s22
	s_cbranch_vccnz .LBB31_242
; %bb.241:
	global_load_ushort v3, v[1:2], off
	s_waitcnt vmcnt(0)
	v_cvt_f32_f16_e32 v4, v3
	v_cmp_o_f16_e32 vcc_lo, v3, v3
	v_bfe_u32 v5, v4, 16, 1
	v_add3_u32 v3, v4, v5, 0x7fff
	v_mov_b32_e32 v4, 0x7fc0
	v_cndmask_b32_sdwa v3, v4, v3, vcc_lo dst_sel:DWORD dst_unused:UNUSED_PAD src0_sel:DWORD src1_sel:WORD_1
.LBB31_242:
	s_cbranch_execnz .LBB31_262
.LBB31_243:
	s_cmp_lt_i32 s0, 2
	s_cbranch_scc1 .LBB31_247
; %bb.244:
	s_cmp_lt_i32 s0, 3
	s_cbranch_scc1 .LBB31_248
; %bb.245:
	s_cmp_gt_i32 s0, 3
	s_cbranch_scc0 .LBB31_249
; %bb.246:
	global_load_dwordx2 v[3:4], v[1:2], off
	s_mov_b32 s22, 0
	s_waitcnt vmcnt(0)
	v_xor_b32_e32 v5, v3, v4
	v_ffbh_i32_e32 v6, v4
	v_ashrrev_i32_e32 v5, 31, v5
	v_add_nc_u32_e32 v6, -1, v6
	v_add_nc_u32_e32 v5, 32, v5
	v_min_u32_e32 v5, v6, v5
	v_lshlrev_b64 v[3:4], v5, v[3:4]
	v_min_u32_e32 v3, 1, v3
	v_or_b32_e32 v3, v4, v3
	v_sub_nc_u32_e32 v4, 32, v5
	v_cvt_f32_i32_e32 v3, v3
	v_ldexp_f32 v3, v3, v4
	v_bfe_u32 v4, v3, 16, 1
	v_add3_u32 v3, v3, v4, 0x7fff
	v_lshrrev_b32_e32 v3, 16, v3
	s_branch .LBB31_250
.LBB31_247:
	s_mov_b32 s22, -1
                                        ; implicit-def: $vgpr3
	s_branch .LBB31_256
.LBB31_248:
	s_mov_b32 s22, -1
                                        ; implicit-def: $vgpr3
	s_branch .LBB31_253
.LBB31_249:
	s_mov_b32 s22, -1
                                        ; implicit-def: $vgpr3
.LBB31_250:
	s_andn2_b32 vcc_lo, exec_lo, s22
	s_cbranch_vccnz .LBB31_252
; %bb.251:
	global_load_dword v3, v[1:2], off
	s_waitcnt vmcnt(0)
	v_cvt_f32_i32_e32 v3, v3
	v_bfe_u32 v4, v3, 16, 1
	v_add3_u32 v3, v3, v4, 0x7fff
	v_lshrrev_b32_e32 v3, 16, v3
.LBB31_252:
	s_mov_b32 s22, 0
.LBB31_253:
	s_andn2_b32 vcc_lo, exec_lo, s22
	s_cbranch_vccnz .LBB31_255
; %bb.254:
	global_load_sshort v3, v[1:2], off
	s_waitcnt vmcnt(0)
	v_cvt_f32_i32_e32 v3, v3
	v_bfe_u32 v4, v3, 16, 1
	v_add3_u32 v3, v3, v4, 0x7fff
	v_lshrrev_b32_e32 v3, 16, v3
.LBB31_255:
	s_mov_b32 s22, 0
.LBB31_256:
	s_andn2_b32 vcc_lo, exec_lo, s22
	s_cbranch_vccnz .LBB31_262
; %bb.257:
	s_cmp_gt_i32 s0, 0
	s_mov_b32 s0, 0
	s_cbranch_scc0 .LBB31_259
; %bb.258:
	global_load_sbyte v3, v[1:2], off
	s_waitcnt vmcnt(0)
	v_cvt_f32_i32_e32 v3, v3
	v_bfe_u32 v4, v3, 16, 1
	v_add3_u32 v3, v3, v4, 0x7fff
	v_lshrrev_b32_e32 v3, 16, v3
	s_branch .LBB31_260
.LBB31_259:
	s_mov_b32 s0, -1
                                        ; implicit-def: $vgpr3
.LBB31_260:
	s_andn2_b32 vcc_lo, exec_lo, s0
	s_cbranch_vccnz .LBB31_262
; %bb.261:
	global_load_ubyte v1, v[1:2], off
	s_waitcnt vmcnt(0)
	v_cvt_f32_ubyte0_e32 v1, v1
	v_bfe_u32 v2, v1, 16, 1
	v_add3_u32 v1, v1, v2, 0x7fff
	v_lshrrev_b32_e32 v3, 16, v1
.LBB31_262:
	s_branch .LBB31_25
.LBB31_263:
	s_mov_b32 s0, 0
.LBB31_264:
	s_mov_b32 s22, 0
                                        ; implicit-def: $vgpr8
.LBB31_265:
	s_and_b32 s36, s0, exec_lo
	s_and_b32 s37, s1, exec_lo
	s_orn2_b32 s1, s22, exec_lo
.LBB31_266:
	s_or_b32 exec_lo, exec_lo, s38
	s_mov_b32 s22, 0
	s_mov_b32 s0, 0
                                        ; implicit-def: $vgpr1_vgpr2
                                        ; implicit-def: $vgpr0
                                        ; implicit-def: $vgpr4
	s_and_saveexec_b32 s38, s1
	s_cbranch_execz .LBB31_273
; %bb.267:
	s_mov_b32 s0, -1
	s_mov_b32 s39, s37
	s_mov_b32 s40, s36
	s_mov_b32 s41, exec_lo
	v_cmpx_gt_i32_e64 s33, v8
	s_cbranch_execz .LBB31_543
; %bb.268:
	s_andn2_b32 vcc_lo, exec_lo, s27
	s_cbranch_vccnz .LBB31_276
; %bb.269:
	s_andn2_b32 vcc_lo, exec_lo, s34
	s_cbranch_vccnz .LBB31_277
; %bb.270:
	s_add_i32 s40, s35, 1
	s_cmp_eq_u32 s25, 2
	s_cbranch_scc1 .LBB31_278
; %bb.271:
	v_mov_b32_e32 v2, 0
	v_mov_b32_e32 v0, 0
	;; [unrolled: 1-line block ×3, first 2 shown]
	s_and_b32 s39, s40, 28
	s_mov_b32 s42, 0
	s_mov_b64 s[0:1], s[2:3]
	s_mov_b64 s[22:23], s[20:21]
.LBB31_272:                             ; =>This Inner Loop Header: Depth=1
	s_clause 0x1
	s_load_dwordx8 s[44:51], s[0:1], 0x4
	s_load_dwordx4 s[60:63], s[0:1], 0x24
	s_load_dwordx8 s[52:59], s[22:23], 0x0
	s_add_u32 s0, s0, 48
	s_addc_u32 s1, s1, 0
	s_add_i32 s42, s42, 4
	s_add_u32 s22, s22, 32
	s_addc_u32 s23, s23, 0
	s_cmp_eq_u32 s39, s42
	s_waitcnt vmcnt(0) lgkmcnt(0)
	v_mul_hi_u32 v3, s45, v1
	v_add_nc_u32_e32 v3, v1, v3
	v_lshrrev_b32_e32 v3, s46, v3
	v_mul_hi_u32 v4, s48, v3
	v_mul_lo_u32 v6, v3, s44
	v_add_nc_u32_e32 v4, v3, v4
	v_sub_nc_u32_e32 v1, v1, v6
	v_lshrrev_b32_e32 v4, s49, v4
	v_mul_lo_u32 v6, v1, s52
	v_mul_lo_u32 v9, v1, s53
	v_mul_hi_u32 v5, s51, v4
	v_add_nc_u32_e32 v5, v4, v5
	v_lshrrev_b32_e32 v5, s60, v5
	v_mul_hi_u32 v7, s62, v5
	v_mul_lo_u32 v10, v5, s50
	v_add_nc_u32_e32 v1, v5, v7
	v_mul_lo_u32 v7, v4, s47
	v_sub_nc_u32_e32 v4, v4, v10
	v_lshrrev_b32_e32 v1, s63, v1
	v_mul_lo_u32 v10, v4, s56
	v_mul_lo_u32 v4, v4, s57
	v_sub_nc_u32_e32 v3, v3, v7
	v_mul_lo_u32 v11, v1, s61
	v_mul_lo_u32 v7, v3, s54
	v_mul_lo_u32 v3, v3, s55
	v_sub_nc_u32_e32 v5, v5, v11
	v_add3_u32 v0, v6, v0, v7
	v_mul_lo_u32 v11, v5, s58
	v_mul_lo_u32 v5, v5, s59
	v_add3_u32 v2, v9, v2, v3
	v_add3_u32 v0, v10, v0, v11
	;; [unrolled: 1-line block ×3, first 2 shown]
	s_cbranch_scc0 .LBB31_272
	s_branch .LBB31_279
.LBB31_273:
	s_or_b32 exec_lo, exec_lo, s38
	s_mov_b32 s1, 0
	s_waitcnt lgkmcnt(0)
	s_and_saveexec_b32 s6, s37
	s_cbranch_execnz .LBB31_921
.LBB31_274:
	s_or_b32 exec_lo, exec_lo, s6
	s_and_saveexec_b32 s6, s39
	s_xor_b32 s6, exec_lo, s6
	s_cbranch_execz .LBB31_922
.LBB31_275:
	global_load_ubyte v3, v[1:2], off
	s_or_b32 s0, s0, exec_lo
	s_waitcnt vmcnt(0)
	v_cmp_ne_u16_e32 vcc_lo, 0, v3
	v_cndmask_b32_e64 v3, 0, 1.0, vcc_lo
	v_lshrrev_b32_e32 v4, 16, v3
	s_or_b32 exec_lo, exec_lo, s6
	s_and_saveexec_b32 s6, s22
	s_cbranch_execz .LBB31_968
	s_branch .LBB31_923
.LBB31_276:
                                        ; implicit-def: $vgpr0
                                        ; implicit-def: $vgpr2
	s_andn2_b32 vcc_lo, exec_lo, s0
	s_cbranch_vccz .LBB31_283
	s_branch .LBB31_285
.LBB31_277:
	v_mov_b32_e32 v0, 0
	v_mov_b32_e32 v2, 0
	s_branch .LBB31_282
.LBB31_278:
	v_mov_b32_e32 v0, 0
	v_mov_b32_e32 v2, 0
	;; [unrolled: 1-line block ×3, first 2 shown]
	s_mov_b32 s39, 0
.LBB31_279:
	s_and_b32 s40, s40, 3
	s_cmp_eq_u32 s40, 0
	s_cbranch_scc1 .LBB31_282
; %bb.280:
	s_lshl_b32 s0, s39, 3
	s_mul_i32 s22, s39, 12
	s_add_u32 s0, s2, s0
	s_addc_u32 s1, s3, 0
	s_add_u32 s0, s0, 0xc4
	s_addc_u32 s1, s1, 0
	;; [unrolled: 2-line block ×3, first 2 shown]
	.p2align	6
.LBB31_281:                             ; =>This Inner Loop Header: Depth=1
	s_clause 0x1
	s_load_dwordx2 s[42:43], s[22:23], 0x4
	s_load_dword s39, s[22:23], 0xc
	s_load_dwordx2 s[44:45], s[0:1], 0x0
	s_add_u32 s22, s22, 12
	s_addc_u32 s23, s23, 0
	s_add_u32 s0, s0, 8
	s_addc_u32 s1, s1, 0
	s_add_i32 s40, s40, -1
	s_cmp_lg_u32 s40, 0
	s_waitcnt vmcnt(0) lgkmcnt(0)
	v_mul_hi_u32 v3, s43, v1
	v_add_nc_u32_e32 v3, v1, v3
	v_lshrrev_b32_e32 v4, s39, v3
	v_mul_lo_u32 v3, v4, s42
	v_sub_nc_u32_e32 v3, v1, v3
	v_mad_u64_u32 v[0:1], null, v3, s44, v[0:1]
	v_mad_u64_u32 v[2:3], null, v3, s45, v[2:3]
	v_mov_b32_e32 v1, v4
	s_cbranch_scc1 .LBB31_281
.LBB31_282:
	s_cbranch_execnz .LBB31_285
.LBB31_283:
	s_waitcnt lgkmcnt(0)
	v_mul_hi_u32 v0, s17, v8
	s_andn2_b32 vcc_lo, exec_lo, s31
	v_add_nc_u32_e32 v0, v8, v0
	v_lshrrev_b32_e32 v1, s18, v0
	v_mul_lo_u32 v0, v1, s16
	v_sub_nc_u32_e32 v2, v8, v0
	v_mul_lo_u32 v0, v2, s12
	v_mul_lo_u32 v2, v2, s13
	s_cbranch_vccnz .LBB31_285
; %bb.284:
	s_waitcnt vmcnt(0)
	v_mul_hi_u32 v3, s6, v1
	v_add_nc_u32_e32 v3, v1, v3
	v_lshrrev_b32_e32 v3, s7, v3
	v_mul_lo_u32 v3, v3, s19
	v_sub_nc_u32_e32 v3, v1, v3
	v_mad_u64_u32 v[0:1], null, v3, s14, v[0:1]
	v_mad_u64_u32 v[2:3], null, v3, s15, v[2:3]
.LBB31_285:
	s_waitcnt lgkmcnt(0)
	v_add_co_u32 v1, s0, s10, v2
	v_add_co_ci_u32_e64 v2, null, s11, 0, s0
	s_and_b32 s0, 0xffff, s30
	s_cmp_lt_i32 s0, 11
	s_cbranch_scc1 .LBB31_292
; %bb.286:
	s_cmp_gt_i32 s0, 25
	s_cbranch_scc0 .LBB31_301
; %bb.287:
	s_cmp_gt_i32 s0, 28
	s_cbranch_scc0 .LBB31_303
	;; [unrolled: 3-line block ×4, first 2 shown]
; %bb.290:
	s_cmp_eq_u32 s0, 46
	s_mov_b32 s23, 0
	s_cbranch_scc0 .LBB31_313
; %bb.291:
	global_load_dword v3, v[1:2], off
	s_mov_b32 s22, -1
	s_mov_b32 s1, 0
	s_branch .LBB31_315
.LBB31_292:
	s_mov_b32 s22, 0
	s_mov_b32 s1, s37
                                        ; implicit-def: $vgpr3
	s_cbranch_execnz .LBB31_492
.LBB31_293:
	s_andn2_b32 vcc_lo, exec_lo, s22
	s_cbranch_vccnz .LBB31_540
.LBB31_294:
	s_waitcnt vmcnt(0)
	v_lshlrev_b32_e32 v1, 16, v3
	s_mov_b32 s0, 0x3b2d2a58
	s_and_b32 s22, s29, 0xff
	s_cmp_lt_i32 s22, 11
	v_rcp_f32_e64 v2, |v1|
	v_cmp_gt_f32_e64 vcc_lo, |v1|, 1.0
	v_cndmask_b32_e64 v2, |v1|, v2, vcc_lo
	v_mul_f32_e32 v3, v2, v2
	v_fmaak_f32 v4, s0, v3, 0xbc7a590c
	v_add_co_u32 v0, s0, s8, v0
	v_fmaak_f32 v4, v3, v4, 0x3d29fb3f
	v_fmaak_f32 v4, v3, v4, 0xbd97d4d7
	;; [unrolled: 1-line block ×6, first 2 shown]
	v_mul_f32_e32 v3, v3, v4
	v_fmac_f32_e32 v2, v2, v3
	v_sub_f32_e32 v3, 0x3fc90fdb, v2
	v_cndmask_b32_e32 v2, v2, v3, vcc_lo
	v_mov_b32_e32 v3, 0x7fc0
	v_bfi_b32 v1, 0x7fffffff, v2, v1
	v_bfe_u32 v2, v1, 16, 1
	v_cmp_o_f32_e32 vcc_lo, v1, v1
	v_add3_u32 v2, v1, v2, 0x7fff
	v_add_co_ci_u32_e64 v1, null, s9, 0, s0
	v_cndmask_b32_sdwa v2, v3, v2, vcc_lo dst_sel:DWORD dst_unused:UNUSED_PAD src0_sel:DWORD src1_sel:WORD_1
	s_cbranch_scc1 .LBB31_302
; %bb.295:
	s_and_b32 s23, 0xffff, s22
	s_cmp_gt_i32 s23, 25
	s_cbranch_scc0 .LBB31_304
; %bb.296:
	s_cmp_gt_i32 s23, 28
	s_cbranch_scc0 .LBB31_306
; %bb.297:
	;; [unrolled: 3-line block ×4, first 2 shown]
	s_mov_b32 s40, 0
	s_mov_b32 s0, -1
	s_cmp_eq_u32 s23, 46
	s_mov_b32 s39, 0
	s_cbranch_scc0 .LBB31_319
; %bb.300:
	v_and_b32_e32 v3, 0xffff, v2
	s_mov_b32 s39, -1
	s_mov_b32 s0, 0
	global_store_dword v[0:1], v3, off
	s_branch .LBB31_319
.LBB31_301:
	s_mov_b32 s23, -1
	s_mov_b32 s22, 0
	s_mov_b32 s1, s37
                                        ; implicit-def: $vgpr3
	s_branch .LBB31_456
.LBB31_302:
	s_mov_b32 s23, -1
	s_mov_b32 s39, 0
	s_mov_b32 s0, s36
	s_branch .LBB31_388
.LBB31_303:
	s_mov_b32 s23, -1
	s_mov_b32 s22, 0
	s_mov_b32 s1, s37
                                        ; implicit-def: $vgpr3
	s_branch .LBB31_437
.LBB31_304:
	s_mov_b32 s40, -1
	s_mov_b32 s39, 0
	s_mov_b32 s0, s36
	s_branch .LBB31_346
.LBB31_305:
	s_mov_b32 s23, -1
	s_mov_b32 s22, 0
	s_mov_b32 s1, s37
                                        ; implicit-def: $vgpr3
	s_branch .LBB31_432
.LBB31_306:
	s_mov_b32 s40, -1
	s_mov_b32 s39, 0
	s_mov_b32 s0, s36
	s_branch .LBB31_329
.LBB31_307:
	s_andn2_saveexec_b32 s40, s40
	s_cbranch_execz .LBB31_68
.LBB31_308:
	v_add_f32_e64 v4, 0x46000000, |v5|
	s_andn2_b32 s37, s37, exec_lo
	v_and_b32_e32 v4, 0xff, v4
	v_cmp_ne_u32_e32 vcc_lo, 0, v4
	s_and_b32 s41, vcc_lo, exec_lo
	s_or_b32 s37, s37, s41
	s_or_b32 exec_lo, exec_lo, s40
	v_mov_b32_e32 v6, 0
	s_and_saveexec_b32 s40, s37
	s_cbranch_execnz .LBB31_69
	s_branch .LBB31_70
.LBB31_309:
	s_mov_b32 s23, -1
	s_mov_b32 s22, 0
	s_mov_b32 s1, s37
	s_branch .LBB31_314
.LBB31_310:
	s_mov_b32 s40, -1
	s_mov_b32 s39, 0
	s_mov_b32 s0, s36
	s_branch .LBB31_325
.LBB31_311:
	s_andn2_saveexec_b32 s40, s40
	s_cbranch_execz .LBB31_81
.LBB31_312:
	v_add_f32_e64 v4, 0x42800000, |v5|
	s_andn2_b32 s37, s37, exec_lo
	v_and_b32_e32 v4, 0xff, v4
	v_cmp_ne_u32_e32 vcc_lo, 0, v4
	s_and_b32 s41, vcc_lo, exec_lo
	s_or_b32 s37, s37, s41
	s_or_b32 exec_lo, exec_lo, s40
	v_mov_b32_e32 v6, 0
	s_and_saveexec_b32 s40, s37
	s_cbranch_execnz .LBB31_82
	s_branch .LBB31_83
.LBB31_313:
	s_mov_b32 s1, -1
	s_mov_b32 s22, 0
.LBB31_314:
                                        ; implicit-def: $vgpr3
.LBB31_315:
	s_and_b32 vcc_lo, exec_lo, s23
	s_cbranch_vccz .LBB31_431
; %bb.316:
	s_cmp_eq_u32 s0, 44
	s_cbranch_scc0 .LBB31_430
; %bb.317:
	global_load_ubyte v3, v[1:2], off
	s_mov_b32 s1, 0
	s_mov_b32 s22, -1
	s_waitcnt vmcnt(0)
	v_lshlrev_b32_e32 v4, 23, v3
	v_cmp_ne_u32_e32 vcc_lo, 0xff, v3
	v_cndmask_b32_e32 v4, 0x7f800001, v4, vcc_lo
	v_cmp_ne_u32_e32 vcc_lo, 0, v3
	v_cndmask_b32_e32 v3, 0x400000, v4, vcc_lo
	v_mov_b32_e32 v4, 0x7fc0
	v_cmp_o_f32_e32 vcc_lo, v3, v3
	v_add_nc_u32_e32 v3, 0x7fff, v3
	v_cndmask_b32_sdwa v3, v4, v3, vcc_lo dst_sel:DWORD dst_unused:UNUSED_PAD src0_sel:DWORD src1_sel:WORD_1
	s_branch .LBB31_431
.LBB31_318:
	s_mov_b32 s40, -1
	s_mov_b32 s39, 0
	s_mov_b32 s0, s36
.LBB31_319:
	s_and_b32 vcc_lo, exec_lo, s40
	s_cbranch_vccz .LBB31_324
; %bb.320:
	s_cmp_eq_u32 s23, 44
	s_mov_b32 s0, -1
	s_cbranch_scc0 .LBB31_324
; %bb.321:
	v_and_b32_e32 v3, 0xffff, v2
	v_mov_b32_e32 v4, 0xff
	s_mov_b32 s39, exec_lo
	v_bfe_u32 v5, v3, 7, 8
	v_cmpx_ne_u32_e32 0xff, v5
	s_cbranch_execz .LBB31_323
; %bb.322:
	v_lshlrev_b32_e32 v4, 16, v3
	v_and_b32_e32 v6, 64, v3
	v_lshrrev_b32_e32 v3, 7, v3
	v_and_or_b32 v4, 0x3f0000, v4, v5
	v_cmp_ne_u32_e32 vcc_lo, 0, v6
	v_cmp_ne_u32_e64 s0, 0, v4
	s_and_b32 s0, vcc_lo, s0
	v_cndmask_b32_e64 v4, 0, 1, s0
	v_add_nc_u32_e32 v4, v3, v4
.LBB31_323:
	s_or_b32 exec_lo, exec_lo, s39
	s_mov_b32 s39, -1
	s_mov_b32 s0, 0
	global_store_byte v[0:1], v4, off
.LBB31_324:
	s_mov_b32 s40, 0
.LBB31_325:
	s_and_b32 vcc_lo, exec_lo, s40
	s_cbranch_vccz .LBB31_328
; %bb.326:
	s_cmp_eq_u32 s23, 29
	s_mov_b32 s0, -1
	s_cbranch_scc0 .LBB31_328
; %bb.327:
	v_lshlrev_b32_e32 v3, 16, v2
	s_mov_b32 s39, -1
	s_mov_b32 s0, 0
	s_mov_b32 s40, 0
	v_trunc_f32_e32 v3, v3
	v_mul_f32_e32 v4, 0x2f800000, v3
	v_floor_f32_e32 v4, v4
	v_fmamk_f32 v3, v4, 0xcf800000, v3
	v_cvt_u32_f32_e32 v4, v4
	v_cvt_u32_f32_e32 v3, v3
	global_store_dwordx2 v[0:1], v[3:4], off
	s_branch .LBB31_329
.LBB31_328:
	s_mov_b32 s40, 0
.LBB31_329:
	s_and_b32 vcc_lo, exec_lo, s40
	s_cbranch_vccz .LBB31_345
; %bb.330:
	s_cmp_lt_i32 s23, 27
	s_mov_b32 s39, -1
	s_cbranch_scc1 .LBB31_336
; %bb.331:
	s_cmp_gt_i32 s23, 27
	s_cbranch_scc0 .LBB31_333
; %bb.332:
	v_lshlrev_b32_e32 v3, 16, v2
	s_mov_b32 s39, 0
	v_cvt_u32_f32_e32 v3, v3
	global_store_dword v[0:1], v3, off
.LBB31_333:
	s_andn2_b32 vcc_lo, exec_lo, s39
	s_cbranch_vccnz .LBB31_335
; %bb.334:
	v_lshlrev_b32_e32 v3, 16, v2
	v_cvt_u32_f32_e32 v3, v3
	global_store_short v[0:1], v3, off
.LBB31_335:
	s_mov_b32 s39, 0
.LBB31_336:
	s_andn2_b32 vcc_lo, exec_lo, s39
	s_cbranch_vccnz .LBB31_344
; %bb.337:
	v_lshlrev_b32_e32 v5, 16, v2
	v_mov_b32_e32 v6, 0x80
	s_mov_b32 s39, exec_lo
	v_and_b32_e32 v4, 0x7fffffff, v5
	v_cmpx_gt_u32_e32 0x43800000, v4
	s_cbranch_execz .LBB31_343
; %bb.338:
	v_and_b32_e32 v3, 0xffff, v2
	v_cmp_lt_u32_e32 vcc_lo, 0x3bffffff, v4
	s_mov_b32 s40, 0
                                        ; implicit-def: $vgpr4
	s_and_saveexec_b32 s42, vcc_lo
	s_xor_b32 s42, exec_lo, s42
	s_cbranch_execz .LBB31_571
; %bb.339:
	v_bfe_u32 v4, v3, 4, 1
	s_mov_b32 s40, exec_lo
	v_add3_u32 v4, v5, v4, 0x487ffff
                                        ; implicit-def: $vgpr5
	v_lshrrev_b32_e32 v4, 20, v4
	s_andn2_saveexec_b32 s42, s42
	s_cbranch_execnz .LBB31_572
.LBB31_340:
	s_or_b32 exec_lo, exec_lo, s42
	v_mov_b32_e32 v6, 0
	s_and_saveexec_b32 s42, s40
.LBB31_341:
	v_lshrrev_b32_e32 v3, 8, v3
	v_and_or_b32 v6, 0x80, v3, v4
.LBB31_342:
	s_or_b32 exec_lo, exec_lo, s42
.LBB31_343:
	s_or_b32 exec_lo, exec_lo, s39
	global_store_byte v[0:1], v6, off
.LBB31_344:
	s_mov_b32 s39, -1
.LBB31_345:
	s_mov_b32 s40, 0
.LBB31_346:
	s_and_b32 vcc_lo, exec_lo, s40
	s_cbranch_vccz .LBB31_387
; %bb.347:
	s_cmp_gt_i32 s23, 22
	s_mov_b32 s40, -1
	s_cbranch_scc0 .LBB31_379
; %bb.348:
	s_cmp_lt_i32 s23, 24
	s_mov_b32 s39, -1
	s_cbranch_scc1 .LBB31_368
; %bb.349:
	s_cmp_gt_i32 s23, 24
	s_cbranch_scc0 .LBB31_357
; %bb.350:
	v_lshlrev_b32_e32 v5, 16, v2
	v_mov_b32_e32 v6, 0x80
	s_mov_b32 s39, exec_lo
	v_and_b32_e32 v4, 0x7fffffff, v5
	v_cmpx_gt_u32_e32 0x47800000, v4
	s_cbranch_execz .LBB31_356
; %bb.351:
	v_and_b32_e32 v3, 0xffff, v2
	v_cmp_lt_u32_e32 vcc_lo, 0x37ffffff, v4
	s_mov_b32 s40, 0
                                        ; implicit-def: $vgpr4
	s_and_saveexec_b32 s42, vcc_lo
	s_xor_b32 s42, exec_lo, s42
	s_cbranch_execz .LBB31_574
; %bb.352:
	v_bfe_u32 v4, v3, 5, 1
	s_mov_b32 s40, exec_lo
	v_add3_u32 v4, v5, v4, 0x88fffff
                                        ; implicit-def: $vgpr5
	v_lshrrev_b32_e32 v4, 21, v4
	s_andn2_saveexec_b32 s42, s42
	s_cbranch_execnz .LBB31_575
.LBB31_353:
	s_or_b32 exec_lo, exec_lo, s42
	v_mov_b32_e32 v6, 0
	s_and_saveexec_b32 s42, s40
.LBB31_354:
	v_lshrrev_b32_e32 v3, 8, v3
	v_and_or_b32 v6, 0x80, v3, v4
.LBB31_355:
	s_or_b32 exec_lo, exec_lo, s42
.LBB31_356:
	s_or_b32 exec_lo, exec_lo, s39
	s_mov_b32 s39, 0
	global_store_byte v[0:1], v6, off
.LBB31_357:
	s_and_b32 vcc_lo, exec_lo, s39
	s_cbranch_vccz .LBB31_367
; %bb.358:
	v_lshlrev_b32_e32 v5, 16, v2
	v_and_b32_e32 v3, 0xffff, v2
	s_mov_b32 s39, exec_lo
                                        ; implicit-def: $vgpr4
	v_and_b32_e32 v6, 0x7fffffff, v5
	v_cmpx_gt_u32_e32 0x43f00000, v6
	s_xor_b32 s39, exec_lo, s39
	s_cbranch_execz .LBB31_364
; %bb.359:
	s_mov_b32 s40, exec_lo
                                        ; implicit-def: $vgpr4
	v_cmpx_lt_u32_e32 0x3c7fffff, v6
	s_xor_b32 s40, exec_lo, s40
; %bb.360:
	v_bfe_u32 v4, v3, 4, 1
	v_add3_u32 v4, v5, v4, 0x407ffff
	v_and_b32_e32 v5, 0xff00000, v4
	v_lshrrev_b32_e32 v4, 20, v4
	v_cmp_ne_u32_e32 vcc_lo, 0x7f00000, v5
                                        ; implicit-def: $vgpr5
	v_cndmask_b32_e32 v4, 0x7e, v4, vcc_lo
; %bb.361:
	s_andn2_saveexec_b32 s40, s40
; %bb.362:
	v_add_f32_e64 v4, 0x46800000, |v5|
; %bb.363:
	s_or_b32 exec_lo, exec_lo, s40
                                        ; implicit-def: $vgpr6
.LBB31_364:
	s_andn2_saveexec_b32 s39, s39
; %bb.365:
	v_mov_b32_e32 v4, 0x7f
	v_cmp_lt_u32_e32 vcc_lo, 0x7f800000, v6
	v_cndmask_b32_e32 v4, 0x7e, v4, vcc_lo
; %bb.366:
	s_or_b32 exec_lo, exec_lo, s39
	v_lshrrev_b32_e32 v3, 8, v3
	v_and_or_b32 v3, 0x80, v3, v4
	global_store_byte v[0:1], v3, off
.LBB31_367:
	s_mov_b32 s39, 0
.LBB31_368:
	s_andn2_b32 vcc_lo, exec_lo, s39
	s_cbranch_vccnz .LBB31_378
; %bb.369:
	v_lshlrev_b32_e32 v5, 16, v2
	v_and_b32_e32 v3, 0xffff, v2
	s_mov_b32 s39, exec_lo
                                        ; implicit-def: $vgpr4
	v_and_b32_e32 v6, 0x7fffffff, v5
	v_cmpx_gt_u32_e32 0x47800000, v6
	s_xor_b32 s39, exec_lo, s39
	s_cbranch_execz .LBB31_375
; %bb.370:
	s_mov_b32 s40, exec_lo
                                        ; implicit-def: $vgpr4
	v_cmpx_lt_u32_e32 0x387fffff, v6
	s_xor_b32 s40, exec_lo, s40
; %bb.371:
	v_bfe_u32 v4, v3, 5, 1
	v_add3_u32 v4, v5, v4, 0x80fffff
                                        ; implicit-def: $vgpr5
	v_lshrrev_b32_e32 v4, 21, v4
; %bb.372:
	s_andn2_saveexec_b32 s40, s40
; %bb.373:
	v_add_f32_e64 v4, 0x43000000, |v5|
; %bb.374:
	s_or_b32 exec_lo, exec_lo, s40
                                        ; implicit-def: $vgpr6
.LBB31_375:
	s_andn2_saveexec_b32 s39, s39
; %bb.376:
	v_mov_b32_e32 v4, 0x7f
	v_cmp_lt_u32_e32 vcc_lo, 0x7f800000, v6
	v_cndmask_b32_e32 v4, 0x7c, v4, vcc_lo
; %bb.377:
	s_or_b32 exec_lo, exec_lo, s39
	v_lshrrev_b32_e32 v3, 8, v3
	v_and_or_b32 v3, 0x80, v3, v4
	global_store_byte v[0:1], v3, off
.LBB31_378:
	s_mov_b32 s40, 0
	s_mov_b32 s39, -1
.LBB31_379:
	s_andn2_b32 vcc_lo, exec_lo, s40
	s_cbranch_vccnz .LBB31_387
; %bb.380:
	s_cmp_gt_i32 s23, 14
	s_mov_b32 s40, -1
	s_cbranch_scc0 .LBB31_384
; %bb.381:
	s_cmp_eq_u32 s23, 15
	s_mov_b32 s0, -1
	s_cbranch_scc0 .LBB31_383
; %bb.382:
	s_mov_b32 s39, -1
	s_mov_b32 s0, 0
	global_store_short v[0:1], v2, off
.LBB31_383:
	s_mov_b32 s40, 0
.LBB31_384:
	s_and_b32 vcc_lo, exec_lo, s40
	s_cbranch_vccz .LBB31_387
; %bb.385:
	s_cmp_eq_u32 s23, 11
	s_mov_b32 s0, -1
	s_cbranch_scc0 .LBB31_387
; %bb.386:
	v_and_b32_e32 v3, 0x7fff, v2
	s_mov_b32 s0, 0
	s_mov_b32 s39, -1
	v_cmp_ne_u16_e32 vcc_lo, 0, v3
	v_cndmask_b32_e64 v3, 0, 1, vcc_lo
	global_store_byte v[0:1], v3, off
.LBB31_387:
	s_mov_b32 s23, 0
.LBB31_388:
	s_and_b32 vcc_lo, exec_lo, s23
	s_cbranch_vccz .LBB31_427
; %bb.389:
	s_and_b32 s22, 0xffff, s22
	s_mov_b32 s23, -1
	s_cmp_lt_i32 s22, 5
	s_cbranch_scc1 .LBB31_410
; %bb.390:
	s_cmp_lt_i32 s22, 8
	s_cbranch_scc1 .LBB31_400
; %bb.391:
	;; [unrolled: 3-line block ×3, first 2 shown]
	s_cmp_gt_i32 s22, 9
	s_cbranch_scc0 .LBB31_394
; %bb.393:
	v_lshlrev_b32_e32 v3, 16, v2
	v_mov_b32_e32 v5, 0
	s_mov_b32 s23, 0
	v_cvt_f64_f32_e32 v[3:4], v3
	v_mov_b32_e32 v6, v5
	global_store_dwordx4 v[0:1], v[3:6], off
.LBB31_394:
	s_andn2_b32 vcc_lo, exec_lo, s23
	s_cbranch_vccnz .LBB31_396
; %bb.395:
	v_lshlrev_b32_e32 v3, 16, v2
	v_mov_b32_e32 v4, 0
	global_store_dwordx2 v[0:1], v[3:4], off
.LBB31_396:
	s_mov_b32 s23, 0
.LBB31_397:
	s_andn2_b32 vcc_lo, exec_lo, s23
	s_cbranch_vccnz .LBB31_399
; %bb.398:
	v_lshlrev_b32_e32 v3, 16, v2
	v_cvt_f16_f32_e32 v3, v3
	v_and_b32_e32 v3, 0xffff, v3
	global_store_dword v[0:1], v3, off
.LBB31_399:
	s_mov_b32 s23, 0
.LBB31_400:
	s_andn2_b32 vcc_lo, exec_lo, s23
	s_cbranch_vccnz .LBB31_409
; %bb.401:
	s_cmp_lt_i32 s22, 6
	s_mov_b32 s23, -1
	s_cbranch_scc1 .LBB31_407
; %bb.402:
	s_cmp_gt_i32 s22, 6
	s_cbranch_scc0 .LBB31_404
; %bb.403:
	v_lshlrev_b32_e32 v3, 16, v2
	s_mov_b32 s23, 0
	v_cvt_f64_f32_e32 v[3:4], v3
	global_store_dwordx2 v[0:1], v[3:4], off
.LBB31_404:
	s_andn2_b32 vcc_lo, exec_lo, s23
	s_cbranch_vccnz .LBB31_406
; %bb.405:
	v_lshlrev_b32_e32 v3, 16, v2
	global_store_dword v[0:1], v3, off
.LBB31_406:
	s_mov_b32 s23, 0
.LBB31_407:
	s_andn2_b32 vcc_lo, exec_lo, s23
	s_cbranch_vccnz .LBB31_409
; %bb.408:
	v_lshlrev_b32_e32 v3, 16, v2
	v_cvt_f16_f32_e32 v3, v3
	global_store_short v[0:1], v3, off
.LBB31_409:
	s_mov_b32 s23, 0
.LBB31_410:
	s_andn2_b32 vcc_lo, exec_lo, s23
	s_cbranch_vccnz .LBB31_426
; %bb.411:
	s_cmp_lt_i32 s22, 2
	s_mov_b32 s23, -1
	s_cbranch_scc1 .LBB31_421
; %bb.412:
	s_cmp_lt_i32 s22, 3
	s_cbranch_scc1 .LBB31_418
; %bb.413:
	s_cmp_gt_i32 s22, 3
	s_cbranch_scc0 .LBB31_415
; %bb.414:
	v_lshlrev_b32_e32 v3, 16, v2
	s_mov_b32 s23, 0
	v_trunc_f32_e32 v3, v3
	v_mul_f32_e64 v4, 0x2f800000, |v3|
	v_ashrrev_i32_e32 v6, 31, v3
	v_floor_f32_e32 v4, v4
	v_fma_f32 v5, 0xcf800000, v4, |v3|
	v_cvt_u32_f32_e32 v4, v4
	v_cvt_u32_f32_e32 v3, v5
	v_xor_b32_e32 v4, v4, v6
	v_xor_b32_e32 v3, v3, v6
	v_sub_co_u32 v3, vcc_lo, v3, v6
	v_sub_co_ci_u32_e64 v4, null, v4, v6, vcc_lo
	global_store_dwordx2 v[0:1], v[3:4], off
.LBB31_415:
	s_andn2_b32 vcc_lo, exec_lo, s23
	s_cbranch_vccnz .LBB31_417
; %bb.416:
	v_lshlrev_b32_e32 v3, 16, v2
	v_cvt_i32_f32_e32 v3, v3
	global_store_dword v[0:1], v3, off
.LBB31_417:
	s_mov_b32 s23, 0
.LBB31_418:
	s_andn2_b32 vcc_lo, exec_lo, s23
	s_cbranch_vccnz .LBB31_420
; %bb.419:
	v_lshlrev_b32_e32 v3, 16, v2
	v_cvt_i32_f32_e32 v3, v3
	global_store_short v[0:1], v3, off
.LBB31_420:
	s_mov_b32 s23, 0
.LBB31_421:
	s_andn2_b32 vcc_lo, exec_lo, s23
	s_cbranch_vccnz .LBB31_426
; %bb.422:
	v_lshlrev_b32_e32 v2, 16, v2
	s_cmp_gt_i32 s22, 0
	s_mov_b32 s22, -1
	s_cbranch_scc0 .LBB31_424
; %bb.423:
	v_cvt_i32_f32_e32 v3, v2
	s_mov_b32 s22, 0
	global_store_byte v[0:1], v3, off
.LBB31_424:
	s_andn2_b32 vcc_lo, exec_lo, s22
	s_cbranch_vccnz .LBB31_426
; %bb.425:
	v_trunc_f32_e32 v2, v2
	v_mul_f32_e64 v3, 0x2f800000, |v2|
	v_floor_f32_e32 v3, v3
	v_fma_f32 v3, 0xcf800000, v3, |v2|
	v_ashrrev_i32_e32 v2, 31, v2
	v_cvt_u32_f32_e32 v3, v3
	v_xor_b32_e32 v3, v3, v2
	v_sub_nc_u32_e32 v2, v3, v2
	global_store_byte v[0:1], v2, off
.LBB31_426:
	s_mov_b32 s39, -1
.LBB31_427:
	s_andn2_b32 vcc_lo, exec_lo, s39
	s_cbranch_vccnz .LBB31_429
; %bb.428:
	v_add_nc_u32_e32 v8, 0x80, v8
	s_mov_b32 s22, -1
	s_branch .LBB31_542
.LBB31_429:
	s_mov_b32 s22, 0
	s_branch .LBB31_541
.LBB31_430:
	s_mov_b32 s1, -1
                                        ; implicit-def: $vgpr3
.LBB31_431:
	s_mov_b32 s23, 0
.LBB31_432:
	s_and_b32 vcc_lo, exec_lo, s23
	s_cbranch_vccz .LBB31_436
; %bb.433:
	s_cmp_eq_u32 s0, 29
	s_cbranch_scc0 .LBB31_435
; %bb.434:
	global_load_dwordx2 v[3:4], v[1:2], off
	s_mov_b32 s22, -1
	s_mov_b32 s1, 0
	s_mov_b32 s23, 0
	s_waitcnt vmcnt(0)
	v_ffbh_u32_e32 v5, v4
	v_min_u32_e32 v5, 32, v5
	v_lshlrev_b64 v[3:4], v5, v[3:4]
	v_min_u32_e32 v3, 1, v3
	v_or_b32_e32 v3, v4, v3
	v_sub_nc_u32_e32 v4, 32, v5
	v_cvt_f32_u32_e32 v3, v3
	v_ldexp_f32 v3, v3, v4
	v_bfe_u32 v4, v3, 16, 1
	v_add3_u32 v3, v3, v4, 0x7fff
	v_lshrrev_b32_e32 v3, 16, v3
	s_branch .LBB31_437
.LBB31_435:
	s_mov_b32 s1, -1
                                        ; implicit-def: $vgpr3
.LBB31_436:
	s_mov_b32 s23, 0
.LBB31_437:
	s_and_b32 vcc_lo, exec_lo, s23
	s_cbranch_vccz .LBB31_455
; %bb.438:
	s_cmp_lt_i32 s0, 27
	s_cbranch_scc1 .LBB31_441
; %bb.439:
	s_cmp_gt_i32 s0, 27
	s_cbranch_scc0 .LBB31_442
; %bb.440:
	global_load_dword v3, v[1:2], off
	s_mov_b32 s22, 0
	s_waitcnt vmcnt(0)
	v_cvt_f32_u32_e32 v3, v3
	v_bfe_u32 v4, v3, 16, 1
	v_add3_u32 v3, v3, v4, 0x7fff
	v_lshrrev_b32_e32 v3, 16, v3
	s_branch .LBB31_443
.LBB31_441:
	s_mov_b32 s22, -1
                                        ; implicit-def: $vgpr3
	s_branch .LBB31_446
.LBB31_442:
	s_mov_b32 s22, -1
                                        ; implicit-def: $vgpr3
.LBB31_443:
	s_andn2_b32 vcc_lo, exec_lo, s22
	s_cbranch_vccnz .LBB31_445
; %bb.444:
	global_load_ushort v3, v[1:2], off
	s_waitcnt vmcnt(0)
	v_cvt_f32_u32_e32 v3, v3
	v_bfe_u32 v4, v3, 16, 1
	v_add3_u32 v3, v3, v4, 0x7fff
	v_lshrrev_b32_e32 v3, 16, v3
.LBB31_445:
	s_mov_b32 s22, 0
.LBB31_446:
	s_andn2_b32 vcc_lo, exec_lo, s22
	s_cbranch_vccnz .LBB31_454
; %bb.447:
	global_load_ubyte v3, v[1:2], off
	s_mov_b32 s22, 0
	s_mov_b32 s23, exec_lo
	s_waitcnt vmcnt(0)
	v_cmpx_lt_i16_e32 0x7f, v3
	s_xor_b32 s23, exec_lo, s23
	s_cbranch_execz .LBB31_468
; %bb.448:
	s_mov_b32 s22, -1
	s_mov_b32 s39, exec_lo
	v_cmpx_eq_u16_e32 0x80, v3
; %bb.449:
	s_xor_b32 s22, exec_lo, -1
; %bb.450:
	s_or_b32 exec_lo, exec_lo, s39
	s_and_b32 s22, s22, exec_lo
	s_or_saveexec_b32 s23, s23
	v_mov_b32_e32 v4, 0x7f800001
	s_xor_b32 exec_lo, exec_lo, s23
	s_cbranch_execnz .LBB31_469
.LBB31_451:
	s_or_b32 exec_lo, exec_lo, s23
	s_and_saveexec_b32 s23, s22
	s_cbranch_execz .LBB31_453
.LBB31_452:
	v_and_b32_e32 v4, 0xffff, v3
	v_lshlrev_b32_e32 v3, 24, v3
	v_and_b32_e32 v5, 7, v4
	v_bfe_u32 v9, v4, 3, 4
	v_and_b32_e32 v3, 0x80000000, v3
	v_ffbh_u32_e32 v6, v5
	v_cmp_eq_u32_e32 vcc_lo, 0, v9
	v_min_u32_e32 v6, 32, v6
	v_subrev_nc_u32_e32 v7, 28, v6
	v_sub_nc_u32_e32 v6, 29, v6
	v_lshlrev_b32_e32 v4, v7, v4
	v_cndmask_b32_e32 v6, v9, v6, vcc_lo
	v_and_b32_e32 v4, 7, v4
	v_cndmask_b32_e32 v4, v5, v4, vcc_lo
	v_lshl_add_u32 v5, v6, 23, 0x3b800000
	v_lshlrev_b32_e32 v4, 20, v4
	v_or3_b32 v4, v3, v5, v4
.LBB31_453:
	s_or_b32 exec_lo, exec_lo, s23
	v_bfe_u32 v3, v4, 16, 1
	v_cmp_o_f32_e32 vcc_lo, v4, v4
	v_add3_u32 v3, v4, v3, 0x7fff
	v_mov_b32_e32 v4, 0x7fc0
	v_cndmask_b32_sdwa v3, v4, v3, vcc_lo dst_sel:DWORD dst_unused:UNUSED_PAD src0_sel:DWORD src1_sel:WORD_1
.LBB31_454:
	s_mov_b32 s22, -1
.LBB31_455:
	s_mov_b32 s23, 0
.LBB31_456:
	s_and_b32 vcc_lo, exec_lo, s23
	s_cbranch_vccz .LBB31_491
; %bb.457:
	s_cmp_gt_i32 s0, 22
	s_cbranch_scc0 .LBB31_467
; %bb.458:
	s_cmp_lt_i32 s0, 24
	s_cbranch_scc1 .LBB31_470
; %bb.459:
	s_cmp_gt_i32 s0, 24
	s_cbranch_scc0 .LBB31_471
; %bb.460:
	global_load_ubyte v3, v[1:2], off
	s_mov_b32 s22, 0
	s_mov_b32 s23, exec_lo
	s_waitcnt vmcnt(0)
	v_cmpx_lt_i16_e32 0x7f, v3
	s_xor_b32 s23, exec_lo, s23
	s_cbranch_execz .LBB31_483
; %bb.461:
	s_mov_b32 s22, -1
	s_mov_b32 s39, exec_lo
	v_cmpx_eq_u16_e32 0x80, v3
; %bb.462:
	s_xor_b32 s22, exec_lo, -1
; %bb.463:
	s_or_b32 exec_lo, exec_lo, s39
	s_and_b32 s22, s22, exec_lo
	s_or_saveexec_b32 s23, s23
	v_mov_b32_e32 v4, 0x7f800001
	s_xor_b32 exec_lo, exec_lo, s23
	s_cbranch_execnz .LBB31_484
.LBB31_464:
	s_or_b32 exec_lo, exec_lo, s23
	s_and_saveexec_b32 s23, s22
	s_cbranch_execz .LBB31_466
.LBB31_465:
	v_and_b32_e32 v4, 0xffff, v3
	v_lshlrev_b32_e32 v3, 24, v3
	v_and_b32_e32 v5, 3, v4
	v_bfe_u32 v9, v4, 2, 5
	v_and_b32_e32 v3, 0x80000000, v3
	v_ffbh_u32_e32 v6, v5
	v_cmp_eq_u32_e32 vcc_lo, 0, v9
	v_min_u32_e32 v6, 32, v6
	v_subrev_nc_u32_e32 v7, 29, v6
	v_sub_nc_u32_e32 v6, 30, v6
	v_lshlrev_b32_e32 v4, v7, v4
	v_cndmask_b32_e32 v6, v9, v6, vcc_lo
	v_and_b32_e32 v4, 3, v4
	v_cndmask_b32_e32 v4, v5, v4, vcc_lo
	v_lshl_add_u32 v5, v6, 23, 0x37800000
	v_lshlrev_b32_e32 v4, 21, v4
	v_or3_b32 v4, v3, v5, v4
.LBB31_466:
	s_or_b32 exec_lo, exec_lo, s23
	v_bfe_u32 v3, v4, 16, 1
	v_cmp_o_f32_e32 vcc_lo, v4, v4
	s_mov_b32 s22, 0
	v_add3_u32 v3, v4, v3, 0x7fff
	v_mov_b32_e32 v4, 0x7fc0
	v_cndmask_b32_sdwa v3, v4, v3, vcc_lo dst_sel:DWORD dst_unused:UNUSED_PAD src0_sel:DWORD src1_sel:WORD_1
	s_branch .LBB31_472
.LBB31_467:
	s_mov_b32 s23, -1
                                        ; implicit-def: $vgpr3
	s_branch .LBB31_478
.LBB31_468:
	s_or_saveexec_b32 s23, s23
	v_mov_b32_e32 v4, 0x7f800001
	s_xor_b32 exec_lo, exec_lo, s23
	s_cbranch_execz .LBB31_451
.LBB31_469:
	v_cmp_ne_u16_e32 vcc_lo, 0, v3
	v_mov_b32_e32 v4, 0
	s_andn2_b32 s22, s22, exec_lo
	s_and_b32 s39, vcc_lo, exec_lo
	s_or_b32 s22, s22, s39
	s_or_b32 exec_lo, exec_lo, s23
	s_and_saveexec_b32 s23, s22
	s_cbranch_execnz .LBB31_452
	s_branch .LBB31_453
.LBB31_470:
	s_mov_b32 s22, -1
                                        ; implicit-def: $vgpr3
	s_branch .LBB31_475
.LBB31_471:
	s_mov_b32 s22, -1
                                        ; implicit-def: $vgpr3
.LBB31_472:
	s_and_b32 vcc_lo, exec_lo, s22
	s_cbranch_vccz .LBB31_474
; %bb.473:
	global_load_ubyte v3, v[1:2], off
	s_waitcnt vmcnt(0)
	v_lshlrev_b32_e32 v3, 24, v3
	v_and_b32_e32 v4, 0x7f000000, v3
	v_ffbh_u32_e32 v5, v4
	v_add_nc_u32_e32 v7, 0x1000000, v4
	v_cmp_ne_u32_e32 vcc_lo, 0, v4
	v_min_u32_e32 v5, 32, v5
	v_sub_nc_u32_e64 v5, v5, 4 clamp
	v_lshlrev_b32_e32 v6, v5, v4
	v_lshlrev_b32_e32 v5, 23, v5
	v_lshrrev_b32_e32 v6, 4, v6
	v_sub_nc_u32_e32 v5, v6, v5
	v_ashrrev_i32_e32 v6, 8, v7
	v_add_nc_u32_e32 v5, 0x3c000000, v5
	v_and_or_b32 v5, 0x7f800000, v6, v5
	v_cndmask_b32_e32 v4, 0, v5, vcc_lo
	v_and_or_b32 v3, 0x80000000, v3, v4
	v_bfe_u32 v4, v4, 16, 1
	v_cmp_o_f32_e32 vcc_lo, v3, v3
	v_add3_u32 v3, v3, v4, 0x7fff
	v_mov_b32_e32 v4, 0x7fc0
	v_cndmask_b32_sdwa v3, v4, v3, vcc_lo dst_sel:DWORD dst_unused:UNUSED_PAD src0_sel:DWORD src1_sel:WORD_1
.LBB31_474:
	s_mov_b32 s22, 0
.LBB31_475:
	s_andn2_b32 vcc_lo, exec_lo, s22
	s_cbranch_vccnz .LBB31_477
; %bb.476:
	global_load_ubyte v3, v[1:2], off
	s_waitcnt vmcnt(0)
	v_lshlrev_b32_e32 v4, 25, v3
	v_lshlrev_b16 v3, 8, v3
	v_lshrrev_b32_e32 v5, 4, v4
	v_and_or_b32 v6, 0x7f00, v3, 0.5
	v_cmp_gt_u32_e32 vcc_lo, 0x8000000, v4
	v_bfe_i32 v3, v3, 0, 16
	v_or_b32_e32 v5, 0x70000000, v5
	v_add_f32_e32 v6, -0.5, v6
	v_mul_f32_e32 v5, 0x7800000, v5
	v_cndmask_b32_e32 v4, v5, v6, vcc_lo
	v_and_or_b32 v3, 0x80000000, v3, v4
	v_bfe_u32 v4, v4, 16, 1
	v_cmp_o_f32_e32 vcc_lo, v3, v3
	v_add3_u32 v3, v3, v4, 0x7fff
	v_mov_b32_e32 v4, 0x7fc0
	v_cndmask_b32_sdwa v3, v4, v3, vcc_lo dst_sel:DWORD dst_unused:UNUSED_PAD src0_sel:DWORD src1_sel:WORD_1
.LBB31_477:
	s_mov_b32 s23, 0
	s_mov_b32 s22, -1
.LBB31_478:
	s_andn2_b32 vcc_lo, exec_lo, s23
	s_cbranch_vccnz .LBB31_491
; %bb.479:
	s_cmp_gt_i32 s0, 14
	s_cbranch_scc0 .LBB31_482
; %bb.480:
	s_cmp_eq_u32 s0, 15
	s_cbranch_scc0 .LBB31_485
; %bb.481:
	global_load_ushort v3, v[1:2], off
	s_mov_b32 s22, -1
	s_mov_b32 s1, 0
	s_branch .LBB31_486
.LBB31_482:
	s_mov_b32 s23, -1
                                        ; implicit-def: $vgpr3
	s_branch .LBB31_487
.LBB31_483:
	s_or_saveexec_b32 s23, s23
	v_mov_b32_e32 v4, 0x7f800001
	s_xor_b32 exec_lo, exec_lo, s23
	s_cbranch_execz .LBB31_464
.LBB31_484:
	v_cmp_ne_u16_e32 vcc_lo, 0, v3
	v_mov_b32_e32 v4, 0
	s_andn2_b32 s22, s22, exec_lo
	s_and_b32 s39, vcc_lo, exec_lo
	s_or_b32 s22, s22, s39
	s_or_b32 exec_lo, exec_lo, s23
	s_and_saveexec_b32 s23, s22
	s_cbranch_execnz .LBB31_465
	s_branch .LBB31_466
.LBB31_485:
	s_mov_b32 s1, -1
                                        ; implicit-def: $vgpr3
.LBB31_486:
	s_mov_b32 s23, 0
.LBB31_487:
	s_and_b32 vcc_lo, exec_lo, s23
	s_cbranch_vccz .LBB31_491
; %bb.488:
	s_cmp_eq_u32 s0, 11
	s_cbranch_scc0 .LBB31_490
; %bb.489:
	global_load_ubyte v3, v[1:2], off
	s_mov_b32 s1, 0
	s_mov_b32 s22, -1
	s_waitcnt vmcnt(0)
	v_cmp_ne_u16_e32 vcc_lo, 0, v3
	v_cndmask_b32_e64 v3, 0, 1.0, vcc_lo
	v_lshrrev_b32_e32 v3, 16, v3
	s_branch .LBB31_491
.LBB31_490:
	s_mov_b32 s1, -1
                                        ; implicit-def: $vgpr3
.LBB31_491:
	s_branch .LBB31_293
.LBB31_492:
	s_cmp_lt_i32 s0, 5
	s_cbranch_scc1 .LBB31_497
; %bb.493:
	s_cmp_lt_i32 s0, 8
	s_cbranch_scc1 .LBB31_498
; %bb.494:
	;; [unrolled: 3-line block ×3, first 2 shown]
	s_cmp_gt_i32 s0, 9
	s_cbranch_scc0 .LBB31_500
; %bb.496:
	global_load_dwordx2 v[3:4], v[1:2], off
	s_mov_b32 s22, 0
	s_waitcnt vmcnt(0)
	v_cvt_f32_f64_e32 v3, v[3:4]
	v_bfe_u32 v4, v3, 16, 1
	v_cmp_o_f32_e32 vcc_lo, v3, v3
	v_add3_u32 v3, v3, v4, 0x7fff
	v_mov_b32_e32 v4, 0x7fc0
	v_cndmask_b32_sdwa v3, v4, v3, vcc_lo dst_sel:DWORD dst_unused:UNUSED_PAD src0_sel:DWORD src1_sel:WORD_1
	s_branch .LBB31_501
.LBB31_497:
	s_mov_b32 s22, -1
                                        ; implicit-def: $vgpr3
	s_branch .LBB31_519
.LBB31_498:
	s_mov_b32 s22, -1
                                        ; implicit-def: $vgpr3
	s_branch .LBB31_507
.LBB31_499:
	s_mov_b32 s22, -1
                                        ; implicit-def: $vgpr3
	s_branch .LBB31_504
.LBB31_500:
	s_mov_b32 s22, -1
                                        ; implicit-def: $vgpr3
.LBB31_501:
	s_andn2_b32 vcc_lo, exec_lo, s22
	s_cbranch_vccnz .LBB31_503
; %bb.502:
	global_load_dword v3, v[1:2], off
	s_waitcnt vmcnt(0)
	v_bfe_u32 v4, v3, 16, 1
	v_cmp_o_f32_e32 vcc_lo, v3, v3
	v_add3_u32 v3, v3, v4, 0x7fff
	v_mov_b32_e32 v4, 0x7fc0
	v_cndmask_b32_sdwa v3, v4, v3, vcc_lo dst_sel:DWORD dst_unused:UNUSED_PAD src0_sel:DWORD src1_sel:WORD_1
.LBB31_503:
	s_mov_b32 s22, 0
.LBB31_504:
	s_andn2_b32 vcc_lo, exec_lo, s22
	s_cbranch_vccnz .LBB31_506
; %bb.505:
	global_load_dword v3, v[1:2], off
	s_waitcnt vmcnt(0)
	v_cvt_f32_f16_e32 v4, v3
	v_cmp_o_f16_e32 vcc_lo, v3, v3
	v_bfe_u32 v5, v4, 16, 1
	v_add3_u32 v3, v4, v5, 0x7fff
	v_mov_b32_e32 v4, 0x7fc0
	v_cndmask_b32_sdwa v3, v4, v3, vcc_lo dst_sel:DWORD dst_unused:UNUSED_PAD src0_sel:DWORD src1_sel:WORD_1
.LBB31_506:
	s_mov_b32 s22, 0
.LBB31_507:
	s_andn2_b32 vcc_lo, exec_lo, s22
	s_cbranch_vccnz .LBB31_518
; %bb.508:
	s_cmp_lt_i32 s0, 6
	s_cbranch_scc1 .LBB31_511
; %bb.509:
	s_cmp_gt_i32 s0, 6
	s_cbranch_scc0 .LBB31_512
; %bb.510:
	global_load_dwordx2 v[3:4], v[1:2], off
	s_mov_b32 s22, 0
	s_waitcnt vmcnt(0)
	v_cvt_f32_f64_e32 v3, v[3:4]
	v_bfe_u32 v4, v3, 16, 1
	v_cmp_o_f32_e32 vcc_lo, v3, v3
	v_add3_u32 v3, v3, v4, 0x7fff
	v_mov_b32_e32 v4, 0x7fc0
	v_cndmask_b32_sdwa v3, v4, v3, vcc_lo dst_sel:DWORD dst_unused:UNUSED_PAD src0_sel:DWORD src1_sel:WORD_1
	s_branch .LBB31_513
.LBB31_511:
	s_mov_b32 s22, -1
                                        ; implicit-def: $vgpr3
	s_branch .LBB31_516
.LBB31_512:
	s_mov_b32 s22, -1
                                        ; implicit-def: $vgpr3
.LBB31_513:
	s_andn2_b32 vcc_lo, exec_lo, s22
	s_cbranch_vccnz .LBB31_515
; %bb.514:
	global_load_dword v3, v[1:2], off
	s_waitcnt vmcnt(0)
	v_bfe_u32 v4, v3, 16, 1
	v_cmp_o_f32_e32 vcc_lo, v3, v3
	v_add3_u32 v3, v3, v4, 0x7fff
	v_mov_b32_e32 v4, 0x7fc0
	v_cndmask_b32_sdwa v3, v4, v3, vcc_lo dst_sel:DWORD dst_unused:UNUSED_PAD src0_sel:DWORD src1_sel:WORD_1
.LBB31_515:
	s_mov_b32 s22, 0
.LBB31_516:
	s_andn2_b32 vcc_lo, exec_lo, s22
	s_cbranch_vccnz .LBB31_518
; %bb.517:
	global_load_ushort v3, v[1:2], off
	s_waitcnt vmcnt(0)
	v_cvt_f32_f16_e32 v4, v3
	v_cmp_o_f16_e32 vcc_lo, v3, v3
	v_bfe_u32 v5, v4, 16, 1
	v_add3_u32 v3, v4, v5, 0x7fff
	v_mov_b32_e32 v4, 0x7fc0
	v_cndmask_b32_sdwa v3, v4, v3, vcc_lo dst_sel:DWORD dst_unused:UNUSED_PAD src0_sel:DWORD src1_sel:WORD_1
.LBB31_518:
	s_mov_b32 s22, 0
.LBB31_519:
	s_andn2_b32 vcc_lo, exec_lo, s22
	s_cbranch_vccnz .LBB31_539
; %bb.520:
	s_cmp_lt_i32 s0, 2
	s_cbranch_scc1 .LBB31_524
; %bb.521:
	s_cmp_lt_i32 s0, 3
	s_cbranch_scc1 .LBB31_525
; %bb.522:
	s_cmp_gt_i32 s0, 3
	s_cbranch_scc0 .LBB31_526
; %bb.523:
	global_load_dwordx2 v[3:4], v[1:2], off
	s_mov_b32 s22, 0
	s_waitcnt vmcnt(0)
	v_xor_b32_e32 v5, v3, v4
	v_ffbh_i32_e32 v6, v4
	v_ashrrev_i32_e32 v5, 31, v5
	v_add_nc_u32_e32 v6, -1, v6
	v_add_nc_u32_e32 v5, 32, v5
	v_min_u32_e32 v5, v6, v5
	v_lshlrev_b64 v[3:4], v5, v[3:4]
	v_min_u32_e32 v3, 1, v3
	v_or_b32_e32 v3, v4, v3
	v_sub_nc_u32_e32 v4, 32, v5
	v_cvt_f32_i32_e32 v3, v3
	v_ldexp_f32 v3, v3, v4
	v_bfe_u32 v4, v3, 16, 1
	v_add3_u32 v3, v3, v4, 0x7fff
	v_lshrrev_b32_e32 v3, 16, v3
	s_branch .LBB31_527
.LBB31_524:
	s_mov_b32 s22, -1
                                        ; implicit-def: $vgpr3
	s_branch .LBB31_533
.LBB31_525:
	s_mov_b32 s22, -1
                                        ; implicit-def: $vgpr3
	s_branch .LBB31_530
.LBB31_526:
	s_mov_b32 s22, -1
                                        ; implicit-def: $vgpr3
.LBB31_527:
	s_andn2_b32 vcc_lo, exec_lo, s22
	s_cbranch_vccnz .LBB31_529
; %bb.528:
	global_load_dword v3, v[1:2], off
	s_waitcnt vmcnt(0)
	v_cvt_f32_i32_e32 v3, v3
	v_bfe_u32 v4, v3, 16, 1
	v_add3_u32 v3, v3, v4, 0x7fff
	v_lshrrev_b32_e32 v3, 16, v3
.LBB31_529:
	s_mov_b32 s22, 0
.LBB31_530:
	s_andn2_b32 vcc_lo, exec_lo, s22
	s_cbranch_vccnz .LBB31_532
; %bb.531:
	global_load_sshort v3, v[1:2], off
	s_waitcnt vmcnt(0)
	v_cvt_f32_i32_e32 v3, v3
	v_bfe_u32 v4, v3, 16, 1
	v_add3_u32 v3, v3, v4, 0x7fff
	v_lshrrev_b32_e32 v3, 16, v3
.LBB31_532:
	s_mov_b32 s22, 0
.LBB31_533:
	s_andn2_b32 vcc_lo, exec_lo, s22
	s_cbranch_vccnz .LBB31_539
; %bb.534:
	s_cmp_gt_i32 s0, 0
	s_mov_b32 s0, 0
	s_cbranch_scc0 .LBB31_536
; %bb.535:
	global_load_sbyte v3, v[1:2], off
	s_waitcnt vmcnt(0)
	v_cvt_f32_i32_e32 v3, v3
	v_bfe_u32 v4, v3, 16, 1
	v_add3_u32 v3, v3, v4, 0x7fff
	v_lshrrev_b32_e32 v3, 16, v3
	s_branch .LBB31_537
.LBB31_536:
	s_mov_b32 s0, -1
                                        ; implicit-def: $vgpr3
.LBB31_537:
	s_andn2_b32 vcc_lo, exec_lo, s0
	s_cbranch_vccnz .LBB31_539
; %bb.538:
	global_load_ubyte v1, v[1:2], off
	s_waitcnt vmcnt(0)
	v_cvt_f32_ubyte0_e32 v1, v1
	v_bfe_u32 v2, v1, 16, 1
	v_add3_u32 v1, v1, v2, 0x7fff
	v_lshrrev_b32_e32 v3, 16, v1
.LBB31_539:
	s_branch .LBB31_294
.LBB31_540:
	s_mov_b32 s22, 0
	s_mov_b32 s0, s36
.LBB31_541:
                                        ; implicit-def: $vgpr8
.LBB31_542:
	s_andn2_b32 s23, s36, exec_lo
	s_and_b32 s0, s0, exec_lo
	s_andn2_b32 s39, s37, exec_lo
	s_and_b32 s1, s1, exec_lo
	s_or_b32 s40, s23, s0
	s_or_b32 s39, s39, s1
	s_orn2_b32 s0, s22, exec_lo
.LBB31_543:
	s_or_b32 exec_lo, exec_lo, s41
	s_mov_b32 s1, 0
	s_mov_b32 s23, 0
	;; [unrolled: 1-line block ×3, first 2 shown]
                                        ; implicit-def: $vgpr1_vgpr2
                                        ; implicit-def: $vgpr0
                                        ; implicit-def: $vgpr4
	s_and_saveexec_b32 s41, s0
	s_cbranch_execz .LBB31_920
; %bb.544:
	s_mov_b32 s44, -1
	s_mov_b32 s22, s39
	s_mov_b32 s23, s40
	s_mov_b32 s42, exec_lo
	v_cmpx_gt_i32_e64 s33, v8
	s_cbranch_execz .LBB31_819
; %bb.545:
	s_andn2_b32 vcc_lo, exec_lo, s27
	s_cbranch_vccnz .LBB31_550
; %bb.546:
	s_andn2_b32 vcc_lo, exec_lo, s34
	s_cbranch_vccnz .LBB31_551
; %bb.547:
	s_add_i32 s44, s35, 1
	s_cmp_eq_u32 s25, 2
	s_cbranch_scc1 .LBB31_552
; %bb.548:
	v_mov_b32_e32 v2, 0
	v_mov_b32_e32 v0, 0
	;; [unrolled: 1-line block ×3, first 2 shown]
	s_and_b32 s43, s44, 28
	s_mov_b32 s45, 0
	s_mov_b64 s[0:1], s[2:3]
	s_mov_b64 s[22:23], s[20:21]
.LBB31_549:                             ; =>This Inner Loop Header: Depth=1
	s_clause 0x1
	s_load_dwordx8 s[48:55], s[0:1], 0x4
	s_load_dwordx4 s[64:67], s[0:1], 0x24
	s_load_dwordx8 s[56:63], s[22:23], 0x0
	s_add_u32 s0, s0, 48
	s_addc_u32 s1, s1, 0
	s_add_i32 s45, s45, 4
	s_add_u32 s22, s22, 32
	s_addc_u32 s23, s23, 0
	s_cmp_eq_u32 s43, s45
	s_waitcnt vmcnt(0) lgkmcnt(0)
	v_mul_hi_u32 v3, s49, v1
	v_add_nc_u32_e32 v3, v1, v3
	v_lshrrev_b32_e32 v3, s50, v3
	v_mul_hi_u32 v4, s52, v3
	v_mul_lo_u32 v6, v3, s48
	v_add_nc_u32_e32 v4, v3, v4
	v_sub_nc_u32_e32 v1, v1, v6
	v_lshrrev_b32_e32 v4, s53, v4
	v_mul_lo_u32 v6, v1, s56
	v_mul_lo_u32 v9, v1, s57
	v_mul_hi_u32 v5, s55, v4
	v_add_nc_u32_e32 v5, v4, v5
	v_lshrrev_b32_e32 v5, s64, v5
	v_mul_hi_u32 v7, s66, v5
	v_mul_lo_u32 v10, v5, s54
	v_add_nc_u32_e32 v1, v5, v7
	v_mul_lo_u32 v7, v4, s51
	v_sub_nc_u32_e32 v4, v4, v10
	v_lshrrev_b32_e32 v1, s67, v1
	v_mul_lo_u32 v10, v4, s60
	v_mul_lo_u32 v4, v4, s61
	v_sub_nc_u32_e32 v3, v3, v7
	v_mul_lo_u32 v11, v1, s65
	v_mul_lo_u32 v7, v3, s58
	;; [unrolled: 1-line block ×3, first 2 shown]
	v_sub_nc_u32_e32 v5, v5, v11
	v_add3_u32 v0, v6, v0, v7
	v_mul_lo_u32 v11, v5, s62
	v_mul_lo_u32 v5, v5, s63
	v_add3_u32 v2, v9, v2, v3
	v_add3_u32 v0, v10, v0, v11
	;; [unrolled: 1-line block ×3, first 2 shown]
	s_cbranch_scc0 .LBB31_549
	s_branch .LBB31_553
.LBB31_550:
	s_mov_b32 s0, -1
                                        ; implicit-def: $vgpr0
                                        ; implicit-def: $vgpr2
	s_branch .LBB31_557
.LBB31_551:
	v_mov_b32_e32 v0, 0
	v_mov_b32_e32 v2, 0
	s_branch .LBB31_556
.LBB31_552:
	v_mov_b32_e32 v0, 0
	v_mov_b32_e32 v2, 0
	;; [unrolled: 1-line block ×3, first 2 shown]
	s_mov_b32 s43, 0
.LBB31_553:
	s_and_b32 s44, s44, 3
	s_cmp_eq_u32 s44, 0
	s_cbranch_scc1 .LBB31_556
; %bb.554:
	s_lshl_b32 s0, s43, 3
	s_mul_i32 s22, s43, 12
	s_add_u32 s0, s2, s0
	s_addc_u32 s1, s3, 0
	s_add_u32 s0, s0, 0xc4
	s_addc_u32 s1, s1, 0
	;; [unrolled: 2-line block ×3, first 2 shown]
	.p2align	6
.LBB31_555:                             ; =>This Inner Loop Header: Depth=1
	s_clause 0x1
	s_load_dwordx2 s[46:47], s[22:23], 0x4
	s_load_dword s43, s[22:23], 0xc
	s_load_dwordx2 s[48:49], s[0:1], 0x0
	s_add_u32 s22, s22, 12
	s_addc_u32 s23, s23, 0
	s_add_u32 s0, s0, 8
	s_addc_u32 s1, s1, 0
	s_add_i32 s44, s44, -1
	s_cmp_lg_u32 s44, 0
	s_waitcnt vmcnt(0) lgkmcnt(0)
	v_mul_hi_u32 v3, s47, v1
	v_add_nc_u32_e32 v3, v1, v3
	v_lshrrev_b32_e32 v4, s43, v3
	v_mul_lo_u32 v3, v4, s46
	v_sub_nc_u32_e32 v3, v1, v3
	v_mad_u64_u32 v[0:1], null, v3, s48, v[0:1]
	v_mad_u64_u32 v[2:3], null, v3, s49, v[2:3]
	v_mov_b32_e32 v1, v4
	s_cbranch_scc1 .LBB31_555
.LBB31_556:
	s_mov_b32 s0, 0
.LBB31_557:
	s_andn2_b32 vcc_lo, exec_lo, s0
	s_cbranch_vccnz .LBB31_560
; %bb.558:
	s_waitcnt lgkmcnt(0)
	v_mul_hi_u32 v0, s17, v8
	s_andn2_b32 vcc_lo, exec_lo, s31
	v_add_nc_u32_e32 v0, v8, v0
	v_lshrrev_b32_e32 v1, s18, v0
	v_mul_lo_u32 v0, v1, s16
	v_sub_nc_u32_e32 v2, v8, v0
	v_mul_lo_u32 v0, v2, s12
	v_mul_lo_u32 v2, v2, s13
	s_cbranch_vccnz .LBB31_560
; %bb.559:
	s_waitcnt vmcnt(0)
	v_mul_hi_u32 v3, s6, v1
	v_add_nc_u32_e32 v3, v1, v3
	v_lshrrev_b32_e32 v3, s7, v3
	v_mul_lo_u32 v3, v3, s19
	v_sub_nc_u32_e32 v3, v1, v3
	v_mad_u64_u32 v[0:1], null, v3, s14, v[0:1]
	v_mad_u64_u32 v[2:3], null, v3, s15, v[2:3]
.LBB31_560:
	s_waitcnt lgkmcnt(0)
	v_add_co_u32 v1, s0, s10, v2
	v_add_co_ci_u32_e64 v2, null, s11, 0, s0
	s_and_b32 s0, 0xffff, s30
	s_cmp_lt_i32 s0, 11
	s_cbranch_scc1 .LBB31_567
; %bb.561:
	s_cmp_gt_i32 s0, 25
	s_cbranch_scc0 .LBB31_568
; %bb.562:
	s_cmp_gt_i32 s0, 28
	s_cbranch_scc0 .LBB31_569
	;; [unrolled: 3-line block ×4, first 2 shown]
; %bb.565:
	s_cmp_eq_u32 s0, 46
	s_mov_b32 s23, 0
	s_cbranch_scc0 .LBB31_576
; %bb.566:
	global_load_dword v3, v[1:2], off
	s_mov_b32 s22, -1
	s_mov_b32 s1, 0
	s_branch .LBB31_578
.LBB31_567:
	s_mov_b32 s23, -1
	s_mov_b32 s22, 0
	s_mov_b32 s1, s39
                                        ; implicit-def: $vgpr3
	s_branch .LBB31_643
.LBB31_568:
	s_mov_b32 s23, -1
	s_mov_b32 s22, 0
	s_mov_b32 s1, s39
                                        ; implicit-def: $vgpr3
	s_branch .LBB31_607
.LBB31_569:
	s_mov_b32 s23, -1
	s_mov_b32 s22, 0
	s_mov_b32 s1, s39
                                        ; implicit-def: $vgpr3
	s_branch .LBB31_588
.LBB31_570:
	s_mov_b32 s23, -1
	s_mov_b32 s22, 0
	s_mov_b32 s1, s39
                                        ; implicit-def: $vgpr3
	s_branch .LBB31_583
.LBB31_571:
	s_andn2_saveexec_b32 s42, s42
	s_cbranch_execz .LBB31_340
.LBB31_572:
	v_add_f32_e64 v4, 0x46000000, |v5|
	s_andn2_b32 s40, s40, exec_lo
	v_and_b32_e32 v4, 0xff, v4
	v_cmp_ne_u32_e32 vcc_lo, 0, v4
	s_and_b32 s43, vcc_lo, exec_lo
	s_or_b32 s40, s40, s43
	s_or_b32 exec_lo, exec_lo, s42
	v_mov_b32_e32 v6, 0
	s_and_saveexec_b32 s42, s40
	s_cbranch_execnz .LBB31_341
	s_branch .LBB31_342
.LBB31_573:
	s_mov_b32 s23, -1
	s_mov_b32 s22, 0
	s_mov_b32 s1, s39
	s_branch .LBB31_577
.LBB31_574:
	s_andn2_saveexec_b32 s42, s42
	s_cbranch_execz .LBB31_353
.LBB31_575:
	v_add_f32_e64 v4, 0x42800000, |v5|
	s_andn2_b32 s40, s40, exec_lo
	v_and_b32_e32 v4, 0xff, v4
	v_cmp_ne_u32_e32 vcc_lo, 0, v4
	s_and_b32 s43, vcc_lo, exec_lo
	s_or_b32 s40, s40, s43
	s_or_b32 exec_lo, exec_lo, s42
	v_mov_b32_e32 v6, 0
	s_and_saveexec_b32 s42, s40
	s_cbranch_execnz .LBB31_354
	s_branch .LBB31_355
.LBB31_576:
	s_mov_b32 s1, -1
	s_mov_b32 s22, 0
.LBB31_577:
                                        ; implicit-def: $vgpr3
.LBB31_578:
	s_and_b32 vcc_lo, exec_lo, s23
	s_cbranch_vccz .LBB31_582
; %bb.579:
	s_cmp_eq_u32 s0, 44
	s_cbranch_scc0 .LBB31_581
; %bb.580:
	global_load_ubyte v3, v[1:2], off
	s_mov_b32 s1, 0
	s_mov_b32 s22, -1
	s_waitcnt vmcnt(0)
	v_lshlrev_b32_e32 v4, 23, v3
	v_cmp_ne_u32_e32 vcc_lo, 0xff, v3
	v_cndmask_b32_e32 v4, 0x7f800001, v4, vcc_lo
	v_cmp_ne_u32_e32 vcc_lo, 0, v3
	v_cndmask_b32_e32 v3, 0x400000, v4, vcc_lo
	v_mov_b32_e32 v4, 0x7fc0
	v_cmp_o_f32_e32 vcc_lo, v3, v3
	v_add_nc_u32_e32 v3, 0x7fff, v3
	v_cndmask_b32_sdwa v3, v4, v3, vcc_lo dst_sel:DWORD dst_unused:UNUSED_PAD src0_sel:DWORD src1_sel:WORD_1
	s_branch .LBB31_582
.LBB31_581:
	s_mov_b32 s1, -1
                                        ; implicit-def: $vgpr3
.LBB31_582:
	s_mov_b32 s23, 0
.LBB31_583:
	s_and_b32 vcc_lo, exec_lo, s23
	s_cbranch_vccz .LBB31_587
; %bb.584:
	s_cmp_eq_u32 s0, 29
	s_cbranch_scc0 .LBB31_586
; %bb.585:
	global_load_dwordx2 v[3:4], v[1:2], off
	s_mov_b32 s22, -1
	s_mov_b32 s1, 0
	s_mov_b32 s23, 0
	s_waitcnt vmcnt(0)
	v_ffbh_u32_e32 v5, v4
	v_min_u32_e32 v5, 32, v5
	v_lshlrev_b64 v[3:4], v5, v[3:4]
	v_min_u32_e32 v3, 1, v3
	v_or_b32_e32 v3, v4, v3
	v_sub_nc_u32_e32 v4, 32, v5
	v_cvt_f32_u32_e32 v3, v3
	v_ldexp_f32 v3, v3, v4
	v_bfe_u32 v4, v3, 16, 1
	v_add3_u32 v3, v3, v4, 0x7fff
	v_lshrrev_b32_e32 v3, 16, v3
	s_branch .LBB31_588
.LBB31_586:
	s_mov_b32 s1, -1
                                        ; implicit-def: $vgpr3
.LBB31_587:
	s_mov_b32 s23, 0
.LBB31_588:
	s_and_b32 vcc_lo, exec_lo, s23
	s_cbranch_vccz .LBB31_606
; %bb.589:
	s_cmp_lt_i32 s0, 27
	s_cbranch_scc1 .LBB31_592
; %bb.590:
	s_cmp_gt_i32 s0, 27
	s_cbranch_scc0 .LBB31_593
; %bb.591:
	global_load_dword v3, v[1:2], off
	s_mov_b32 s22, 0
	s_waitcnt vmcnt(0)
	v_cvt_f32_u32_e32 v3, v3
	v_bfe_u32 v4, v3, 16, 1
	v_add3_u32 v3, v3, v4, 0x7fff
	v_lshrrev_b32_e32 v3, 16, v3
	s_branch .LBB31_594
.LBB31_592:
	s_mov_b32 s22, -1
                                        ; implicit-def: $vgpr3
	s_branch .LBB31_597
.LBB31_593:
	s_mov_b32 s22, -1
                                        ; implicit-def: $vgpr3
.LBB31_594:
	s_andn2_b32 vcc_lo, exec_lo, s22
	s_cbranch_vccnz .LBB31_596
; %bb.595:
	global_load_ushort v3, v[1:2], off
	s_waitcnt vmcnt(0)
	v_cvt_f32_u32_e32 v3, v3
	v_bfe_u32 v4, v3, 16, 1
	v_add3_u32 v3, v3, v4, 0x7fff
	v_lshrrev_b32_e32 v3, 16, v3
.LBB31_596:
	s_mov_b32 s22, 0
.LBB31_597:
	s_andn2_b32 vcc_lo, exec_lo, s22
	s_cbranch_vccnz .LBB31_605
; %bb.598:
	global_load_ubyte v3, v[1:2], off
	s_mov_b32 s22, 0
	s_mov_b32 s23, exec_lo
	s_waitcnt vmcnt(0)
	v_cmpx_lt_i16_e32 0x7f, v3
	s_xor_b32 s23, exec_lo, s23
	s_cbranch_execz .LBB31_619
; %bb.599:
	s_mov_b32 s22, -1
	s_mov_b32 s43, exec_lo
	v_cmpx_eq_u16_e32 0x80, v3
; %bb.600:
	s_xor_b32 s22, exec_lo, -1
; %bb.601:
	s_or_b32 exec_lo, exec_lo, s43
	s_and_b32 s22, s22, exec_lo
	s_or_saveexec_b32 s23, s23
	v_mov_b32_e32 v4, 0x7f800001
	s_xor_b32 exec_lo, exec_lo, s23
	s_cbranch_execnz .LBB31_620
.LBB31_602:
	s_or_b32 exec_lo, exec_lo, s23
	s_and_saveexec_b32 s23, s22
	s_cbranch_execz .LBB31_604
.LBB31_603:
	v_and_b32_e32 v4, 0xffff, v3
	v_lshlrev_b32_e32 v3, 24, v3
	v_and_b32_e32 v5, 7, v4
	v_bfe_u32 v9, v4, 3, 4
	v_and_b32_e32 v3, 0x80000000, v3
	v_ffbh_u32_e32 v6, v5
	v_cmp_eq_u32_e32 vcc_lo, 0, v9
	v_min_u32_e32 v6, 32, v6
	v_subrev_nc_u32_e32 v7, 28, v6
	v_sub_nc_u32_e32 v6, 29, v6
	v_lshlrev_b32_e32 v4, v7, v4
	v_cndmask_b32_e32 v6, v9, v6, vcc_lo
	v_and_b32_e32 v4, 7, v4
	v_cndmask_b32_e32 v4, v5, v4, vcc_lo
	v_lshl_add_u32 v5, v6, 23, 0x3b800000
	v_lshlrev_b32_e32 v4, 20, v4
	v_or3_b32 v4, v3, v5, v4
.LBB31_604:
	s_or_b32 exec_lo, exec_lo, s23
	v_bfe_u32 v3, v4, 16, 1
	v_cmp_o_f32_e32 vcc_lo, v4, v4
	v_add3_u32 v3, v4, v3, 0x7fff
	v_mov_b32_e32 v4, 0x7fc0
	v_cndmask_b32_sdwa v3, v4, v3, vcc_lo dst_sel:DWORD dst_unused:UNUSED_PAD src0_sel:DWORD src1_sel:WORD_1
.LBB31_605:
	s_mov_b32 s22, -1
.LBB31_606:
	s_mov_b32 s23, 0
.LBB31_607:
	s_and_b32 vcc_lo, exec_lo, s23
	s_cbranch_vccz .LBB31_642
; %bb.608:
	s_cmp_gt_i32 s0, 22
	s_cbranch_scc0 .LBB31_618
; %bb.609:
	s_cmp_lt_i32 s0, 24
	s_cbranch_scc1 .LBB31_621
; %bb.610:
	s_cmp_gt_i32 s0, 24
	s_cbranch_scc0 .LBB31_622
; %bb.611:
	global_load_ubyte v3, v[1:2], off
	s_mov_b32 s22, 0
	s_mov_b32 s23, exec_lo
	s_waitcnt vmcnt(0)
	v_cmpx_lt_i16_e32 0x7f, v3
	s_xor_b32 s23, exec_lo, s23
	s_cbranch_execz .LBB31_634
; %bb.612:
	s_mov_b32 s22, -1
	s_mov_b32 s43, exec_lo
	v_cmpx_eq_u16_e32 0x80, v3
; %bb.613:
	s_xor_b32 s22, exec_lo, -1
; %bb.614:
	s_or_b32 exec_lo, exec_lo, s43
	s_and_b32 s22, s22, exec_lo
	s_or_saveexec_b32 s23, s23
	v_mov_b32_e32 v4, 0x7f800001
	s_xor_b32 exec_lo, exec_lo, s23
	s_cbranch_execnz .LBB31_635
.LBB31_615:
	s_or_b32 exec_lo, exec_lo, s23
	s_and_saveexec_b32 s23, s22
	s_cbranch_execz .LBB31_617
.LBB31_616:
	v_and_b32_e32 v4, 0xffff, v3
	v_lshlrev_b32_e32 v3, 24, v3
	v_and_b32_e32 v5, 3, v4
	v_bfe_u32 v9, v4, 2, 5
	v_and_b32_e32 v3, 0x80000000, v3
	v_ffbh_u32_e32 v6, v5
	v_cmp_eq_u32_e32 vcc_lo, 0, v9
	v_min_u32_e32 v6, 32, v6
	v_subrev_nc_u32_e32 v7, 29, v6
	v_sub_nc_u32_e32 v6, 30, v6
	v_lshlrev_b32_e32 v4, v7, v4
	v_cndmask_b32_e32 v6, v9, v6, vcc_lo
	v_and_b32_e32 v4, 3, v4
	v_cndmask_b32_e32 v4, v5, v4, vcc_lo
	v_lshl_add_u32 v5, v6, 23, 0x37800000
	v_lshlrev_b32_e32 v4, 21, v4
	v_or3_b32 v4, v3, v5, v4
.LBB31_617:
	s_or_b32 exec_lo, exec_lo, s23
	v_bfe_u32 v3, v4, 16, 1
	v_cmp_o_f32_e32 vcc_lo, v4, v4
	s_mov_b32 s22, 0
	v_add3_u32 v3, v4, v3, 0x7fff
	v_mov_b32_e32 v4, 0x7fc0
	v_cndmask_b32_sdwa v3, v4, v3, vcc_lo dst_sel:DWORD dst_unused:UNUSED_PAD src0_sel:DWORD src1_sel:WORD_1
	s_branch .LBB31_623
.LBB31_618:
	s_mov_b32 s23, -1
                                        ; implicit-def: $vgpr3
	s_branch .LBB31_629
.LBB31_619:
	s_or_saveexec_b32 s23, s23
	v_mov_b32_e32 v4, 0x7f800001
	s_xor_b32 exec_lo, exec_lo, s23
	s_cbranch_execz .LBB31_602
.LBB31_620:
	v_cmp_ne_u16_e32 vcc_lo, 0, v3
	v_mov_b32_e32 v4, 0
	s_andn2_b32 s22, s22, exec_lo
	s_and_b32 s43, vcc_lo, exec_lo
	s_or_b32 s22, s22, s43
	s_or_b32 exec_lo, exec_lo, s23
	s_and_saveexec_b32 s23, s22
	s_cbranch_execnz .LBB31_603
	s_branch .LBB31_604
.LBB31_621:
	s_mov_b32 s22, -1
                                        ; implicit-def: $vgpr3
	s_branch .LBB31_626
.LBB31_622:
	s_mov_b32 s22, -1
                                        ; implicit-def: $vgpr3
.LBB31_623:
	s_and_b32 vcc_lo, exec_lo, s22
	s_cbranch_vccz .LBB31_625
; %bb.624:
	global_load_ubyte v3, v[1:2], off
	s_waitcnt vmcnt(0)
	v_lshlrev_b32_e32 v3, 24, v3
	v_and_b32_e32 v4, 0x7f000000, v3
	v_ffbh_u32_e32 v5, v4
	v_add_nc_u32_e32 v7, 0x1000000, v4
	v_cmp_ne_u32_e32 vcc_lo, 0, v4
	v_min_u32_e32 v5, 32, v5
	v_sub_nc_u32_e64 v5, v5, 4 clamp
	v_lshlrev_b32_e32 v6, v5, v4
	v_lshlrev_b32_e32 v5, 23, v5
	v_lshrrev_b32_e32 v6, 4, v6
	v_sub_nc_u32_e32 v5, v6, v5
	v_ashrrev_i32_e32 v6, 8, v7
	v_add_nc_u32_e32 v5, 0x3c000000, v5
	v_and_or_b32 v5, 0x7f800000, v6, v5
	v_cndmask_b32_e32 v4, 0, v5, vcc_lo
	v_and_or_b32 v3, 0x80000000, v3, v4
	v_bfe_u32 v4, v4, 16, 1
	v_cmp_o_f32_e32 vcc_lo, v3, v3
	v_add3_u32 v3, v3, v4, 0x7fff
	v_mov_b32_e32 v4, 0x7fc0
	v_cndmask_b32_sdwa v3, v4, v3, vcc_lo dst_sel:DWORD dst_unused:UNUSED_PAD src0_sel:DWORD src1_sel:WORD_1
.LBB31_625:
	s_mov_b32 s22, 0
.LBB31_626:
	s_andn2_b32 vcc_lo, exec_lo, s22
	s_cbranch_vccnz .LBB31_628
; %bb.627:
	global_load_ubyte v3, v[1:2], off
	s_waitcnt vmcnt(0)
	v_lshlrev_b32_e32 v4, 25, v3
	v_lshlrev_b16 v3, 8, v3
	v_lshrrev_b32_e32 v5, 4, v4
	v_and_or_b32 v6, 0x7f00, v3, 0.5
	v_cmp_gt_u32_e32 vcc_lo, 0x8000000, v4
	v_bfe_i32 v3, v3, 0, 16
	v_or_b32_e32 v5, 0x70000000, v5
	v_add_f32_e32 v6, -0.5, v6
	v_mul_f32_e32 v5, 0x7800000, v5
	v_cndmask_b32_e32 v4, v5, v6, vcc_lo
	v_and_or_b32 v3, 0x80000000, v3, v4
	v_bfe_u32 v4, v4, 16, 1
	v_cmp_o_f32_e32 vcc_lo, v3, v3
	v_add3_u32 v3, v3, v4, 0x7fff
	v_mov_b32_e32 v4, 0x7fc0
	v_cndmask_b32_sdwa v3, v4, v3, vcc_lo dst_sel:DWORD dst_unused:UNUSED_PAD src0_sel:DWORD src1_sel:WORD_1
.LBB31_628:
	s_mov_b32 s23, 0
	s_mov_b32 s22, -1
.LBB31_629:
	s_andn2_b32 vcc_lo, exec_lo, s23
	s_cbranch_vccnz .LBB31_642
; %bb.630:
	s_cmp_gt_i32 s0, 14
	s_cbranch_scc0 .LBB31_633
; %bb.631:
	s_cmp_eq_u32 s0, 15
	s_cbranch_scc0 .LBB31_636
; %bb.632:
	global_load_ushort v3, v[1:2], off
	s_mov_b32 s22, -1
	s_mov_b32 s1, 0
	s_branch .LBB31_637
.LBB31_633:
	s_mov_b32 s23, -1
                                        ; implicit-def: $vgpr3
	s_branch .LBB31_638
.LBB31_634:
	s_or_saveexec_b32 s23, s23
	v_mov_b32_e32 v4, 0x7f800001
	s_xor_b32 exec_lo, exec_lo, s23
	s_cbranch_execz .LBB31_615
.LBB31_635:
	v_cmp_ne_u16_e32 vcc_lo, 0, v3
	v_mov_b32_e32 v4, 0
	s_andn2_b32 s22, s22, exec_lo
	s_and_b32 s43, vcc_lo, exec_lo
	s_or_b32 s22, s22, s43
	s_or_b32 exec_lo, exec_lo, s23
	s_and_saveexec_b32 s23, s22
	s_cbranch_execnz .LBB31_616
	s_branch .LBB31_617
.LBB31_636:
	s_mov_b32 s1, -1
                                        ; implicit-def: $vgpr3
.LBB31_637:
	s_mov_b32 s23, 0
.LBB31_638:
	s_and_b32 vcc_lo, exec_lo, s23
	s_cbranch_vccz .LBB31_642
; %bb.639:
	s_cmp_eq_u32 s0, 11
	s_cbranch_scc0 .LBB31_641
; %bb.640:
	global_load_ubyte v3, v[1:2], off
	s_mov_b32 s1, 0
	s_mov_b32 s22, -1
	s_waitcnt vmcnt(0)
	v_cmp_ne_u16_e32 vcc_lo, 0, v3
	v_cndmask_b32_e64 v3, 0, 1.0, vcc_lo
	v_lshrrev_b32_e32 v3, 16, v3
	s_branch .LBB31_642
.LBB31_641:
	s_mov_b32 s1, -1
                                        ; implicit-def: $vgpr3
.LBB31_642:
	s_mov_b32 s23, 0
.LBB31_643:
	s_and_b32 vcc_lo, exec_lo, s23
	s_cbranch_vccz .LBB31_692
; %bb.644:
	s_cmp_lt_i32 s0, 5
	s_cbranch_scc1 .LBB31_649
; %bb.645:
	s_cmp_lt_i32 s0, 8
	s_cbranch_scc1 .LBB31_650
; %bb.646:
	s_cmp_lt_i32 s0, 9
	s_cbranch_scc1 .LBB31_651
; %bb.647:
	s_cmp_gt_i32 s0, 9
	s_cbranch_scc0 .LBB31_652
; %bb.648:
	global_load_dwordx2 v[3:4], v[1:2], off
	s_mov_b32 s22, 0
	s_waitcnt vmcnt(0)
	v_cvt_f32_f64_e32 v3, v[3:4]
	v_bfe_u32 v4, v3, 16, 1
	v_cmp_o_f32_e32 vcc_lo, v3, v3
	v_add3_u32 v3, v3, v4, 0x7fff
	v_mov_b32_e32 v4, 0x7fc0
	v_cndmask_b32_sdwa v3, v4, v3, vcc_lo dst_sel:DWORD dst_unused:UNUSED_PAD src0_sel:DWORD src1_sel:WORD_1
	s_branch .LBB31_653
.LBB31_649:
	s_mov_b32 s22, -1
                                        ; implicit-def: $vgpr3
	s_branch .LBB31_671
.LBB31_650:
	s_mov_b32 s22, -1
                                        ; implicit-def: $vgpr3
	s_branch .LBB31_659
.LBB31_651:
	s_mov_b32 s22, -1
                                        ; implicit-def: $vgpr3
	s_branch .LBB31_656
.LBB31_652:
	s_mov_b32 s22, -1
                                        ; implicit-def: $vgpr3
.LBB31_653:
	s_andn2_b32 vcc_lo, exec_lo, s22
	s_cbranch_vccnz .LBB31_655
; %bb.654:
	global_load_dword v3, v[1:2], off
	s_waitcnt vmcnt(0)
	v_bfe_u32 v4, v3, 16, 1
	v_cmp_o_f32_e32 vcc_lo, v3, v3
	v_add3_u32 v3, v3, v4, 0x7fff
	v_mov_b32_e32 v4, 0x7fc0
	v_cndmask_b32_sdwa v3, v4, v3, vcc_lo dst_sel:DWORD dst_unused:UNUSED_PAD src0_sel:DWORD src1_sel:WORD_1
.LBB31_655:
	s_mov_b32 s22, 0
.LBB31_656:
	s_andn2_b32 vcc_lo, exec_lo, s22
	s_cbranch_vccnz .LBB31_658
; %bb.657:
	global_load_dword v3, v[1:2], off
	s_waitcnt vmcnt(0)
	v_cvt_f32_f16_e32 v4, v3
	v_cmp_o_f16_e32 vcc_lo, v3, v3
	v_bfe_u32 v5, v4, 16, 1
	v_add3_u32 v3, v4, v5, 0x7fff
	v_mov_b32_e32 v4, 0x7fc0
	v_cndmask_b32_sdwa v3, v4, v3, vcc_lo dst_sel:DWORD dst_unused:UNUSED_PAD src0_sel:DWORD src1_sel:WORD_1
.LBB31_658:
	s_mov_b32 s22, 0
.LBB31_659:
	s_andn2_b32 vcc_lo, exec_lo, s22
	s_cbranch_vccnz .LBB31_670
; %bb.660:
	s_cmp_lt_i32 s0, 6
	s_cbranch_scc1 .LBB31_663
; %bb.661:
	s_cmp_gt_i32 s0, 6
	s_cbranch_scc0 .LBB31_664
; %bb.662:
	global_load_dwordx2 v[3:4], v[1:2], off
	s_mov_b32 s22, 0
	s_waitcnt vmcnt(0)
	v_cvt_f32_f64_e32 v3, v[3:4]
	v_bfe_u32 v4, v3, 16, 1
	v_cmp_o_f32_e32 vcc_lo, v3, v3
	v_add3_u32 v3, v3, v4, 0x7fff
	v_mov_b32_e32 v4, 0x7fc0
	v_cndmask_b32_sdwa v3, v4, v3, vcc_lo dst_sel:DWORD dst_unused:UNUSED_PAD src0_sel:DWORD src1_sel:WORD_1
	s_branch .LBB31_665
.LBB31_663:
	s_mov_b32 s22, -1
                                        ; implicit-def: $vgpr3
	s_branch .LBB31_668
.LBB31_664:
	s_mov_b32 s22, -1
                                        ; implicit-def: $vgpr3
.LBB31_665:
	s_andn2_b32 vcc_lo, exec_lo, s22
	s_cbranch_vccnz .LBB31_667
; %bb.666:
	global_load_dword v3, v[1:2], off
	s_waitcnt vmcnt(0)
	v_bfe_u32 v4, v3, 16, 1
	v_cmp_o_f32_e32 vcc_lo, v3, v3
	v_add3_u32 v3, v3, v4, 0x7fff
	v_mov_b32_e32 v4, 0x7fc0
	v_cndmask_b32_sdwa v3, v4, v3, vcc_lo dst_sel:DWORD dst_unused:UNUSED_PAD src0_sel:DWORD src1_sel:WORD_1
.LBB31_667:
	s_mov_b32 s22, 0
.LBB31_668:
	s_andn2_b32 vcc_lo, exec_lo, s22
	s_cbranch_vccnz .LBB31_670
; %bb.669:
	global_load_ushort v3, v[1:2], off
	s_waitcnt vmcnt(0)
	v_cvt_f32_f16_e32 v4, v3
	v_cmp_o_f16_e32 vcc_lo, v3, v3
	v_bfe_u32 v5, v4, 16, 1
	v_add3_u32 v3, v4, v5, 0x7fff
	v_mov_b32_e32 v4, 0x7fc0
	v_cndmask_b32_sdwa v3, v4, v3, vcc_lo dst_sel:DWORD dst_unused:UNUSED_PAD src0_sel:DWORD src1_sel:WORD_1
.LBB31_670:
	s_mov_b32 s22, 0
.LBB31_671:
	s_andn2_b32 vcc_lo, exec_lo, s22
	s_cbranch_vccnz .LBB31_691
; %bb.672:
	s_cmp_lt_i32 s0, 2
	s_cbranch_scc1 .LBB31_676
; %bb.673:
	s_cmp_lt_i32 s0, 3
	s_cbranch_scc1 .LBB31_677
; %bb.674:
	s_cmp_gt_i32 s0, 3
	s_cbranch_scc0 .LBB31_678
; %bb.675:
	global_load_dwordx2 v[3:4], v[1:2], off
	s_mov_b32 s22, 0
	s_waitcnt vmcnt(0)
	v_xor_b32_e32 v5, v3, v4
	v_ffbh_i32_e32 v6, v4
	v_ashrrev_i32_e32 v5, 31, v5
	v_add_nc_u32_e32 v6, -1, v6
	v_add_nc_u32_e32 v5, 32, v5
	v_min_u32_e32 v5, v6, v5
	v_lshlrev_b64 v[3:4], v5, v[3:4]
	v_min_u32_e32 v3, 1, v3
	v_or_b32_e32 v3, v4, v3
	v_sub_nc_u32_e32 v4, 32, v5
	v_cvt_f32_i32_e32 v3, v3
	v_ldexp_f32 v3, v3, v4
	v_bfe_u32 v4, v3, 16, 1
	v_add3_u32 v3, v3, v4, 0x7fff
	v_lshrrev_b32_e32 v3, 16, v3
	s_branch .LBB31_679
.LBB31_676:
	s_mov_b32 s22, -1
                                        ; implicit-def: $vgpr3
	s_branch .LBB31_685
.LBB31_677:
	s_mov_b32 s22, -1
                                        ; implicit-def: $vgpr3
	s_branch .LBB31_682
.LBB31_678:
	s_mov_b32 s22, -1
                                        ; implicit-def: $vgpr3
.LBB31_679:
	s_andn2_b32 vcc_lo, exec_lo, s22
	s_cbranch_vccnz .LBB31_681
; %bb.680:
	global_load_dword v3, v[1:2], off
	s_waitcnt vmcnt(0)
	v_cvt_f32_i32_e32 v3, v3
	v_bfe_u32 v4, v3, 16, 1
	v_add3_u32 v3, v3, v4, 0x7fff
	v_lshrrev_b32_e32 v3, 16, v3
.LBB31_681:
	s_mov_b32 s22, 0
.LBB31_682:
	s_andn2_b32 vcc_lo, exec_lo, s22
	s_cbranch_vccnz .LBB31_684
; %bb.683:
	global_load_sshort v3, v[1:2], off
	s_waitcnt vmcnt(0)
	v_cvt_f32_i32_e32 v3, v3
	v_bfe_u32 v4, v3, 16, 1
	v_add3_u32 v3, v3, v4, 0x7fff
	v_lshrrev_b32_e32 v3, 16, v3
.LBB31_684:
	s_mov_b32 s22, 0
.LBB31_685:
	s_andn2_b32 vcc_lo, exec_lo, s22
	s_cbranch_vccnz .LBB31_691
; %bb.686:
	s_cmp_gt_i32 s0, 0
	s_mov_b32 s0, 0
	s_cbranch_scc0 .LBB31_688
; %bb.687:
	global_load_sbyte v3, v[1:2], off
	s_waitcnt vmcnt(0)
	v_cvt_f32_i32_e32 v3, v3
	v_bfe_u32 v4, v3, 16, 1
	v_add3_u32 v3, v3, v4, 0x7fff
	v_lshrrev_b32_e32 v3, 16, v3
	s_branch .LBB31_689
.LBB31_688:
	s_mov_b32 s0, -1
                                        ; implicit-def: $vgpr3
.LBB31_689:
	s_andn2_b32 vcc_lo, exec_lo, s0
	s_cbranch_vccnz .LBB31_691
; %bb.690:
	global_load_ubyte v1, v[1:2], off
	s_waitcnt vmcnt(0)
	v_cvt_f32_ubyte0_e32 v1, v1
	v_bfe_u32 v2, v1, 16, 1
	v_add3_u32 v1, v1, v2, 0x7fff
	v_lshrrev_b32_e32 v3, 16, v1
.LBB31_691:
	s_mov_b32 s22, -1
.LBB31_692:
	s_andn2_b32 vcc_lo, exec_lo, s22
	s_cbranch_vccnz .LBB31_700
; %bb.693:
	s_waitcnt vmcnt(0)
	v_lshlrev_b32_e32 v1, 16, v3
	s_mov_b32 s0, 0x3b2d2a58
	s_and_b32 s22, s29, 0xff
	s_cmp_lt_i32 s22, 11
	v_rcp_f32_e64 v2, |v1|
	v_cmp_gt_f32_e64 vcc_lo, |v1|, 1.0
	v_cndmask_b32_e64 v2, |v1|, v2, vcc_lo
	v_mul_f32_e32 v3, v2, v2
	v_fmaak_f32 v4, s0, v3, 0xbc7a590c
	v_add_co_u32 v0, s0, s8, v0
	v_fmaak_f32 v4, v3, v4, 0x3d29fb3f
	v_fmaak_f32 v4, v3, v4, 0xbd97d4d7
	v_fmaak_f32 v4, v3, v4, 0x3dd931b2
	v_fmaak_f32 v4, v3, v4, 0xbe1160e6
	v_fmaak_f32 v4, v3, v4, 0x3e4cb8bf
	v_fmaak_f32 v4, v3, v4, 0xbeaaaa62
	v_mul_f32_e32 v3, v3, v4
	v_fmac_f32_e32 v2, v2, v3
	v_sub_f32_e32 v3, 0x3fc90fdb, v2
	v_cndmask_b32_e32 v2, v2, v3, vcc_lo
	v_mov_b32_e32 v3, 0x7fc0
	v_bfi_b32 v1, 0x7fffffff, v2, v1
	v_bfe_u32 v2, v1, 16, 1
	v_cmp_o_f32_e32 vcc_lo, v1, v1
	v_add3_u32 v2, v1, v2, 0x7fff
	v_add_co_ci_u32_e64 v1, null, s9, 0, s0
	v_cndmask_b32_sdwa v2, v3, v2, vcc_lo dst_sel:DWORD dst_unused:UNUSED_PAD src0_sel:DWORD src1_sel:WORD_1
	s_cbranch_scc1 .LBB31_701
; %bb.694:
	s_and_b32 s23, 0xffff, s22
	s_cmp_gt_i32 s23, 25
	s_cbranch_scc0 .LBB31_702
; %bb.695:
	s_cmp_gt_i32 s23, 28
	s_cbranch_scc0 .LBB31_703
; %bb.696:
	;; [unrolled: 3-line block ×4, first 2 shown]
	s_mov_b32 s44, 0
	s_mov_b32 s0, -1
	s_cmp_eq_u32 s23, 46
	s_mov_b32 s43, 0
	s_cbranch_scc0 .LBB31_706
; %bb.699:
	v_and_b32_e32 v3, 0xffff, v2
	s_mov_b32 s43, -1
	s_mov_b32 s0, 0
	global_store_dword v[0:1], v3, off
	s_branch .LBB31_706
.LBB31_700:
	s_mov_b32 s43, 0
	s_mov_b32 s0, s40
	s_branch .LBB31_817
.LBB31_701:
	s_mov_b32 s23, -1
	s_mov_b32 s43, 0
	s_mov_b32 s0, s40
	s_branch .LBB31_775
.LBB31_702:
	s_mov_b32 s44, -1
	s_mov_b32 s43, 0
	s_mov_b32 s0, s40
	s_branch .LBB31_733
.LBB31_703:
	s_mov_b32 s44, -1
	s_mov_b32 s43, 0
	s_mov_b32 s0, s40
	s_branch .LBB31_716
.LBB31_704:
	s_mov_b32 s44, -1
	s_mov_b32 s43, 0
	s_mov_b32 s0, s40
	s_branch .LBB31_712
.LBB31_705:
	s_mov_b32 s44, -1
	s_mov_b32 s43, 0
	s_mov_b32 s0, s40
.LBB31_706:
	s_and_b32 vcc_lo, exec_lo, s44
	s_cbranch_vccz .LBB31_711
; %bb.707:
	s_cmp_eq_u32 s23, 44
	s_mov_b32 s0, -1
	s_cbranch_scc0 .LBB31_711
; %bb.708:
	v_and_b32_e32 v3, 0xffff, v2
	v_mov_b32_e32 v4, 0xff
	s_mov_b32 s43, exec_lo
	v_bfe_u32 v5, v3, 7, 8
	v_cmpx_ne_u32_e32 0xff, v5
	s_cbranch_execz .LBB31_710
; %bb.709:
	v_lshlrev_b32_e32 v4, 16, v3
	v_and_b32_e32 v6, 64, v3
	v_lshrrev_b32_e32 v3, 7, v3
	v_and_or_b32 v4, 0x3f0000, v4, v5
	v_cmp_ne_u32_e32 vcc_lo, 0, v6
	v_cmp_ne_u32_e64 s0, 0, v4
	s_and_b32 s0, vcc_lo, s0
	v_cndmask_b32_e64 v4, 0, 1, s0
	v_add_nc_u32_e32 v4, v3, v4
.LBB31_710:
	s_or_b32 exec_lo, exec_lo, s43
	s_mov_b32 s43, -1
	s_mov_b32 s0, 0
	global_store_byte v[0:1], v4, off
.LBB31_711:
	s_mov_b32 s44, 0
.LBB31_712:
	s_and_b32 vcc_lo, exec_lo, s44
	s_cbranch_vccz .LBB31_715
; %bb.713:
	s_cmp_eq_u32 s23, 29
	s_mov_b32 s0, -1
	s_cbranch_scc0 .LBB31_715
; %bb.714:
	v_lshlrev_b32_e32 v3, 16, v2
	s_mov_b32 s43, -1
	s_mov_b32 s0, 0
	s_mov_b32 s44, 0
	v_trunc_f32_e32 v3, v3
	v_mul_f32_e32 v4, 0x2f800000, v3
	v_floor_f32_e32 v4, v4
	v_fmamk_f32 v3, v4, 0xcf800000, v3
	v_cvt_u32_f32_e32 v4, v4
	v_cvt_u32_f32_e32 v3, v3
	global_store_dwordx2 v[0:1], v[3:4], off
	s_branch .LBB31_716
.LBB31_715:
	s_mov_b32 s44, 0
.LBB31_716:
	s_and_b32 vcc_lo, exec_lo, s44
	s_cbranch_vccz .LBB31_732
; %bb.717:
	s_cmp_lt_i32 s23, 27
	s_mov_b32 s43, -1
	s_cbranch_scc1 .LBB31_723
; %bb.718:
	s_cmp_gt_i32 s23, 27
	s_cbranch_scc0 .LBB31_720
; %bb.719:
	v_lshlrev_b32_e32 v3, 16, v2
	s_mov_b32 s43, 0
	v_cvt_u32_f32_e32 v3, v3
	global_store_dword v[0:1], v3, off
.LBB31_720:
	s_andn2_b32 vcc_lo, exec_lo, s43
	s_cbranch_vccnz .LBB31_722
; %bb.721:
	v_lshlrev_b32_e32 v3, 16, v2
	v_cvt_u32_f32_e32 v3, v3
	global_store_short v[0:1], v3, off
.LBB31_722:
	s_mov_b32 s43, 0
.LBB31_723:
	s_andn2_b32 vcc_lo, exec_lo, s43
	s_cbranch_vccnz .LBB31_731
; %bb.724:
	v_lshlrev_b32_e32 v5, 16, v2
	v_mov_b32_e32 v6, 0x80
	s_mov_b32 s43, exec_lo
	v_and_b32_e32 v4, 0x7fffffff, v5
	v_cmpx_gt_u32_e32 0x43800000, v4
	s_cbranch_execz .LBB31_730
; %bb.725:
	v_and_b32_e32 v3, 0xffff, v2
	v_cmp_lt_u32_e32 vcc_lo, 0x3bffffff, v4
	s_mov_b32 s44, 0
                                        ; implicit-def: $vgpr4
	s_and_saveexec_b32 s45, vcc_lo
	s_xor_b32 s45, exec_lo, s45
	s_cbranch_execz .LBB31_847
; %bb.726:
	v_bfe_u32 v4, v3, 4, 1
	s_mov_b32 s44, exec_lo
	v_add3_u32 v4, v5, v4, 0x487ffff
                                        ; implicit-def: $vgpr5
	v_lshrrev_b32_e32 v4, 20, v4
	s_andn2_saveexec_b32 s45, s45
	s_cbranch_execnz .LBB31_848
.LBB31_727:
	s_or_b32 exec_lo, exec_lo, s45
	v_mov_b32_e32 v6, 0
	s_and_saveexec_b32 s45, s44
.LBB31_728:
	v_lshrrev_b32_e32 v3, 8, v3
	v_and_or_b32 v6, 0x80, v3, v4
.LBB31_729:
	s_or_b32 exec_lo, exec_lo, s45
.LBB31_730:
	s_or_b32 exec_lo, exec_lo, s43
	global_store_byte v[0:1], v6, off
.LBB31_731:
	s_mov_b32 s43, -1
.LBB31_732:
	s_mov_b32 s44, 0
.LBB31_733:
	s_and_b32 vcc_lo, exec_lo, s44
	s_cbranch_vccz .LBB31_774
; %bb.734:
	s_cmp_gt_i32 s23, 22
	s_mov_b32 s44, -1
	s_cbranch_scc0 .LBB31_766
; %bb.735:
	s_cmp_lt_i32 s23, 24
	s_mov_b32 s43, -1
	s_cbranch_scc1 .LBB31_755
; %bb.736:
	s_cmp_gt_i32 s23, 24
	s_cbranch_scc0 .LBB31_744
; %bb.737:
	v_lshlrev_b32_e32 v5, 16, v2
	v_mov_b32_e32 v6, 0x80
	s_mov_b32 s43, exec_lo
	v_and_b32_e32 v4, 0x7fffffff, v5
	v_cmpx_gt_u32_e32 0x47800000, v4
	s_cbranch_execz .LBB31_743
; %bb.738:
	v_and_b32_e32 v3, 0xffff, v2
	v_cmp_lt_u32_e32 vcc_lo, 0x37ffffff, v4
	s_mov_b32 s44, 0
                                        ; implicit-def: $vgpr4
	s_and_saveexec_b32 s45, vcc_lo
	s_xor_b32 s45, exec_lo, s45
	s_cbranch_execz .LBB31_850
; %bb.739:
	v_bfe_u32 v4, v3, 5, 1
	s_mov_b32 s44, exec_lo
	v_add3_u32 v4, v5, v4, 0x88fffff
                                        ; implicit-def: $vgpr5
	v_lshrrev_b32_e32 v4, 21, v4
	s_andn2_saveexec_b32 s45, s45
	s_cbranch_execnz .LBB31_851
.LBB31_740:
	s_or_b32 exec_lo, exec_lo, s45
	v_mov_b32_e32 v6, 0
	s_and_saveexec_b32 s45, s44
.LBB31_741:
	v_lshrrev_b32_e32 v3, 8, v3
	v_and_or_b32 v6, 0x80, v3, v4
.LBB31_742:
	s_or_b32 exec_lo, exec_lo, s45
.LBB31_743:
	s_or_b32 exec_lo, exec_lo, s43
	s_mov_b32 s43, 0
	global_store_byte v[0:1], v6, off
.LBB31_744:
	s_and_b32 vcc_lo, exec_lo, s43
	s_cbranch_vccz .LBB31_754
; %bb.745:
	v_lshlrev_b32_e32 v5, 16, v2
	v_and_b32_e32 v3, 0xffff, v2
	s_mov_b32 s43, exec_lo
                                        ; implicit-def: $vgpr4
	v_and_b32_e32 v6, 0x7fffffff, v5
	v_cmpx_gt_u32_e32 0x43f00000, v6
	s_xor_b32 s43, exec_lo, s43
	s_cbranch_execz .LBB31_751
; %bb.746:
	s_mov_b32 s44, exec_lo
                                        ; implicit-def: $vgpr4
	v_cmpx_lt_u32_e32 0x3c7fffff, v6
	s_xor_b32 s44, exec_lo, s44
; %bb.747:
	v_bfe_u32 v4, v3, 4, 1
	v_add3_u32 v4, v5, v4, 0x407ffff
	v_and_b32_e32 v5, 0xff00000, v4
	v_lshrrev_b32_e32 v4, 20, v4
	v_cmp_ne_u32_e32 vcc_lo, 0x7f00000, v5
                                        ; implicit-def: $vgpr5
	v_cndmask_b32_e32 v4, 0x7e, v4, vcc_lo
; %bb.748:
	s_andn2_saveexec_b32 s44, s44
; %bb.749:
	v_add_f32_e64 v4, 0x46800000, |v5|
; %bb.750:
	s_or_b32 exec_lo, exec_lo, s44
                                        ; implicit-def: $vgpr6
.LBB31_751:
	s_andn2_saveexec_b32 s43, s43
; %bb.752:
	v_mov_b32_e32 v4, 0x7f
	v_cmp_lt_u32_e32 vcc_lo, 0x7f800000, v6
	v_cndmask_b32_e32 v4, 0x7e, v4, vcc_lo
; %bb.753:
	s_or_b32 exec_lo, exec_lo, s43
	v_lshrrev_b32_e32 v3, 8, v3
	v_and_or_b32 v3, 0x80, v3, v4
	global_store_byte v[0:1], v3, off
.LBB31_754:
	s_mov_b32 s43, 0
.LBB31_755:
	s_andn2_b32 vcc_lo, exec_lo, s43
	s_cbranch_vccnz .LBB31_765
; %bb.756:
	v_lshlrev_b32_e32 v5, 16, v2
	v_and_b32_e32 v3, 0xffff, v2
	s_mov_b32 s43, exec_lo
                                        ; implicit-def: $vgpr4
	v_and_b32_e32 v6, 0x7fffffff, v5
	v_cmpx_gt_u32_e32 0x47800000, v6
	s_xor_b32 s43, exec_lo, s43
	s_cbranch_execz .LBB31_762
; %bb.757:
	s_mov_b32 s44, exec_lo
                                        ; implicit-def: $vgpr4
	v_cmpx_lt_u32_e32 0x387fffff, v6
	s_xor_b32 s44, exec_lo, s44
; %bb.758:
	v_bfe_u32 v4, v3, 5, 1
	v_add3_u32 v4, v5, v4, 0x80fffff
                                        ; implicit-def: $vgpr5
	v_lshrrev_b32_e32 v4, 21, v4
; %bb.759:
	s_andn2_saveexec_b32 s44, s44
; %bb.760:
	v_add_f32_e64 v4, 0x43000000, |v5|
; %bb.761:
	s_or_b32 exec_lo, exec_lo, s44
                                        ; implicit-def: $vgpr6
.LBB31_762:
	s_andn2_saveexec_b32 s43, s43
; %bb.763:
	v_mov_b32_e32 v4, 0x7f
	v_cmp_lt_u32_e32 vcc_lo, 0x7f800000, v6
	v_cndmask_b32_e32 v4, 0x7c, v4, vcc_lo
; %bb.764:
	s_or_b32 exec_lo, exec_lo, s43
	v_lshrrev_b32_e32 v3, 8, v3
	v_and_or_b32 v3, 0x80, v3, v4
	global_store_byte v[0:1], v3, off
.LBB31_765:
	s_mov_b32 s44, 0
	s_mov_b32 s43, -1
.LBB31_766:
	s_andn2_b32 vcc_lo, exec_lo, s44
	s_cbranch_vccnz .LBB31_774
; %bb.767:
	s_cmp_gt_i32 s23, 14
	s_mov_b32 s44, -1
	s_cbranch_scc0 .LBB31_771
; %bb.768:
	s_cmp_eq_u32 s23, 15
	s_mov_b32 s0, -1
	s_cbranch_scc0 .LBB31_770
; %bb.769:
	s_mov_b32 s43, -1
	s_mov_b32 s0, 0
	global_store_short v[0:1], v2, off
.LBB31_770:
	s_mov_b32 s44, 0
.LBB31_771:
	s_and_b32 vcc_lo, exec_lo, s44
	s_cbranch_vccz .LBB31_774
; %bb.772:
	s_cmp_eq_u32 s23, 11
	s_mov_b32 s0, -1
	s_cbranch_scc0 .LBB31_774
; %bb.773:
	v_and_b32_e32 v3, 0x7fff, v2
	s_mov_b32 s0, 0
	s_mov_b32 s43, -1
	v_cmp_ne_u16_e32 vcc_lo, 0, v3
	v_cndmask_b32_e64 v3, 0, 1, vcc_lo
	global_store_byte v[0:1], v3, off
.LBB31_774:
	s_mov_b32 s23, 0
.LBB31_775:
	s_and_b32 vcc_lo, exec_lo, s23
	s_cbranch_vccz .LBB31_814
; %bb.776:
	s_and_b32 s22, 0xffff, s22
	s_mov_b32 s23, -1
	s_cmp_lt_i32 s22, 5
	s_cbranch_scc1 .LBB31_797
; %bb.777:
	s_cmp_lt_i32 s22, 8
	s_cbranch_scc1 .LBB31_787
; %bb.778:
	;; [unrolled: 3-line block ×3, first 2 shown]
	s_cmp_gt_i32 s22, 9
	s_cbranch_scc0 .LBB31_781
; %bb.780:
	v_lshlrev_b32_e32 v3, 16, v2
	v_mov_b32_e32 v5, 0
	s_mov_b32 s23, 0
	v_cvt_f64_f32_e32 v[3:4], v3
	v_mov_b32_e32 v6, v5
	global_store_dwordx4 v[0:1], v[3:6], off
.LBB31_781:
	s_andn2_b32 vcc_lo, exec_lo, s23
	s_cbranch_vccnz .LBB31_783
; %bb.782:
	v_lshlrev_b32_e32 v3, 16, v2
	v_mov_b32_e32 v4, 0
	global_store_dwordx2 v[0:1], v[3:4], off
.LBB31_783:
	s_mov_b32 s23, 0
.LBB31_784:
	s_andn2_b32 vcc_lo, exec_lo, s23
	s_cbranch_vccnz .LBB31_786
; %bb.785:
	v_lshlrev_b32_e32 v3, 16, v2
	v_cvt_f16_f32_e32 v3, v3
	v_and_b32_e32 v3, 0xffff, v3
	global_store_dword v[0:1], v3, off
.LBB31_786:
	s_mov_b32 s23, 0
.LBB31_787:
	s_andn2_b32 vcc_lo, exec_lo, s23
	s_cbranch_vccnz .LBB31_796
; %bb.788:
	s_cmp_lt_i32 s22, 6
	s_mov_b32 s23, -1
	s_cbranch_scc1 .LBB31_794
; %bb.789:
	s_cmp_gt_i32 s22, 6
	s_cbranch_scc0 .LBB31_791
; %bb.790:
	v_lshlrev_b32_e32 v3, 16, v2
	s_mov_b32 s23, 0
	v_cvt_f64_f32_e32 v[3:4], v3
	global_store_dwordx2 v[0:1], v[3:4], off
.LBB31_791:
	s_andn2_b32 vcc_lo, exec_lo, s23
	s_cbranch_vccnz .LBB31_793
; %bb.792:
	v_lshlrev_b32_e32 v3, 16, v2
	global_store_dword v[0:1], v3, off
.LBB31_793:
	s_mov_b32 s23, 0
.LBB31_794:
	s_andn2_b32 vcc_lo, exec_lo, s23
	s_cbranch_vccnz .LBB31_796
; %bb.795:
	v_lshlrev_b32_e32 v3, 16, v2
	v_cvt_f16_f32_e32 v3, v3
	global_store_short v[0:1], v3, off
.LBB31_796:
	s_mov_b32 s23, 0
.LBB31_797:
	s_andn2_b32 vcc_lo, exec_lo, s23
	s_cbranch_vccnz .LBB31_813
; %bb.798:
	s_cmp_lt_i32 s22, 2
	s_mov_b32 s23, -1
	s_cbranch_scc1 .LBB31_808
; %bb.799:
	s_cmp_lt_i32 s22, 3
	s_cbranch_scc1 .LBB31_805
; %bb.800:
	s_cmp_gt_i32 s22, 3
	s_cbranch_scc0 .LBB31_802
; %bb.801:
	v_lshlrev_b32_e32 v3, 16, v2
	s_mov_b32 s23, 0
	v_trunc_f32_e32 v3, v3
	v_mul_f32_e64 v4, 0x2f800000, |v3|
	v_ashrrev_i32_e32 v6, 31, v3
	v_floor_f32_e32 v4, v4
	v_fma_f32 v5, 0xcf800000, v4, |v3|
	v_cvt_u32_f32_e32 v4, v4
	v_cvt_u32_f32_e32 v3, v5
	v_xor_b32_e32 v4, v4, v6
	v_xor_b32_e32 v3, v3, v6
	v_sub_co_u32 v3, vcc_lo, v3, v6
	v_sub_co_ci_u32_e64 v4, null, v4, v6, vcc_lo
	global_store_dwordx2 v[0:1], v[3:4], off
.LBB31_802:
	s_andn2_b32 vcc_lo, exec_lo, s23
	s_cbranch_vccnz .LBB31_804
; %bb.803:
	v_lshlrev_b32_e32 v3, 16, v2
	v_cvt_i32_f32_e32 v3, v3
	global_store_dword v[0:1], v3, off
.LBB31_804:
	s_mov_b32 s23, 0
.LBB31_805:
	s_andn2_b32 vcc_lo, exec_lo, s23
	s_cbranch_vccnz .LBB31_807
; %bb.806:
	v_lshlrev_b32_e32 v3, 16, v2
	v_cvt_i32_f32_e32 v3, v3
	global_store_short v[0:1], v3, off
.LBB31_807:
	s_mov_b32 s23, 0
.LBB31_808:
	s_andn2_b32 vcc_lo, exec_lo, s23
	s_cbranch_vccnz .LBB31_813
; %bb.809:
	v_lshlrev_b32_e32 v2, 16, v2
	s_cmp_gt_i32 s22, 0
	s_mov_b32 s22, -1
	s_cbranch_scc0 .LBB31_811
; %bb.810:
	v_cvt_i32_f32_e32 v3, v2
	s_mov_b32 s22, 0
	global_store_byte v[0:1], v3, off
.LBB31_811:
	s_andn2_b32 vcc_lo, exec_lo, s22
	s_cbranch_vccnz .LBB31_813
; %bb.812:
	v_trunc_f32_e32 v2, v2
	v_mul_f32_e64 v3, 0x2f800000, |v2|
	v_floor_f32_e32 v3, v3
	v_fma_f32 v3, 0xcf800000, v3, |v2|
	v_ashrrev_i32_e32 v2, 31, v2
	v_cvt_u32_f32_e32 v3, v3
	v_xor_b32_e32 v3, v3, v2
	v_sub_nc_u32_e32 v2, v3, v2
	global_store_byte v[0:1], v2, off
.LBB31_813:
	s_mov_b32 s43, -1
.LBB31_814:
	s_andn2_b32 vcc_lo, exec_lo, s43
	s_cbranch_vccnz .LBB31_816
; %bb.815:
	v_add_nc_u32_e32 v8, 0x80, v8
	s_mov_b32 s43, -1
	s_branch .LBB31_818
.LBB31_816:
	s_mov_b32 s43, 0
.LBB31_817:
                                        ; implicit-def: $vgpr8
.LBB31_818:
	s_andn2_b32 s22, s40, exec_lo
	s_and_b32 s0, s0, exec_lo
	s_andn2_b32 s44, s39, exec_lo
	s_and_b32 s1, s1, exec_lo
	s_or_b32 s23, s22, s0
	s_or_b32 s22, s44, s1
	s_orn2_b32 s44, s43, exec_lo
.LBB31_819:
	s_or_b32 exec_lo, exec_lo, s42
	s_mov_b32 s0, 0
	s_mov_b32 s1, 0
	;; [unrolled: 1-line block ×3, first 2 shown]
                                        ; implicit-def: $vgpr1_vgpr2
                                        ; implicit-def: $vgpr0
                                        ; implicit-def: $vgpr4
	s_and_saveexec_b32 s42, s44
	s_cbranch_execz .LBB31_919
; %bb.820:
	v_cmp_gt_i32_e32 vcc_lo, s33, v8
	s_mov_b32 s45, s22
	s_mov_b32 s44, 0
                                        ; implicit-def: $vgpr1_vgpr2
                                        ; implicit-def: $vgpr0
                                        ; implicit-def: $vgpr4
	s_and_saveexec_b32 s33, vcc_lo
	s_cbranch_execz .LBB31_918
; %bb.821:
	s_andn2_b32 vcc_lo, exec_lo, s27
	s_cbranch_vccnz .LBB31_826
; %bb.822:
	s_andn2_b32 vcc_lo, exec_lo, s34
	s_cbranch_vccnz .LBB31_827
; %bb.823:
	s_add_i32 s35, s35, 1
	s_cmp_eq_u32 s25, 2
	s_cbranch_scc1 .LBB31_828
; %bb.824:
	v_mov_b32_e32 v2, 0
	v_mov_b32_e32 v0, 0
	;; [unrolled: 1-line block ×3, first 2 shown]
	s_and_b32 s34, s35, 28
	s_mov_b64 s[0:1], s[2:3]
.LBB31_825:                             ; =>This Inner Loop Header: Depth=1
	s_clause 0x1
	s_load_dwordx8 s[44:51], s[0:1], 0x4
	s_load_dwordx4 s[60:63], s[0:1], 0x24
	s_load_dwordx8 s[52:59], s[20:21], 0x0
	s_add_u32 s0, s0, 48
	s_addc_u32 s1, s1, 0
	s_add_i32 s43, s43, 4
	s_add_u32 s20, s20, 32
	s_addc_u32 s21, s21, 0
	s_cmp_eq_u32 s34, s43
	s_waitcnt vmcnt(0) lgkmcnt(0)
	v_mul_hi_u32 v3, s45, v1
	v_add_nc_u32_e32 v3, v1, v3
	v_lshrrev_b32_e32 v3, s46, v3
	v_mul_hi_u32 v4, s48, v3
	v_mul_lo_u32 v6, v3, s44
	v_add_nc_u32_e32 v4, v3, v4
	v_sub_nc_u32_e32 v1, v1, v6
	v_lshrrev_b32_e32 v4, s49, v4
	v_mul_lo_u32 v6, v1, s52
	v_mul_lo_u32 v9, v1, s53
	v_mul_hi_u32 v5, s51, v4
	v_add_nc_u32_e32 v5, v4, v5
	v_lshrrev_b32_e32 v5, s60, v5
	v_mul_hi_u32 v7, s62, v5
	v_mul_lo_u32 v10, v5, s50
	v_add_nc_u32_e32 v1, v5, v7
	v_mul_lo_u32 v7, v4, s47
	v_sub_nc_u32_e32 v4, v4, v10
	v_lshrrev_b32_e32 v1, s63, v1
	v_mul_lo_u32 v10, v4, s56
	v_mul_lo_u32 v4, v4, s57
	v_sub_nc_u32_e32 v3, v3, v7
	v_mul_lo_u32 v11, v1, s61
	v_mul_lo_u32 v7, v3, s54
	;; [unrolled: 1-line block ×3, first 2 shown]
	v_sub_nc_u32_e32 v5, v5, v11
	v_add3_u32 v0, v6, v0, v7
	v_mul_lo_u32 v11, v5, s58
	v_mul_lo_u32 v5, v5, s59
	v_add3_u32 v2, v9, v2, v3
	v_add3_u32 v0, v10, v0, v11
	;; [unrolled: 1-line block ×3, first 2 shown]
	s_cbranch_scc0 .LBB31_825
	s_branch .LBB31_829
.LBB31_826:
	s_mov_b32 s0, -1
                                        ; implicit-def: $vgpr0
                                        ; implicit-def: $vgpr2
	s_branch .LBB31_833
.LBB31_827:
	v_mov_b32_e32 v0, 0
	v_mov_b32_e32 v2, 0
	s_branch .LBB31_832
.LBB31_828:
	v_mov_b32_e32 v0, 0
	v_mov_b32_e32 v2, 0
	;; [unrolled: 1-line block ×3, first 2 shown]
	s_mov_b32 s34, 0
.LBB31_829:
	s_and_b32 s35, s35, 3
	s_cmp_eq_u32 s35, 0
	s_cbranch_scc1 .LBB31_832
; %bb.830:
	s_lshl_b32 s0, s34, 3
	s_mul_i32 s20, s34, 12
	s_add_u32 s0, s2, s0
	s_addc_u32 s1, s3, 0
	s_add_u32 s0, s0, 0xc4
	s_addc_u32 s1, s1, 0
	;; [unrolled: 2-line block ×3, first 2 shown]
.LBB31_831:                             ; =>This Inner Loop Header: Depth=1
	s_clause 0x1
	s_load_dwordx2 s[44:45], s[20:21], 0x4
	s_load_dword s34, s[20:21], 0xc
	s_load_dwordx2 s[46:47], s[0:1], 0x0
	s_add_u32 s20, s20, 12
	s_addc_u32 s21, s21, 0
	s_add_u32 s0, s0, 8
	s_addc_u32 s1, s1, 0
	s_add_i32 s35, s35, -1
	s_cmp_lg_u32 s35, 0
	s_waitcnt vmcnt(0) lgkmcnt(0)
	v_mul_hi_u32 v3, s45, v1
	v_add_nc_u32_e32 v3, v1, v3
	v_lshrrev_b32_e32 v4, s34, v3
	v_mul_lo_u32 v3, v4, s44
	v_sub_nc_u32_e32 v3, v1, v3
	v_mad_u64_u32 v[0:1], null, v3, s46, v[0:1]
	v_mad_u64_u32 v[2:3], null, v3, s47, v[2:3]
	v_mov_b32_e32 v1, v4
	s_cbranch_scc1 .LBB31_831
.LBB31_832:
	s_mov_b32 s0, 0
.LBB31_833:
	s_andn2_b32 vcc_lo, exec_lo, s0
	s_cbranch_vccnz .LBB31_836
; %bb.834:
	s_waitcnt lgkmcnt(0)
	v_mul_hi_u32 v0, s17, v8
	s_andn2_b32 vcc_lo, exec_lo, s31
	v_add_nc_u32_e32 v0, v8, v0
	v_lshrrev_b32_e32 v1, s18, v0
	v_mul_lo_u32 v0, v1, s16
	v_sub_nc_u32_e32 v2, v8, v0
	v_mul_lo_u32 v0, v2, s12
	v_mul_lo_u32 v2, v2, s13
	s_cbranch_vccnz .LBB31_836
; %bb.835:
	s_waitcnt vmcnt(0)
	v_mul_hi_u32 v3, s6, v1
	v_add_nc_u32_e32 v3, v1, v3
	v_lshrrev_b32_e32 v3, s7, v3
	v_mul_lo_u32 v3, v3, s19
	v_sub_nc_u32_e32 v3, v1, v3
	v_mad_u64_u32 v[0:1], null, v3, s14, v[0:1]
	v_mad_u64_u32 v[2:3], null, v3, s15, v[2:3]
.LBB31_836:
	s_waitcnt lgkmcnt(0)
	v_add_co_u32 v1, s0, s10, v2
	v_add_co_ci_u32_e64 v2, null, s11, 0, s0
	s_and_b32 s0, 0xffff, s30
	s_cmp_lt_i32 s0, 11
	s_cbranch_scc1 .LBB31_843
; %bb.837:
	s_cmp_gt_i32 s0, 25
	s_mov_b32 s6, 0
	s_cbranch_scc0 .LBB31_844
; %bb.838:
	s_cmp_gt_i32 s0, 28
	s_cbranch_scc0 .LBB31_845
; %bb.839:
	s_cmp_gt_i32 s0, 43
	;; [unrolled: 3-line block ×3, first 2 shown]
	s_cbranch_scc0 .LBB31_849
; %bb.841:
	s_cmp_eq_u32 s0, 46
	s_mov_b32 s10, 0
	s_cbranch_scc0 .LBB31_852
; %bb.842:
	global_load_dword v4, v[1:2], off
	s_mov_b32 s1, 0
	s_mov_b32 s7, -1
	s_branch .LBB31_854
.LBB31_843:
	s_mov_b32 s0, -1
	s_mov_b32 s7, 0
	s_mov_b32 s6, 0
	s_mov_b32 s1, s22
                                        ; implicit-def: $vgpr4
	s_branch .LBB31_917
.LBB31_844:
	s_mov_b32 s10, -1
	s_mov_b32 s7, 0
	s_mov_b32 s1, s22
                                        ; implicit-def: $vgpr4
	s_branch .LBB31_883
.LBB31_845:
	s_mov_b32 s10, -1
	s_mov_b32 s7, 0
	s_mov_b32 s1, s22
                                        ; implicit-def: $vgpr4
	s_branch .LBB31_864
.LBB31_846:
	s_mov_b32 s10, -1
	s_mov_b32 s7, 0
	s_mov_b32 s1, s22
                                        ; implicit-def: $vgpr4
	s_branch .LBB31_859
.LBB31_847:
	s_andn2_saveexec_b32 s45, s45
	s_cbranch_execz .LBB31_727
.LBB31_848:
	v_add_f32_e64 v4, 0x46000000, |v5|
	s_andn2_b32 s44, s44, exec_lo
	v_and_b32_e32 v4, 0xff, v4
	v_cmp_ne_u32_e32 vcc_lo, 0, v4
	s_and_b32 s46, vcc_lo, exec_lo
	s_or_b32 s44, s44, s46
	s_or_b32 exec_lo, exec_lo, s45
	v_mov_b32_e32 v6, 0
	s_and_saveexec_b32 s45, s44
	s_cbranch_execnz .LBB31_728
	s_branch .LBB31_729
.LBB31_849:
	s_mov_b32 s10, -1
	s_mov_b32 s7, 0
	s_mov_b32 s1, s22
	s_branch .LBB31_853
.LBB31_850:
	s_andn2_saveexec_b32 s45, s45
	s_cbranch_execz .LBB31_740
.LBB31_851:
	v_add_f32_e64 v4, 0x42800000, |v5|
	s_andn2_b32 s44, s44, exec_lo
	v_and_b32_e32 v4, 0xff, v4
	v_cmp_ne_u32_e32 vcc_lo, 0, v4
	s_and_b32 s46, vcc_lo, exec_lo
	s_or_b32 s44, s44, s46
	s_or_b32 exec_lo, exec_lo, s45
	v_mov_b32_e32 v6, 0
	s_and_saveexec_b32 s45, s44
	s_cbranch_execnz .LBB31_741
	s_branch .LBB31_742
.LBB31_852:
	s_mov_b32 s1, -1
	s_mov_b32 s7, 0
.LBB31_853:
                                        ; implicit-def: $vgpr4
.LBB31_854:
	s_and_b32 vcc_lo, exec_lo, s10
	s_cbranch_vccz .LBB31_858
; %bb.855:
	s_cmp_eq_u32 s0, 44
	s_cbranch_scc0 .LBB31_857
; %bb.856:
	global_load_ubyte v3, v[1:2], off
	s_mov_b32 s1, 0
	s_mov_b32 s7, -1
	s_waitcnt vmcnt(0)
	v_lshlrev_b32_e32 v4, 23, v3
	v_cmp_ne_u32_e32 vcc_lo, 0xff, v3
	v_cndmask_b32_e32 v4, 0x7f800001, v4, vcc_lo
	v_cmp_ne_u32_e32 vcc_lo, 0, v3
	v_cndmask_b32_e32 v3, 0x400000, v4, vcc_lo
	v_mov_b32_e32 v4, 0x7fc0
	v_cmp_o_f32_e32 vcc_lo, v3, v3
	v_add_nc_u32_e32 v3, 0x7fff, v3
	v_cndmask_b32_sdwa v4, v4, v3, vcc_lo dst_sel:DWORD dst_unused:UNUSED_PAD src0_sel:DWORD src1_sel:WORD_1
	s_branch .LBB31_858
.LBB31_857:
	s_mov_b32 s1, -1
                                        ; implicit-def: $vgpr4
.LBB31_858:
	s_mov_b32 s10, 0
.LBB31_859:
	s_and_b32 vcc_lo, exec_lo, s10
	s_cbranch_vccz .LBB31_863
; %bb.860:
	s_cmp_eq_u32 s0, 29
	s_cbranch_scc0 .LBB31_862
; %bb.861:
	global_load_dwordx2 v[3:4], v[1:2], off
	s_mov_b32 s1, 0
	s_mov_b32 s7, -1
	s_mov_b32 s10, 0
	s_waitcnt vmcnt(0)
	v_ffbh_u32_e32 v5, v4
	v_min_u32_e32 v5, 32, v5
	v_lshlrev_b64 v[3:4], v5, v[3:4]
	v_min_u32_e32 v3, 1, v3
	v_or_b32_e32 v3, v4, v3
	v_sub_nc_u32_e32 v4, 32, v5
	v_cvt_f32_u32_e32 v3, v3
	v_ldexp_f32 v3, v3, v4
	v_bfe_u32 v4, v3, 16, 1
	v_add3_u32 v3, v3, v4, 0x7fff
	v_lshrrev_b32_e32 v4, 16, v3
	s_branch .LBB31_864
.LBB31_862:
	s_mov_b32 s1, -1
                                        ; implicit-def: $vgpr4
.LBB31_863:
	s_mov_b32 s10, 0
.LBB31_864:
	s_and_b32 vcc_lo, exec_lo, s10
	s_cbranch_vccz .LBB31_882
; %bb.865:
	s_cmp_lt_i32 s0, 27
	s_cbranch_scc1 .LBB31_868
; %bb.866:
	s_cmp_gt_i32 s0, 27
	s_cbranch_scc0 .LBB31_869
; %bb.867:
	global_load_dword v3, v[1:2], off
	s_mov_b32 s7, 0
	s_waitcnt vmcnt(0)
	v_cvt_f32_u32_e32 v3, v3
	v_bfe_u32 v4, v3, 16, 1
	v_add3_u32 v3, v3, v4, 0x7fff
	v_lshrrev_b32_e32 v4, 16, v3
	s_branch .LBB31_870
.LBB31_868:
	s_mov_b32 s7, -1
                                        ; implicit-def: $vgpr4
	s_branch .LBB31_873
.LBB31_869:
	s_mov_b32 s7, -1
                                        ; implicit-def: $vgpr4
.LBB31_870:
	s_andn2_b32 vcc_lo, exec_lo, s7
	s_cbranch_vccnz .LBB31_872
; %bb.871:
	global_load_ushort v3, v[1:2], off
	s_waitcnt vmcnt(0)
	v_cvt_f32_u32_e32 v3, v3
	v_bfe_u32 v4, v3, 16, 1
	v_add3_u32 v3, v3, v4, 0x7fff
	v_lshrrev_b32_e32 v4, 16, v3
.LBB31_872:
	s_mov_b32 s7, 0
.LBB31_873:
	s_andn2_b32 vcc_lo, exec_lo, s7
	s_cbranch_vccnz .LBB31_881
; %bb.874:
	global_load_ubyte v3, v[1:2], off
	s_mov_b32 s7, 0
	s_mov_b32 s10, exec_lo
	s_waitcnt vmcnt(0)
	v_cmpx_lt_i16_e32 0x7f, v3
	s_xor_b32 s10, exec_lo, s10
	s_cbranch_execz .LBB31_895
; %bb.875:
	s_mov_b32 s7, -1
	s_mov_b32 s11, exec_lo
	v_cmpx_eq_u16_e32 0x80, v3
; %bb.876:
	s_xor_b32 s7, exec_lo, -1
; %bb.877:
	s_or_b32 exec_lo, exec_lo, s11
	s_and_b32 s7, s7, exec_lo
	s_or_saveexec_b32 s10, s10
	v_mov_b32_e32 v4, 0x7f800001
	s_xor_b32 exec_lo, exec_lo, s10
	s_cbranch_execnz .LBB31_896
.LBB31_878:
	s_or_b32 exec_lo, exec_lo, s10
	s_and_saveexec_b32 s10, s7
	s_cbranch_execz .LBB31_880
.LBB31_879:
	v_and_b32_e32 v4, 0xffff, v3
	v_lshlrev_b32_e32 v3, 24, v3
	v_and_b32_e32 v5, 7, v4
	v_bfe_u32 v8, v4, 3, 4
	v_and_b32_e32 v3, 0x80000000, v3
	v_ffbh_u32_e32 v6, v5
	v_cmp_eq_u32_e32 vcc_lo, 0, v8
	v_min_u32_e32 v6, 32, v6
	v_subrev_nc_u32_e32 v7, 28, v6
	v_sub_nc_u32_e32 v6, 29, v6
	v_lshlrev_b32_e32 v4, v7, v4
	v_cndmask_b32_e32 v6, v8, v6, vcc_lo
	v_and_b32_e32 v4, 7, v4
	v_cndmask_b32_e32 v4, v5, v4, vcc_lo
	v_lshl_add_u32 v5, v6, 23, 0x3b800000
	v_lshlrev_b32_e32 v4, 20, v4
	v_or3_b32 v4, v3, v5, v4
.LBB31_880:
	s_or_b32 exec_lo, exec_lo, s10
	v_bfe_u32 v3, v4, 16, 1
	v_cmp_o_f32_e32 vcc_lo, v4, v4
	v_add3_u32 v3, v4, v3, 0x7fff
	v_mov_b32_e32 v4, 0x7fc0
	v_cndmask_b32_sdwa v4, v4, v3, vcc_lo dst_sel:DWORD dst_unused:UNUSED_PAD src0_sel:DWORD src1_sel:WORD_1
.LBB31_881:
	s_mov_b32 s7, -1
.LBB31_882:
	s_mov_b32 s10, 0
.LBB31_883:
	s_and_b32 vcc_lo, exec_lo, s10
	s_cbranch_vccz .LBB31_916
; %bb.884:
	s_cmp_gt_i32 s0, 22
	s_cbranch_scc0 .LBB31_894
; %bb.885:
	s_cmp_lt_i32 s0, 24
	s_cbranch_scc1 .LBB31_897
; %bb.886:
	s_cmp_gt_i32 s0, 24
	s_cbranch_scc0 .LBB31_898
; %bb.887:
	global_load_ubyte v3, v[1:2], off
	s_mov_b32 s7, exec_lo
	s_waitcnt vmcnt(0)
	v_cmpx_lt_i16_e32 0x7f, v3
	s_xor_b32 s7, exec_lo, s7
	s_cbranch_execz .LBB31_910
; %bb.888:
	s_mov_b32 s6, -1
	s_mov_b32 s10, exec_lo
	v_cmpx_eq_u16_e32 0x80, v3
; %bb.889:
	s_xor_b32 s6, exec_lo, -1
; %bb.890:
	s_or_b32 exec_lo, exec_lo, s10
	s_and_b32 s6, s6, exec_lo
	s_or_saveexec_b32 s7, s7
	v_mov_b32_e32 v4, 0x7f800001
	s_xor_b32 exec_lo, exec_lo, s7
	s_cbranch_execnz .LBB31_911
.LBB31_891:
	s_or_b32 exec_lo, exec_lo, s7
	s_and_saveexec_b32 s7, s6
	s_cbranch_execz .LBB31_893
.LBB31_892:
	v_and_b32_e32 v4, 0xffff, v3
	v_lshlrev_b32_e32 v3, 24, v3
	v_and_b32_e32 v5, 3, v4
	v_bfe_u32 v8, v4, 2, 5
	v_and_b32_e32 v3, 0x80000000, v3
	v_ffbh_u32_e32 v6, v5
	v_cmp_eq_u32_e32 vcc_lo, 0, v8
	v_min_u32_e32 v6, 32, v6
	v_subrev_nc_u32_e32 v7, 29, v6
	v_sub_nc_u32_e32 v6, 30, v6
	v_lshlrev_b32_e32 v4, v7, v4
	v_cndmask_b32_e32 v6, v8, v6, vcc_lo
	v_and_b32_e32 v4, 3, v4
	v_cndmask_b32_e32 v4, v5, v4, vcc_lo
	v_lshl_add_u32 v5, v6, 23, 0x37800000
	v_lshlrev_b32_e32 v4, 21, v4
	v_or3_b32 v4, v3, v5, v4
.LBB31_893:
	s_or_b32 exec_lo, exec_lo, s7
	v_bfe_u32 v3, v4, 16, 1
	v_cmp_o_f32_e32 vcc_lo, v4, v4
	s_mov_b32 s6, 0
	v_add3_u32 v3, v4, v3, 0x7fff
	v_mov_b32_e32 v4, 0x7fc0
	v_cndmask_b32_sdwa v4, v4, v3, vcc_lo dst_sel:DWORD dst_unused:UNUSED_PAD src0_sel:DWORD src1_sel:WORD_1
	s_branch .LBB31_899
.LBB31_894:
	s_mov_b32 s6, -1
                                        ; implicit-def: $vgpr4
	s_branch .LBB31_905
.LBB31_895:
	s_or_saveexec_b32 s10, s10
	v_mov_b32_e32 v4, 0x7f800001
	s_xor_b32 exec_lo, exec_lo, s10
	s_cbranch_execz .LBB31_878
.LBB31_896:
	v_cmp_ne_u16_e32 vcc_lo, 0, v3
	v_mov_b32_e32 v4, 0
	s_andn2_b32 s7, s7, exec_lo
	s_and_b32 s11, vcc_lo, exec_lo
	s_or_b32 s7, s7, s11
	s_or_b32 exec_lo, exec_lo, s10
	s_and_saveexec_b32 s10, s7
	s_cbranch_execnz .LBB31_879
	s_branch .LBB31_880
.LBB31_897:
	s_mov_b32 s6, -1
                                        ; implicit-def: $vgpr4
	s_branch .LBB31_902
.LBB31_898:
	s_mov_b32 s6, -1
                                        ; implicit-def: $vgpr4
.LBB31_899:
	s_and_b32 vcc_lo, exec_lo, s6
	s_cbranch_vccz .LBB31_901
; %bb.900:
	global_load_ubyte v3, v[1:2], off
	s_waitcnt vmcnt(0)
	v_lshlrev_b32_e32 v3, 24, v3
	v_and_b32_e32 v4, 0x7f000000, v3
	v_ffbh_u32_e32 v5, v4
	v_add_nc_u32_e32 v7, 0x1000000, v4
	v_cmp_ne_u32_e32 vcc_lo, 0, v4
	v_min_u32_e32 v5, 32, v5
	v_sub_nc_u32_e64 v5, v5, 4 clamp
	v_lshlrev_b32_e32 v6, v5, v4
	v_lshlrev_b32_e32 v5, 23, v5
	v_lshrrev_b32_e32 v6, 4, v6
	v_sub_nc_u32_e32 v5, v6, v5
	v_ashrrev_i32_e32 v6, 8, v7
	v_add_nc_u32_e32 v5, 0x3c000000, v5
	v_and_or_b32 v5, 0x7f800000, v6, v5
	v_cndmask_b32_e32 v4, 0, v5, vcc_lo
	v_and_or_b32 v3, 0x80000000, v3, v4
	v_bfe_u32 v4, v4, 16, 1
	v_cmp_o_f32_e32 vcc_lo, v3, v3
	v_add3_u32 v3, v3, v4, 0x7fff
	v_mov_b32_e32 v4, 0x7fc0
	v_cndmask_b32_sdwa v4, v4, v3, vcc_lo dst_sel:DWORD dst_unused:UNUSED_PAD src0_sel:DWORD src1_sel:WORD_1
.LBB31_901:
	s_mov_b32 s6, 0
.LBB31_902:
	s_andn2_b32 vcc_lo, exec_lo, s6
	s_cbranch_vccnz .LBB31_904
; %bb.903:
	global_load_ubyte v3, v[1:2], off
	s_waitcnt vmcnt(0)
	v_lshlrev_b32_e32 v4, 25, v3
	v_lshlrev_b16 v3, 8, v3
	v_lshrrev_b32_e32 v5, 4, v4
	v_and_or_b32 v6, 0x7f00, v3, 0.5
	v_cmp_gt_u32_e32 vcc_lo, 0x8000000, v4
	v_bfe_i32 v3, v3, 0, 16
	v_or_b32_e32 v5, 0x70000000, v5
	v_add_f32_e32 v6, -0.5, v6
	v_mul_f32_e32 v5, 0x7800000, v5
	v_cndmask_b32_e32 v4, v5, v6, vcc_lo
	v_and_or_b32 v3, 0x80000000, v3, v4
	v_bfe_u32 v4, v4, 16, 1
	v_cmp_o_f32_e32 vcc_lo, v3, v3
	v_add3_u32 v3, v3, v4, 0x7fff
	v_mov_b32_e32 v4, 0x7fc0
	v_cndmask_b32_sdwa v4, v4, v3, vcc_lo dst_sel:DWORD dst_unused:UNUSED_PAD src0_sel:DWORD src1_sel:WORD_1
.LBB31_904:
	s_mov_b32 s6, 0
	s_mov_b32 s7, -1
.LBB31_905:
	s_andn2_b32 vcc_lo, exec_lo, s6
	s_mov_b32 s6, 0
	s_cbranch_vccnz .LBB31_916
; %bb.906:
	s_cmp_gt_i32 s0, 14
	s_cbranch_scc0 .LBB31_909
; %bb.907:
	s_cmp_eq_u32 s0, 15
	s_cbranch_scc0 .LBB31_912
; %bb.908:
	global_load_ushort v4, v[1:2], off
	s_mov_b32 s1, 0
	s_mov_b32 s7, -1
	s_branch .LBB31_914
.LBB31_909:
	s_mov_b32 s6, -1
	s_branch .LBB31_913
.LBB31_910:
	s_or_saveexec_b32 s7, s7
	v_mov_b32_e32 v4, 0x7f800001
	s_xor_b32 exec_lo, exec_lo, s7
	s_cbranch_execz .LBB31_891
.LBB31_911:
	v_cmp_ne_u16_e32 vcc_lo, 0, v3
	v_mov_b32_e32 v4, 0
	s_andn2_b32 s6, s6, exec_lo
	s_and_b32 s10, vcc_lo, exec_lo
	s_or_b32 s6, s6, s10
	s_or_b32 exec_lo, exec_lo, s7
	s_and_saveexec_b32 s7, s6
	s_cbranch_execnz .LBB31_892
	s_branch .LBB31_893
.LBB31_912:
	s_mov_b32 s1, -1
.LBB31_913:
                                        ; implicit-def: $vgpr4
.LBB31_914:
	s_and_b32 vcc_lo, exec_lo, s6
	s_mov_b32 s6, 0
	s_cbranch_vccz .LBB31_916
; %bb.915:
	s_cmp_lg_u32 s0, 11
	s_mov_b32 s6, -1
	s_cselect_b32 s0, -1, 0
	s_andn2_b32 s1, s1, exec_lo
	s_and_b32 s0, s0, exec_lo
	s_or_b32 s1, s1, s0
.LBB31_916:
	s_mov_b32 s0, 0
.LBB31_917:
	s_and_b32 s43, s7, exec_lo
	s_andn2_b32 s7, s22, exec_lo
	s_and_b32 s1, s1, exec_lo
	s_and_b32 s44, s0, exec_lo
	;; [unrolled: 1-line block ×3, first 2 shown]
	s_or_b32 s45, s7, s1
.LBB31_918:
	s_or_b32 exec_lo, exec_lo, s33
	s_waitcnt lgkmcnt(0)
	s_andn2_b32 s6, s22, exec_lo
	s_and_b32 s7, s45, exec_lo
	s_and_b32 s43, s43, exec_lo
	;; [unrolled: 1-line block ×4, first 2 shown]
	s_or_b32 s22, s6, s7
.LBB31_919:
	s_or_b32 exec_lo, exec_lo, s42
	s_waitcnt lgkmcnt(0)
	s_andn2_b32 s6, s40, exec_lo
	s_and_b32 s7, s23, exec_lo
	s_and_b32 s42, s43, exec_lo
	s_or_b32 s40, s6, s7
	s_andn2_b32 s6, s39, exec_lo
	s_and_b32 s7, s22, exec_lo
	s_and_b32 s23, s1, exec_lo
	;; [unrolled: 1-line block ×3, first 2 shown]
	s_or_b32 s39, s6, s7
.LBB31_920:
	s_or_b32 exec_lo, exec_lo, s41
	s_andn2_b32 s0, s36, exec_lo
	s_waitcnt lgkmcnt(0)
	s_and_b32 s6, s40, exec_lo
	s_and_b32 s7, s39, exec_lo
	s_or_b32 s36, s0, s6
	s_andn2_b32 s6, s37, exec_lo
	s_and_b32 s0, s42, exec_lo
	s_and_b32 s22, s23, exec_lo
	;; [unrolled: 1-line block ×3, first 2 shown]
	s_or_b32 s37, s6, s7
	s_or_b32 exec_lo, exec_lo, s38
	s_mov_b32 s1, 0
	s_and_saveexec_b32 s6, s37
	s_cbranch_execz .LBB31_274
.LBB31_921:
	s_mov_b32 s1, exec_lo
	s_andn2_b32 s39, s39, exec_lo
	s_trap 2
	s_or_b32 exec_lo, exec_lo, s6
	s_and_saveexec_b32 s6, s39
	s_xor_b32 s6, exec_lo, s6
	s_cbranch_execnz .LBB31_275
.LBB31_922:
	s_or_b32 exec_lo, exec_lo, s6
	s_and_saveexec_b32 s6, s22
	s_cbranch_execz .LBB31_968
.LBB31_923:
	s_sext_i32_i16 s7, s30
	s_cmp_lt_i32 s7, 5
	s_cbranch_scc1 .LBB31_928
; %bb.924:
	s_cmp_lt_i32 s7, 8
	s_cbranch_scc1 .LBB31_929
; %bb.925:
	;; [unrolled: 3-line block ×3, first 2 shown]
	s_cmp_gt_i32 s7, 9
	s_cbranch_scc0 .LBB31_931
; %bb.927:
	global_load_dwordx2 v[3:4], v[1:2], off
	s_mov_b32 s7, 0
	s_waitcnt vmcnt(0)
	v_cvt_f32_f64_e32 v3, v[3:4]
	v_bfe_u32 v4, v3, 16, 1
	v_cmp_o_f32_e32 vcc_lo, v3, v3
	v_add3_u32 v3, v3, v4, 0x7fff
	v_mov_b32_e32 v4, 0x7fc0
	v_cndmask_b32_sdwa v4, v4, v3, vcc_lo dst_sel:DWORD dst_unused:UNUSED_PAD src0_sel:DWORD src1_sel:WORD_1
	s_branch .LBB31_932
.LBB31_928:
                                        ; implicit-def: $vgpr4
	s_branch .LBB31_949
.LBB31_929:
                                        ; implicit-def: $vgpr4
	s_branch .LBB31_938
.LBB31_930:
	s_mov_b32 s7, -1
                                        ; implicit-def: $vgpr4
	s_branch .LBB31_935
.LBB31_931:
	s_mov_b32 s7, -1
                                        ; implicit-def: $vgpr4
.LBB31_932:
	s_andn2_b32 vcc_lo, exec_lo, s7
	s_cbranch_vccnz .LBB31_934
; %bb.933:
	global_load_dword v3, v[1:2], off
	s_waitcnt vmcnt(0)
	v_bfe_u32 v4, v3, 16, 1
	v_cmp_o_f32_e32 vcc_lo, v3, v3
	v_add3_u32 v3, v3, v4, 0x7fff
	v_mov_b32_e32 v4, 0x7fc0
	v_cndmask_b32_sdwa v4, v4, v3, vcc_lo dst_sel:DWORD dst_unused:UNUSED_PAD src0_sel:DWORD src1_sel:WORD_1
.LBB31_934:
	s_mov_b32 s7, 0
.LBB31_935:
	s_andn2_b32 vcc_lo, exec_lo, s7
	s_cbranch_vccnz .LBB31_937
; %bb.936:
	global_load_dword v3, v[1:2], off
	s_waitcnt vmcnt(0)
	v_cvt_f32_f16_e32 v4, v3
	v_cmp_o_f16_e32 vcc_lo, v3, v3
	v_bfe_u32 v5, v4, 16, 1
	v_add3_u32 v3, v4, v5, 0x7fff
	v_mov_b32_e32 v4, 0x7fc0
	v_cndmask_b32_sdwa v4, v4, v3, vcc_lo dst_sel:DWORD dst_unused:UNUSED_PAD src0_sel:DWORD src1_sel:WORD_1
.LBB31_937:
	s_cbranch_execnz .LBB31_948
.LBB31_938:
	s_sext_i32_i16 s7, s30
	s_cmp_lt_i32 s7, 6
	s_cbranch_scc1 .LBB31_941
; %bb.939:
	s_cmp_gt_i32 s7, 6
	s_cbranch_scc0 .LBB31_942
; %bb.940:
	global_load_dwordx2 v[3:4], v[1:2], off
	s_mov_b32 s7, 0
	s_waitcnt vmcnt(0)
	v_cvt_f32_f64_e32 v3, v[3:4]
	v_bfe_u32 v4, v3, 16, 1
	v_cmp_o_f32_e32 vcc_lo, v3, v3
	v_add3_u32 v3, v3, v4, 0x7fff
	v_mov_b32_e32 v4, 0x7fc0
	v_cndmask_b32_sdwa v4, v4, v3, vcc_lo dst_sel:DWORD dst_unused:UNUSED_PAD src0_sel:DWORD src1_sel:WORD_1
	s_branch .LBB31_943
.LBB31_941:
	s_mov_b32 s7, -1
                                        ; implicit-def: $vgpr4
	s_branch .LBB31_946
.LBB31_942:
	s_mov_b32 s7, -1
                                        ; implicit-def: $vgpr4
.LBB31_943:
	s_andn2_b32 vcc_lo, exec_lo, s7
	s_cbranch_vccnz .LBB31_945
; %bb.944:
	global_load_dword v3, v[1:2], off
	s_waitcnt vmcnt(0)
	v_bfe_u32 v4, v3, 16, 1
	v_cmp_o_f32_e32 vcc_lo, v3, v3
	v_add3_u32 v3, v3, v4, 0x7fff
	v_mov_b32_e32 v4, 0x7fc0
	v_cndmask_b32_sdwa v4, v4, v3, vcc_lo dst_sel:DWORD dst_unused:UNUSED_PAD src0_sel:DWORD src1_sel:WORD_1
.LBB31_945:
	s_mov_b32 s7, 0
.LBB31_946:
	s_andn2_b32 vcc_lo, exec_lo, s7
	s_cbranch_vccnz .LBB31_948
; %bb.947:
	global_load_ushort v3, v[1:2], off
	s_waitcnt vmcnt(0)
	v_cvt_f32_f16_e32 v4, v3
	v_cmp_o_f16_e32 vcc_lo, v3, v3
	v_bfe_u32 v5, v4, 16, 1
	v_add3_u32 v3, v4, v5, 0x7fff
	v_mov_b32_e32 v4, 0x7fc0
	v_cndmask_b32_sdwa v4, v4, v3, vcc_lo dst_sel:DWORD dst_unused:UNUSED_PAD src0_sel:DWORD src1_sel:WORD_1
.LBB31_948:
	s_cbranch_execnz .LBB31_967
.LBB31_949:
	s_sext_i32_i16 s7, s30
	s_cmp_lt_i32 s7, 2
	s_cbranch_scc1 .LBB31_953
; %bb.950:
	s_cmp_lt_i32 s7, 3
	s_cbranch_scc1 .LBB31_954
; %bb.951:
	s_cmp_gt_i32 s7, 3
	s_cbranch_scc0 .LBB31_955
; %bb.952:
	global_load_dwordx2 v[3:4], v[1:2], off
	s_mov_b32 s7, 0
	s_waitcnt vmcnt(0)
	v_xor_b32_e32 v5, v3, v4
	v_ffbh_i32_e32 v6, v4
	v_ashrrev_i32_e32 v5, 31, v5
	v_add_nc_u32_e32 v6, -1, v6
	v_add_nc_u32_e32 v5, 32, v5
	v_min_u32_e32 v5, v6, v5
	v_lshlrev_b64 v[3:4], v5, v[3:4]
	v_min_u32_e32 v3, 1, v3
	v_or_b32_e32 v3, v4, v3
	v_sub_nc_u32_e32 v4, 32, v5
	v_cvt_f32_i32_e32 v3, v3
	v_ldexp_f32 v3, v3, v4
	v_bfe_u32 v4, v3, 16, 1
	v_add3_u32 v3, v3, v4, 0x7fff
	v_lshrrev_b32_e32 v4, 16, v3
	s_branch .LBB31_956
.LBB31_953:
                                        ; implicit-def: $vgpr4
	s_branch .LBB31_962
.LBB31_954:
	s_mov_b32 s7, -1
                                        ; implicit-def: $vgpr4
	s_branch .LBB31_959
.LBB31_955:
	s_mov_b32 s7, -1
                                        ; implicit-def: $vgpr4
.LBB31_956:
	s_andn2_b32 vcc_lo, exec_lo, s7
	s_cbranch_vccnz .LBB31_958
; %bb.957:
	global_load_dword v3, v[1:2], off
	s_waitcnt vmcnt(0)
	v_cvt_f32_i32_e32 v3, v3
	v_bfe_u32 v4, v3, 16, 1
	v_add3_u32 v3, v3, v4, 0x7fff
	v_lshrrev_b32_e32 v4, 16, v3
.LBB31_958:
	s_mov_b32 s7, 0
.LBB31_959:
	s_andn2_b32 vcc_lo, exec_lo, s7
	s_cbranch_vccnz .LBB31_961
; %bb.960:
	global_load_sshort v3, v[1:2], off
	s_waitcnt vmcnt(0)
	v_cvt_f32_i32_e32 v3, v3
	v_bfe_u32 v4, v3, 16, 1
	v_add3_u32 v3, v3, v4, 0x7fff
	v_lshrrev_b32_e32 v4, 16, v3
.LBB31_961:
	s_cbranch_execnz .LBB31_967
.LBB31_962:
	s_sext_i32_i16 s7, s30
	s_cmp_gt_i32 s7, 0
	s_mov_b32 s7, 0
	s_cbranch_scc0 .LBB31_964
; %bb.963:
	global_load_sbyte v3, v[1:2], off
	s_waitcnt vmcnt(0)
	v_cvt_f32_i32_e32 v3, v3
	v_bfe_u32 v4, v3, 16, 1
	v_add3_u32 v3, v3, v4, 0x7fff
	v_lshrrev_b32_e32 v4, 16, v3
	s_branch .LBB31_965
.LBB31_964:
	s_mov_b32 s7, -1
                                        ; implicit-def: $vgpr4
.LBB31_965:
	s_andn2_b32 vcc_lo, exec_lo, s7
	s_cbranch_vccnz .LBB31_967
; %bb.966:
	global_load_ubyte v1, v[1:2], off
	s_waitcnt vmcnt(0)
	v_cvt_f32_ubyte0_e32 v1, v1
	v_bfe_u32 v2, v1, 16, 1
	v_add3_u32 v1, v1, v2, 0x7fff
	v_lshrrev_b32_e32 v4, 16, v1
.LBB31_967:
	s_or_b32 s0, s0, exec_lo
.LBB31_968:
	s_or_b32 exec_lo, exec_lo, s6
	s_mov_b32 s11, 0
	s_mov_b32 s10, 0
                                        ; implicit-def: $sgpr6
                                        ; implicit-def: $vgpr1_vgpr2
                                        ; implicit-def: $vgpr3
	s_and_saveexec_b32 s7, s0
	s_cbranch_execz .LBB31_976
; %bb.969:
	s_waitcnt vmcnt(0)
	v_lshlrev_b32_e32 v1, 16, v4
	s_mov_b32 s0, 0x3b2d2a58
	s_and_b32 s6, s29, 0xff
	s_cmp_lt_i32 s6, 11
	v_rcp_f32_e64 v2, |v1|
	v_cmp_gt_f32_e64 vcc_lo, |v1|, 1.0
	v_cndmask_b32_e64 v2, |v1|, v2, vcc_lo
	v_mul_f32_e32 v3, v2, v2
	v_fmaak_f32 v4, s0, v3, 0xbc7a590c
	v_fmaak_f32 v4, v3, v4, 0x3d29fb3f
	v_fmaak_f32 v4, v3, v4, 0xbd97d4d7
	v_fmaak_f32 v4, v3, v4, 0x3dd931b2
	v_fmaak_f32 v4, v3, v4, 0xbe1160e6
	v_fmaak_f32 v4, v3, v4, 0x3e4cb8bf
	v_fmaak_f32 v4, v3, v4, 0xbeaaaa62
	v_mul_f32_e32 v3, v3, v4
	v_fmac_f32_e32 v2, v2, v3
	v_sub_f32_e32 v3, 0x3fc90fdb, v2
	v_cndmask_b32_e32 v2, v2, v3, vcc_lo
	v_mov_b32_e32 v3, 0x7fc0
	v_bfi_b32 v1, 0x7fffffff, v2, v1
	v_bfe_u32 v2, v1, 16, 1
	v_cmp_o_f32_e32 vcc_lo, v1, v1
	v_add3_u32 v4, v1, v2, 0x7fff
	v_add_co_u32 v1, s0, s8, v0
	v_add_co_ci_u32_e64 v2, null, s9, 0, s0
	v_cndmask_b32_sdwa v3, v3, v4, vcc_lo dst_sel:DWORD dst_unused:UNUSED_PAD src0_sel:DWORD src1_sel:WORD_1
	s_cbranch_scc1 .LBB31_979
; %bb.970:
	s_and_b32 s8, 0xffff, s6
	s_mov_b32 s9, -1
	s_cmp_gt_i32 s8, 25
	s_mov_b32 s0, s36
	s_cbranch_scc0 .LBB31_1007
; %bb.971:
	s_cmp_gt_i32 s8, 28
	s_mov_b32 s0, s36
	s_cbranch_scc0 .LBB31_991
; %bb.972:
	;; [unrolled: 4-line block ×4, first 2 shown]
	s_cmp_eq_u32 s8, 46
	s_mov_b32 s0, -1
	s_cbranch_scc0 .LBB31_980
; %bb.975:
	v_and_b32_e32 v0, 0xffff, v3
	s_mov_b32 s0, 0
	s_mov_b32 s9, 0
	global_store_dword v[1:2], v0, off
	s_branch .LBB31_981
.LBB31_976:
	s_or_b32 exec_lo, exec_lo, s7
	s_and_saveexec_b32 s0, s36
	s_cbranch_execnz .LBB31_1049
.LBB31_977:
	s_or_b32 exec_lo, exec_lo, s0
	s_and_saveexec_b32 s0, s11
	s_xor_b32 s0, exec_lo, s0
	s_cbranch_execz .LBB31_1050
.LBB31_978:
	s_waitcnt vmcnt(0)
	v_and_b32_e32 v0, 0x7fff, v3
	v_cmp_ne_u16_e32 vcc_lo, 0, v0
	v_cndmask_b32_e64 v0, 0, 1, vcc_lo
	global_store_byte v[1:2], v0, off
	s_or_b32 exec_lo, exec_lo, s0
	s_and_saveexec_b32 s0, s10
	s_xor_b32 s0, exec_lo, s0
	s_cbranch_execz .LBB31_1088
	s_branch .LBB31_1051
.LBB31_979:
	s_mov_b32 s9, -1
	s_mov_b32 s0, s36
	s_branch .LBB31_1048
.LBB31_980:
	s_mov_b32 s9, 0
.LBB31_981:
	s_and_b32 vcc_lo, exec_lo, s9
	s_cbranch_vccz .LBB31_986
; %bb.982:
	s_cmp_eq_u32 s8, 44
	s_mov_b32 s0, -1
	s_cbranch_scc0 .LBB31_986
; %bb.983:
	v_and_b32_e32 v0, 0xffff, v3
	v_mov_b32_e32 v4, 0xff
	s_mov_b32 s9, exec_lo
	v_bfe_u32 v5, v0, 7, 8
	v_cmpx_ne_u32_e32 0xff, v5
	s_cbranch_execz .LBB31_985
; %bb.984:
	v_lshlrev_b32_e32 v4, 16, v0
	v_and_b32_e32 v6, 64, v0
	v_lshrrev_b32_e32 v0, 7, v0
	v_and_or_b32 v4, 0x3f0000, v4, v5
	v_cmp_ne_u32_e32 vcc_lo, 0, v6
	v_cmp_ne_u32_e64 s0, 0, v4
	s_and_b32 s0, vcc_lo, s0
	v_cndmask_b32_e64 v4, 0, 1, s0
	v_add_nc_u32_e32 v4, v0, v4
.LBB31_985:
	s_or_b32 exec_lo, exec_lo, s9
	s_mov_b32 s0, 0
	global_store_byte v[1:2], v4, off
.LBB31_986:
	s_mov_b32 s9, 0
.LBB31_987:
	s_and_b32 vcc_lo, exec_lo, s9
	s_cbranch_vccz .LBB31_990
; %bb.988:
	s_cmp_eq_u32 s8, 29
	s_mov_b32 s0, -1
	s_cbranch_scc0 .LBB31_990
; %bb.989:
	v_lshlrev_b32_e32 v0, 16, v3
	s_mov_b32 s0, 0
	s_mov_b32 s9, 0
	v_trunc_f32_e32 v0, v0
	v_mul_f32_e32 v4, 0x2f800000, v0
	v_floor_f32_e32 v4, v4
	v_fmamk_f32 v0, v4, 0xcf800000, v0
	v_cvt_u32_f32_e32 v5, v4
	v_cvt_u32_f32_e32 v4, v0
	global_store_dwordx2 v[1:2], v[4:5], off
	s_branch .LBB31_991
.LBB31_990:
	s_mov_b32 s9, 0
.LBB31_991:
	s_and_b32 vcc_lo, exec_lo, s9
	s_cbranch_vccz .LBB31_1006
; %bb.992:
	s_cmp_lt_i32 s8, 27
	s_mov_b32 s9, -1
	s_cbranch_scc1 .LBB31_998
; %bb.993:
	s_cmp_gt_i32 s8, 27
	s_cbranch_scc0 .LBB31_995
; %bb.994:
	v_lshlrev_b32_e32 v0, 16, v3
	s_mov_b32 s9, 0
	v_cvt_u32_f32_e32 v0, v0
	global_store_dword v[1:2], v0, off
.LBB31_995:
	s_andn2_b32 vcc_lo, exec_lo, s9
	s_cbranch_vccnz .LBB31_997
; %bb.996:
	v_lshlrev_b32_e32 v0, 16, v3
	v_cvt_u32_f32_e32 v0, v0
	global_store_short v[1:2], v0, off
.LBB31_997:
	s_mov_b32 s9, 0
.LBB31_998:
	s_andn2_b32 vcc_lo, exec_lo, s9
	s_cbranch_vccnz .LBB31_1006
; %bb.999:
	v_lshlrev_b32_e32 v5, 16, v3
	v_mov_b32_e32 v6, 0x80
	s_mov_b32 s9, exec_lo
	v_and_b32_e32 v4, 0x7fffffff, v5
	v_cmpx_gt_u32_e32 0x43800000, v4
	s_cbranch_execz .LBB31_1005
; %bb.1000:
	v_and_b32_e32 v0, 0xffff, v3
	v_cmp_lt_u32_e32 vcc_lo, 0x3bffffff, v4
                                        ; implicit-def: $vgpr4
	s_and_saveexec_b32 s11, vcc_lo
	s_xor_b32 s11, exec_lo, s11
	s_cbranch_execz .LBB31_1159
; %bb.1001:
	v_bfe_u32 v4, v0, 4, 1
	s_mov_b32 s10, exec_lo
	v_add3_u32 v4, v5, v4, 0x487ffff
                                        ; implicit-def: $vgpr5
	v_lshrrev_b32_e32 v4, 20, v4
	s_andn2_saveexec_b32 s11, s11
	s_cbranch_execnz .LBB31_1160
.LBB31_1002:
	s_or_b32 exec_lo, exec_lo, s11
	v_mov_b32_e32 v6, 0
	s_and_saveexec_b32 s11, s10
.LBB31_1003:
	v_lshrrev_b32_e32 v0, 8, v0
	v_and_or_b32 v6, 0x80, v0, v4
.LBB31_1004:
	s_or_b32 exec_lo, exec_lo, s11
.LBB31_1005:
	s_or_b32 exec_lo, exec_lo, s9
	global_store_byte v[1:2], v6, off
.LBB31_1006:
	s_mov_b32 s9, 0
.LBB31_1007:
	s_and_b32 vcc_lo, exec_lo, s9
	s_mov_b32 s9, 0
	s_cbranch_vccz .LBB31_1047
; %bb.1008:
	s_cmp_gt_i32 s8, 22
	s_mov_b32 s10, -1
	s_cbranch_scc0 .LBB31_1040
; %bb.1009:
	s_cmp_lt_i32 s8, 24
	s_cbranch_scc1 .LBB31_1029
; %bb.1010:
	s_cmp_gt_i32 s8, 24
	s_cbranch_scc0 .LBB31_1018
; %bb.1011:
	v_lshlrev_b32_e32 v5, 16, v3
	v_mov_b32_e32 v6, 0x80
	s_mov_b32 s10, exec_lo
	v_and_b32_e32 v4, 0x7fffffff, v5
	v_cmpx_gt_u32_e32 0x47800000, v4
	s_cbranch_execz .LBB31_1017
; %bb.1012:
	v_and_b32_e32 v0, 0xffff, v3
	v_cmp_lt_u32_e32 vcc_lo, 0x37ffffff, v4
	s_mov_b32 s11, 0
                                        ; implicit-def: $vgpr4
	s_and_saveexec_b32 s12, vcc_lo
	s_xor_b32 s12, exec_lo, s12
	s_cbranch_execz .LBB31_1285
; %bb.1013:
	v_bfe_u32 v4, v0, 5, 1
	s_mov_b32 s11, exec_lo
	v_add3_u32 v4, v5, v4, 0x88fffff
                                        ; implicit-def: $vgpr5
	v_lshrrev_b32_e32 v4, 21, v4
	s_andn2_saveexec_b32 s12, s12
	s_cbranch_execnz .LBB31_1286
.LBB31_1014:
	s_or_b32 exec_lo, exec_lo, s12
	v_mov_b32_e32 v6, 0
	s_and_saveexec_b32 s12, s11
.LBB31_1015:
	v_lshrrev_b32_e32 v0, 8, v0
	v_and_or_b32 v6, 0x80, v0, v4
.LBB31_1016:
	s_or_b32 exec_lo, exec_lo, s12
.LBB31_1017:
	s_or_b32 exec_lo, exec_lo, s10
	s_mov_b32 s10, 0
	global_store_byte v[1:2], v6, off
.LBB31_1018:
	s_and_b32 vcc_lo, exec_lo, s10
	s_cbranch_vccz .LBB31_1028
; %bb.1019:
	v_lshlrev_b32_e32 v5, 16, v3
	v_and_b32_e32 v0, 0xffff, v3
	s_mov_b32 s10, exec_lo
                                        ; implicit-def: $vgpr4
	v_and_b32_e32 v6, 0x7fffffff, v5
	v_cmpx_gt_u32_e32 0x43f00000, v6
	s_xor_b32 s10, exec_lo, s10
	s_cbranch_execz .LBB31_1025
; %bb.1020:
	s_mov_b32 s11, exec_lo
                                        ; implicit-def: $vgpr4
	v_cmpx_lt_u32_e32 0x3c7fffff, v6
	s_xor_b32 s11, exec_lo, s11
; %bb.1021:
	v_bfe_u32 v4, v0, 4, 1
	v_add3_u32 v4, v5, v4, 0x407ffff
	v_and_b32_e32 v5, 0xff00000, v4
	v_lshrrev_b32_e32 v4, 20, v4
	v_cmp_ne_u32_e32 vcc_lo, 0x7f00000, v5
                                        ; implicit-def: $vgpr5
	v_cndmask_b32_e32 v4, 0x7e, v4, vcc_lo
; %bb.1022:
	s_andn2_saveexec_b32 s11, s11
; %bb.1023:
	v_add_f32_e64 v4, 0x46800000, |v5|
; %bb.1024:
	s_or_b32 exec_lo, exec_lo, s11
                                        ; implicit-def: $vgpr6
.LBB31_1025:
	s_andn2_saveexec_b32 s10, s10
; %bb.1026:
	v_mov_b32_e32 v4, 0x7f
	v_cmp_lt_u32_e32 vcc_lo, 0x7f800000, v6
	v_cndmask_b32_e32 v4, 0x7e, v4, vcc_lo
; %bb.1027:
	s_or_b32 exec_lo, exec_lo, s10
	v_lshrrev_b32_e32 v0, 8, v0
	v_and_or_b32 v0, 0x80, v0, v4
	global_store_byte v[1:2], v0, off
.LBB31_1028:
	s_mov_b32 s10, 0
.LBB31_1029:
	s_andn2_b32 vcc_lo, exec_lo, s10
	s_cbranch_vccnz .LBB31_1039
; %bb.1030:
	v_lshlrev_b32_e32 v5, 16, v3
	v_and_b32_e32 v0, 0xffff, v3
	s_mov_b32 s10, exec_lo
                                        ; implicit-def: $vgpr4
	v_and_b32_e32 v6, 0x7fffffff, v5
	v_cmpx_gt_u32_e32 0x47800000, v6
	s_xor_b32 s10, exec_lo, s10
	s_cbranch_execz .LBB31_1036
; %bb.1031:
	s_mov_b32 s11, exec_lo
                                        ; implicit-def: $vgpr4
	v_cmpx_lt_u32_e32 0x387fffff, v6
	s_xor_b32 s11, exec_lo, s11
; %bb.1032:
	v_bfe_u32 v4, v0, 5, 1
	v_add3_u32 v4, v5, v4, 0x80fffff
                                        ; implicit-def: $vgpr5
	v_lshrrev_b32_e32 v4, 21, v4
; %bb.1033:
	s_andn2_saveexec_b32 s11, s11
; %bb.1034:
	v_add_f32_e64 v4, 0x43000000, |v5|
; %bb.1035:
	s_or_b32 exec_lo, exec_lo, s11
                                        ; implicit-def: $vgpr6
.LBB31_1036:
	s_andn2_saveexec_b32 s10, s10
; %bb.1037:
	v_mov_b32_e32 v4, 0x7f
	v_cmp_lt_u32_e32 vcc_lo, 0x7f800000, v6
	v_cndmask_b32_e32 v4, 0x7c, v4, vcc_lo
; %bb.1038:
	s_or_b32 exec_lo, exec_lo, s10
	v_lshrrev_b32_e32 v0, 8, v0
	v_and_or_b32 v0, 0x80, v0, v4
	global_store_byte v[1:2], v0, off
.LBB31_1039:
	s_mov_b32 s10, 0
.LBB31_1040:
	s_andn2_b32 vcc_lo, exec_lo, s10
	s_mov_b32 s11, 0
	s_cbranch_vccnz .LBB31_1048
; %bb.1041:
	s_cmp_gt_i32 s8, 14
	s_mov_b32 s10, -1
	s_cbranch_scc0 .LBB31_1045
; %bb.1042:
	s_cmp_eq_u32 s8, 15
	s_mov_b32 s0, -1
	s_cbranch_scc0 .LBB31_1044
; %bb.1043:
	s_mov_b32 s0, 0
	global_store_short v[1:2], v3, off
.LBB31_1044:
	s_mov_b32 s10, 0
.LBB31_1045:
	s_and_b32 vcc_lo, exec_lo, s10
	s_cbranch_vccz .LBB31_1048
; %bb.1046:
	s_cmp_lg_u32 s8, 11
	s_mov_b32 s11, -1
	s_cselect_b32 s8, -1, 0
	s_andn2_b32 s0, s0, exec_lo
	s_and_b32 s8, s8, exec_lo
	s_or_b32 s0, s0, s8
	s_branch .LBB31_1048
.LBB31_1047:
	s_mov_b32 s11, 0
.LBB31_1048:
	s_andn2_b32 s8, s36, exec_lo
	s_and_b32 s0, s0, exec_lo
	s_and_b32 s10, s9, exec_lo
	;; [unrolled: 1-line block ×3, first 2 shown]
	s_or_b32 s36, s8, s0
	s_or_b32 exec_lo, exec_lo, s7
	s_and_saveexec_b32 s0, s36
	s_cbranch_execz .LBB31_977
.LBB31_1049:
	s_or_b32 s1, s1, exec_lo
	s_andn2_b32 s11, s11, exec_lo
	s_trap 2
	s_or_b32 exec_lo, exec_lo, s0
	s_and_saveexec_b32 s0, s11
	s_xor_b32 s0, exec_lo, s0
	s_cbranch_execnz .LBB31_978
.LBB31_1050:
	s_or_b32 exec_lo, exec_lo, s0
	s_and_saveexec_b32 s0, s10
	s_xor_b32 s0, exec_lo, s0
	s_cbranch_execz .LBB31_1088
.LBB31_1051:
	s_sext_i32_i16 s8, s6
	s_mov_b32 s7, -1
	s_cmp_lt_i32 s8, 5
	s_cbranch_scc1 .LBB31_1072
; %bb.1052:
	s_cmp_lt_i32 s8, 8
	s_cbranch_scc1 .LBB31_1062
; %bb.1053:
	;; [unrolled: 3-line block ×3, first 2 shown]
	s_cmp_gt_i32 s8, 9
	s_cbranch_scc0 .LBB31_1056
; %bb.1055:
	s_waitcnt vmcnt(0)
	v_lshlrev_b32_e32 v0, 16, v3
	v_mov_b32_e32 v6, 0
	s_mov_b32 s7, 0
	v_cvt_f64_f32_e32 v[4:5], v0
	v_mov_b32_e32 v7, v6
	global_store_dwordx4 v[1:2], v[4:7], off
.LBB31_1056:
	s_andn2_b32 vcc_lo, exec_lo, s7
	s_cbranch_vccnz .LBB31_1058
; %bb.1057:
	s_waitcnt vmcnt(0)
	v_lshlrev_b32_e32 v4, 16, v3
	v_mov_b32_e32 v5, 0
	global_store_dwordx2 v[1:2], v[4:5], off
.LBB31_1058:
	s_mov_b32 s7, 0
.LBB31_1059:
	s_andn2_b32 vcc_lo, exec_lo, s7
	s_cbranch_vccnz .LBB31_1061
; %bb.1060:
	s_waitcnt vmcnt(0)
	v_lshlrev_b32_e32 v0, 16, v3
	v_cvt_f16_f32_e32 v0, v0
	v_and_b32_e32 v0, 0xffff, v0
	global_store_dword v[1:2], v0, off
.LBB31_1061:
	s_mov_b32 s7, 0
.LBB31_1062:
	s_andn2_b32 vcc_lo, exec_lo, s7
	s_cbranch_vccnz .LBB31_1071
; %bb.1063:
	s_sext_i32_i16 s8, s6
	s_mov_b32 s7, -1
	s_cmp_lt_i32 s8, 6
	s_cbranch_scc1 .LBB31_1069
; %bb.1064:
	s_cmp_gt_i32 s8, 6
	s_cbranch_scc0 .LBB31_1066
; %bb.1065:
	s_waitcnt vmcnt(0)
	v_lshlrev_b32_e32 v0, 16, v3
	s_mov_b32 s7, 0
	v_cvt_f64_f32_e32 v[4:5], v0
	global_store_dwordx2 v[1:2], v[4:5], off
.LBB31_1066:
	s_andn2_b32 vcc_lo, exec_lo, s7
	s_cbranch_vccnz .LBB31_1068
; %bb.1067:
	s_waitcnt vmcnt(0)
	v_lshlrev_b32_e32 v0, 16, v3
	global_store_dword v[1:2], v0, off
.LBB31_1068:
	s_mov_b32 s7, 0
.LBB31_1069:
	s_andn2_b32 vcc_lo, exec_lo, s7
	s_cbranch_vccnz .LBB31_1071
; %bb.1070:
	s_waitcnt vmcnt(0)
	v_lshlrev_b32_e32 v0, 16, v3
	v_cvt_f16_f32_e32 v0, v0
	global_store_short v[1:2], v0, off
.LBB31_1071:
	s_mov_b32 s7, 0
.LBB31_1072:
	s_andn2_b32 vcc_lo, exec_lo, s7
	s_cbranch_vccnz .LBB31_1088
; %bb.1073:
	s_sext_i32_i16 s8, s6
	s_mov_b32 s7, -1
	s_cmp_lt_i32 s8, 2
	s_cbranch_scc1 .LBB31_1083
; %bb.1074:
	s_cmp_lt_i32 s8, 3
	s_cbranch_scc1 .LBB31_1080
; %bb.1075:
	s_cmp_gt_i32 s8, 3
	s_cbranch_scc0 .LBB31_1077
; %bb.1076:
	s_waitcnt vmcnt(0)
	v_lshlrev_b32_e32 v0, 16, v3
	s_mov_b32 s7, 0
	v_trunc_f32_e32 v0, v0
	v_mul_f32_e64 v4, 0x2f800000, |v0|
	v_floor_f32_e32 v4, v4
	v_fma_f32 v5, 0xcf800000, v4, |v0|
	v_ashrrev_i32_e32 v0, 31, v0
	v_cvt_u32_f32_e32 v4, v4
	v_cvt_u32_f32_e32 v5, v5
	v_xor_b32_e32 v6, v4, v0
	v_xor_b32_e32 v5, v5, v0
	v_sub_co_u32 v4, vcc_lo, v5, v0
	v_sub_co_ci_u32_e64 v5, null, v6, v0, vcc_lo
	global_store_dwordx2 v[1:2], v[4:5], off
.LBB31_1077:
	s_andn2_b32 vcc_lo, exec_lo, s7
	s_cbranch_vccnz .LBB31_1079
; %bb.1078:
	s_waitcnt vmcnt(0)
	v_lshlrev_b32_e32 v0, 16, v3
	v_cvt_i32_f32_e32 v0, v0
	global_store_dword v[1:2], v0, off
.LBB31_1079:
	s_mov_b32 s7, 0
.LBB31_1080:
	s_andn2_b32 vcc_lo, exec_lo, s7
	s_cbranch_vccnz .LBB31_1082
; %bb.1081:
	s_waitcnt vmcnt(0)
	v_lshlrev_b32_e32 v0, 16, v3
	v_cvt_i32_f32_e32 v0, v0
	global_store_short v[1:2], v0, off
.LBB31_1082:
	s_mov_b32 s7, 0
.LBB31_1083:
	s_andn2_b32 vcc_lo, exec_lo, s7
	s_cbranch_vccnz .LBB31_1088
; %bb.1084:
	s_sext_i32_i16 s6, s6
	s_cmp_gt_i32 s6, 0
	s_mov_b32 s6, -1
	s_cbranch_scc0 .LBB31_1086
; %bb.1085:
	s_waitcnt vmcnt(0)
	v_lshlrev_b32_e32 v0, 16, v3
	s_mov_b32 s6, 0
	v_cvt_i32_f32_e32 v0, v0
	global_store_byte v[1:2], v0, off
.LBB31_1086:
	s_andn2_b32 vcc_lo, exec_lo, s6
	s_cbranch_vccnz .LBB31_1088
; %bb.1087:
	s_waitcnt vmcnt(0)
	v_lshlrev_b32_e32 v0, 16, v3
	v_trunc_f32_e32 v0, v0
	v_mul_f32_e64 v3, 0x2f800000, |v0|
	v_floor_f32_e32 v3, v3
	v_fma_f32 v3, 0xcf800000, v3, |v0|
	v_ashrrev_i32_e32 v0, 31, v0
	v_cvt_u32_f32_e32 v3, v3
	v_xor_b32_e32 v3, v3, v0
	v_sub_nc_u32_e32 v0, v3, v0
	global_store_byte v[1:2], v0, off
.LBB31_1088:
	s_or_b32 exec_lo, exec_lo, s0
	s_and_b32 s12, s1, exec_lo
                                        ; implicit-def: $vgpr15
                                        ; implicit-def: $vgpr8
.LBB31_1089:
	s_or_saveexec_b32 s13, s28
	s_mov_b32 s0, 0
                                        ; implicit-def: $vgpr0_vgpr1
                                        ; implicit-def: $sgpr6
                                        ; implicit-def: $vgpr2
	s_xor_b32 exec_lo, exec_lo, s13
	s_cbranch_execz .LBB31_2097
; %bb.1090:
	v_cndmask_b32_e64 v0, 0, 1, s27
	s_andn2_b32 vcc_lo, exec_lo, s27
	s_cbranch_vccnz .LBB31_1096
; %bb.1091:
	s_cmp_lg_u32 s24, 0
	s_mov_b32 s8, 0
	s_cbranch_scc0 .LBB31_1097
; %bb.1092:
	s_min_u32 s10, s25, 15
	s_add_i32 s10, s10, 1
	s_cmp_eq_u32 s25, 2
	s_cbranch_scc1 .LBB31_1098
; %bb.1093:
	v_mov_b32_e32 v13, 0
	v_mov_b32_e32 v6, 0
	;; [unrolled: 1-line block ×3, first 2 shown]
	s_and_b32 s9, s10, 28
	s_add_u32 s0, s2, 0xc4
	s_addc_u32 s1, s3, 0
	s_mov_b32 s11, 0
	s_mov_b64 s[6:7], s[2:3]
.LBB31_1094:                            ; =>This Inner Loop Header: Depth=1
	s_clause 0x1
	s_load_dwordx8 s[16:23], s[6:7], 0x4
	s_load_dwordx4 s[28:31], s[6:7], 0x24
	s_load_dwordx8 s[36:43], s[0:1], 0x0
	s_add_u32 s6, s6, 48
	s_addc_u32 s7, s7, 0
	s_add_i32 s11, s11, 4
	s_add_u32 s0, s0, 32
	s_addc_u32 s1, s1, 0
	s_cmp_lg_u32 s9, s11
	s_waitcnt lgkmcnt(0)
	v_mul_hi_u32 v2, s17, v1
	v_add_nc_u32_e32 v2, v1, v2
	v_lshrrev_b32_e32 v2, s18, v2
	s_waitcnt vmcnt(0)
	v_mul_hi_u32 v3, s20, v2
	v_mul_lo_u32 v5, v2, s16
	v_add_nc_u32_e32 v3, v2, v3
	v_sub_nc_u32_e32 v1, v1, v5
	v_lshrrev_b32_e32 v3, s21, v3
	v_mul_lo_u32 v5, v1, s36
	v_mul_lo_u32 v9, v1, s37
	v_mul_hi_u32 v4, s23, v3
	v_add_nc_u32_e32 v4, v3, v4
	v_lshrrev_b32_e32 v4, s28, v4
	v_mul_hi_u32 v7, s30, v4
	v_mul_lo_u32 v10, v4, s22
	v_add_nc_u32_e32 v1, v4, v7
	v_mul_lo_u32 v7, v3, s19
	v_sub_nc_u32_e32 v3, v3, v10
	v_lshrrev_b32_e32 v1, s31, v1
	v_mul_lo_u32 v10, v3, s40
	v_mul_lo_u32 v3, v3, s41
	v_sub_nc_u32_e32 v2, v2, v7
	v_mul_lo_u32 v11, v1, s29
	v_mul_lo_u32 v7, v2, s38
	;; [unrolled: 1-line block ×3, first 2 shown]
	v_sub_nc_u32_e32 v4, v4, v11
	v_add3_u32 v5, v5, v6, v7
	v_mul_lo_u32 v11, v4, s42
	v_mul_lo_u32 v4, v4, s43
	v_add3_u32 v2, v9, v13, v2
	v_add3_u32 v6, v10, v5, v11
	;; [unrolled: 1-line block ×3, first 2 shown]
	s_cbranch_scc1 .LBB31_1094
; %bb.1095:
	s_and_b32 s10, s10, 3
	s_cmp_eq_u32 s10, 0
	s_cbranch_scc0 .LBB31_1099
	s_branch .LBB31_1101
.LBB31_1096:
	s_mov_b32 s8, -1
                                        ; implicit-def: $vgpr6
                                        ; implicit-def: $vgpr13
	s_branch .LBB31_1101
.LBB31_1097:
	v_mov_b32_e32 v6, 0
	v_mov_b32_e32 v13, 0
	s_branch .LBB31_1101
.LBB31_1098:
	v_mov_b32_e32 v6, 0
	v_mov_b32_e32 v13, 0
	;; [unrolled: 1-line block ×3, first 2 shown]
	s_mov_b32 s9, 0
	s_and_b32 s10, s10, 3
	s_cmp_eq_u32 s10, 0
	s_cbranch_scc1 .LBB31_1101
.LBB31_1099:
	s_lshl_b32 s0, s9, 3
	s_mul_i32 s6, s9, 12
	s_add_u32 s0, s2, s0
	s_addc_u32 s1, s3, 0
	s_add_u32 s0, s0, 0xc4
	s_addc_u32 s1, s1, 0
	;; [unrolled: 2-line block ×3, first 2 shown]
	.p2align	6
.LBB31_1100:                            ; =>This Inner Loop Header: Depth=1
	s_clause 0x1
	s_load_dwordx2 s[14:15], s[6:7], 0x4
	s_load_dword s9, s[6:7], 0xc
	s_load_dwordx2 s[16:17], s[0:1], 0x0
	s_add_u32 s6, s6, 12
	s_addc_u32 s7, s7, 0
	s_add_u32 s0, s0, 8
	s_addc_u32 s1, s1, 0
	s_add_i32 s10, s10, -1
	s_cmp_lg_u32 s10, 0
	s_waitcnt lgkmcnt(0)
	v_mul_hi_u32 v2, s15, v1
	v_add_nc_u32_e32 v2, v1, v2
	v_lshrrev_b32_e32 v2, s9, v2
	s_waitcnt vmcnt(0)
	v_mul_lo_u32 v3, v2, s14
	v_sub_nc_u32_e32 v1, v1, v3
	v_mad_u64_u32 v[6:7], null, v1, s16, v[6:7]
	v_mad_u64_u32 v[13:14], null, v1, s17, v[13:14]
	v_mov_b32_e32 v1, v2
	s_cbranch_scc1 .LBB31_1100
.LBB31_1101:
	s_andn2_b32 vcc_lo, exec_lo, s8
	s_cbranch_vccnz .LBB31_1104
; %bb.1102:
	s_clause 0x1
	s_load_dwordx4 s[8:11], s[2:3], 0x4
	s_load_dwordx2 s[0:1], s[2:3], 0xc4
	s_cmp_lt_u32 s24, 2
	s_waitcnt lgkmcnt(0)
	v_mul_hi_u32 v1, s9, v8
	v_add_nc_u32_e32 v1, v8, v1
	v_lshrrev_b32_e32 v1, s10, v1
	v_mul_lo_u32 v2, v1, s8
	v_sub_nc_u32_e32 v2, v8, v2
	v_mul_lo_u32 v6, v2, s0
	v_mul_lo_u32 v13, v2, s1
	s_cbranch_scc1 .LBB31_1104
; %bb.1103:
	s_clause 0x1
	s_load_dwordx4 s[8:11], s[2:3], 0x10
	s_load_dwordx2 s[0:1], s[2:3], 0xcc
	s_waitcnt lgkmcnt(0)
	v_mul_hi_u32 v2, s9, v1
	v_add_nc_u32_e32 v2, v1, v2
	v_lshrrev_b32_e32 v2, s10, v2
	v_mul_lo_u32 v2, v2, s8
	v_sub_nc_u32_e32 v1, v1, v2
	v_mad_u64_u32 v[6:7], null, v1, s0, v[6:7]
	v_mad_u64_u32 v[13:14], null, v1, s1, v[13:14]
.LBB31_1104:
	v_cmp_ne_u32_e32 vcc_lo, 1, v0
	v_add_nc_u32_e32 v1, 0x80, v8
	s_cbranch_vccnz .LBB31_1110
; %bb.1105:
	s_cmp_lg_u32 s24, 0
	s_mov_b32 s8, 0
	s_cbranch_scc0 .LBB31_1111
; %bb.1106:
	s_min_u32 s10, s25, 15
	s_add_i32 s10, s10, 1
	s_cmp_eq_u32 s25, 2
	s_cbranch_scc1 .LBB31_1112
; %bb.1107:
	v_mov_b32_e32 v11, 0
	s_waitcnt vmcnt(0)
	v_mov_b32_e32 v4, 0
	v_mov_b32_e32 v2, v1
	s_and_b32 s9, s10, 28
	s_add_u32 s0, s2, 0xc4
	s_addc_u32 s1, s3, 0
	s_mov_b32 s11, 0
	s_mov_b64 s[6:7], s[2:3]
.LBB31_1108:                            ; =>This Inner Loop Header: Depth=1
	s_clause 0x1
	s_load_dwordx8 s[16:23], s[6:7], 0x4
	s_load_dwordx4 s[28:31], s[6:7], 0x24
	s_load_dwordx8 s[36:43], s[0:1], 0x0
	s_add_u32 s6, s6, 48
	s_addc_u32 s7, s7, 0
	s_add_i32 s11, s11, 4
	s_add_u32 s0, s0, 32
	s_addc_u32 s1, s1, 0
	s_cmp_lg_u32 s9, s11
	s_waitcnt lgkmcnt(0)
	v_mul_hi_u32 v3, s17, v2
	v_add_nc_u32_e32 v3, v2, v3
	v_lshrrev_b32_e32 v3, s18, v3
	v_mul_hi_u32 v5, s20, v3
	v_mul_lo_u32 v9, v3, s16
	v_add_nc_u32_e32 v5, v3, v5
	v_sub_nc_u32_e32 v2, v2, v9
	v_lshrrev_b32_e32 v5, s21, v5
	v_mul_lo_u32 v9, v2, s36
	v_mul_lo_u32 v12, v2, s37
	v_mul_hi_u32 v7, s23, v5
	v_add_nc_u32_e32 v7, v5, v7
	v_lshrrev_b32_e32 v7, s28, v7
	v_mul_hi_u32 v10, s30, v7
	v_mul_lo_u32 v14, v7, s22
	v_add_nc_u32_e32 v2, v7, v10
	v_mul_lo_u32 v10, v5, s19
	v_sub_nc_u32_e32 v5, v5, v14
	v_lshrrev_b32_e32 v2, s31, v2
	v_mul_lo_u32 v14, v5, s40
	v_mul_lo_u32 v5, v5, s41
	v_sub_nc_u32_e32 v3, v3, v10
	v_mul_lo_u32 v16, v2, s29
	v_mul_lo_u32 v10, v3, s38
	;; [unrolled: 1-line block ×3, first 2 shown]
	v_sub_nc_u32_e32 v7, v7, v16
	v_add3_u32 v4, v9, v4, v10
	v_mul_lo_u32 v16, v7, s42
	v_mul_lo_u32 v7, v7, s43
	v_add3_u32 v3, v12, v11, v3
	v_add3_u32 v4, v14, v4, v16
	;; [unrolled: 1-line block ×3, first 2 shown]
	s_cbranch_scc1 .LBB31_1108
; %bb.1109:
	s_and_b32 s10, s10, 3
	s_cmp_eq_u32 s10, 0
	s_cbranch_scc0 .LBB31_1113
	s_branch .LBB31_1115
.LBB31_1110:
	s_mov_b32 s8, -1
                                        ; implicit-def: $vgpr4
                                        ; implicit-def: $vgpr11
	s_branch .LBB31_1115
.LBB31_1111:
	s_waitcnt vmcnt(0)
	v_mov_b32_e32 v4, 0
	v_mov_b32_e32 v11, 0
	s_branch .LBB31_1115
.LBB31_1112:
	s_waitcnt vmcnt(0)
	v_mov_b32_e32 v4, 0
	v_mov_b32_e32 v11, 0
	;; [unrolled: 1-line block ×3, first 2 shown]
	s_mov_b32 s9, 0
	s_and_b32 s10, s10, 3
	s_cmp_eq_u32 s10, 0
	s_cbranch_scc1 .LBB31_1115
.LBB31_1113:
	s_lshl_b32 s0, s9, 3
	s_mul_i32 s6, s9, 12
	s_add_u32 s0, s2, s0
	s_addc_u32 s1, s3, 0
	s_add_u32 s0, s0, 0xc4
	s_addc_u32 s1, s1, 0
	;; [unrolled: 2-line block ×3, first 2 shown]
	.p2align	6
.LBB31_1114:                            ; =>This Inner Loop Header: Depth=1
	s_clause 0x1
	s_load_dwordx2 s[14:15], s[6:7], 0x4
	s_load_dword s9, s[6:7], 0xc
	s_load_dwordx2 s[16:17], s[0:1], 0x0
	s_add_u32 s6, s6, 12
	s_addc_u32 s7, s7, 0
	s_add_u32 s0, s0, 8
	s_addc_u32 s1, s1, 0
	s_add_i32 s10, s10, -1
	s_cmp_lg_u32 s10, 0
	s_waitcnt lgkmcnt(0)
	v_mul_hi_u32 v3, s15, v2
	v_add_nc_u32_e32 v3, v2, v3
	v_lshrrev_b32_e32 v3, s9, v3
	v_mul_lo_u32 v5, v3, s14
	v_sub_nc_u32_e32 v2, v2, v5
	v_mad_u64_u32 v[4:5], null, v2, s16, v[4:5]
	v_mad_u64_u32 v[11:12], null, v2, s17, v[11:12]
	v_mov_b32_e32 v2, v3
	s_cbranch_scc1 .LBB31_1114
.LBB31_1115:
	s_andn2_b32 vcc_lo, exec_lo, s8
	s_cbranch_vccnz .LBB31_1118
; %bb.1116:
	s_clause 0x1
	s_load_dwordx4 s[8:11], s[2:3], 0x4
	s_load_dwordx2 s[0:1], s[2:3], 0xc4
	s_cmp_lt_u32 s24, 2
	s_waitcnt lgkmcnt(0)
	v_mul_hi_u32 v2, s9, v1
	v_add_nc_u32_e32 v2, v1, v2
	v_lshrrev_b32_e32 v2, s10, v2
	s_waitcnt vmcnt(0)
	v_mul_lo_u32 v3, v2, s8
	v_sub_nc_u32_e32 v1, v1, v3
	v_mul_lo_u32 v4, v1, s0
	v_mul_lo_u32 v11, v1, s1
	s_cbranch_scc1 .LBB31_1118
; %bb.1117:
	s_clause 0x1
	s_load_dwordx4 s[8:11], s[2:3], 0x10
	s_load_dwordx2 s[0:1], s[2:3], 0xcc
	s_waitcnt lgkmcnt(0)
	v_mul_hi_u32 v1, s9, v2
	v_add_nc_u32_e32 v1, v2, v1
	v_lshrrev_b32_e32 v1, s10, v1
	v_mul_lo_u32 v1, v1, s8
	v_sub_nc_u32_e32 v1, v2, v1
	v_mad_u64_u32 v[4:5], null, v1, s0, v[4:5]
	v_mad_u64_u32 v[11:12], null, v1, s1, v[11:12]
.LBB31_1118:
	v_cmp_ne_u32_e32 vcc_lo, 1, v0
	v_add_nc_u32_e32 v1, 0x100, v8
	s_cbranch_vccnz .LBB31_1124
; %bb.1119:
	s_cmp_lg_u32 s24, 0
	s_mov_b32 s8, 0
	s_cbranch_scc0 .LBB31_1125
; %bb.1120:
	s_min_u32 s10, s25, 15
	s_add_i32 s10, s10, 1
	s_cmp_eq_u32 s25, 2
	s_cbranch_scc1 .LBB31_1126
; %bb.1121:
	v_mov_b32_e32 v9, 0
	v_mov_b32_e32 v2, 0
	s_waitcnt vmcnt(0)
	v_mov_b32_e32 v3, v1
	s_and_b32 s9, s10, 28
	s_add_u32 s0, s2, 0xc4
	s_addc_u32 s1, s3, 0
	s_mov_b32 s11, 0
	s_mov_b64 s[6:7], s[2:3]
.LBB31_1122:                            ; =>This Inner Loop Header: Depth=1
	s_clause 0x1
	s_load_dwordx8 s[16:23], s[6:7], 0x4
	s_load_dwordx4 s[28:31], s[6:7], 0x24
	s_load_dwordx8 s[36:43], s[0:1], 0x0
	s_add_u32 s6, s6, 48
	s_addc_u32 s7, s7, 0
	s_add_i32 s11, s11, 4
	s_add_u32 s0, s0, 32
	s_addc_u32 s1, s1, 0
	s_cmp_lg_u32 s9, s11
	s_waitcnt lgkmcnt(0)
	v_mul_hi_u32 v5, s17, v3
	v_add_nc_u32_e32 v5, v3, v5
	v_lshrrev_b32_e32 v5, s18, v5
	v_mul_hi_u32 v7, s20, v5
	v_mul_lo_u32 v10, v5, s16
	v_add_nc_u32_e32 v7, v5, v7
	v_sub_nc_u32_e32 v3, v3, v10
	v_lshrrev_b32_e32 v7, s21, v7
	v_mul_lo_u32 v10, v3, s36
	v_mul_lo_u32 v14, v3, s37
	v_mul_hi_u32 v8, s23, v7
	v_add_nc_u32_e32 v8, v7, v8
	v_lshrrev_b32_e32 v8, s28, v8
	v_mul_hi_u32 v12, s30, v8
	v_mul_lo_u32 v16, v8, s22
	v_add_nc_u32_e32 v3, v8, v12
	v_mul_lo_u32 v12, v7, s19
	v_sub_nc_u32_e32 v7, v7, v16
	v_lshrrev_b32_e32 v3, s31, v3
	v_mul_lo_u32 v16, v7, s40
	v_mul_lo_u32 v7, v7, s41
	v_sub_nc_u32_e32 v5, v5, v12
	v_mul_lo_u32 v17, v3, s29
	v_mul_lo_u32 v12, v5, s38
	;; [unrolled: 1-line block ×3, first 2 shown]
	v_sub_nc_u32_e32 v8, v8, v17
	v_add3_u32 v2, v10, v2, v12
	v_mul_lo_u32 v17, v8, s42
	v_mul_lo_u32 v8, v8, s43
	v_add3_u32 v5, v14, v9, v5
	v_add3_u32 v2, v16, v2, v17
	;; [unrolled: 1-line block ×3, first 2 shown]
	s_cbranch_scc1 .LBB31_1122
; %bb.1123:
	s_and_b32 s10, s10, 3
	s_cmp_eq_u32 s10, 0
	s_cbranch_scc0 .LBB31_1127
	s_branch .LBB31_1129
.LBB31_1124:
	s_mov_b32 s8, -1
                                        ; implicit-def: $vgpr2
                                        ; implicit-def: $vgpr9
	s_branch .LBB31_1129
.LBB31_1125:
	v_mov_b32_e32 v2, 0
	v_mov_b32_e32 v9, 0
	s_branch .LBB31_1129
.LBB31_1126:
	v_mov_b32_e32 v2, 0
	v_mov_b32_e32 v9, 0
	s_waitcnt vmcnt(0)
	v_mov_b32_e32 v3, v1
	s_mov_b32 s9, 0
	s_and_b32 s10, s10, 3
	s_cmp_eq_u32 s10, 0
	s_cbranch_scc1 .LBB31_1129
.LBB31_1127:
	s_lshl_b32 s0, s9, 3
	s_mul_i32 s6, s9, 12
	s_add_u32 s0, s2, s0
	s_addc_u32 s1, s3, 0
	s_add_u32 s0, s0, 0xc4
	s_addc_u32 s1, s1, 0
	;; [unrolled: 2-line block ×3, first 2 shown]
	.p2align	6
.LBB31_1128:                            ; =>This Inner Loop Header: Depth=1
	s_clause 0x1
	s_load_dwordx2 s[14:15], s[6:7], 0x4
	s_load_dword s9, s[6:7], 0xc
	s_load_dwordx2 s[16:17], s[0:1], 0x0
	s_add_u32 s6, s6, 12
	s_addc_u32 s7, s7, 0
	s_add_u32 s0, s0, 8
	s_addc_u32 s1, s1, 0
	s_add_i32 s10, s10, -1
	s_cmp_lg_u32 s10, 0
	s_waitcnt lgkmcnt(0)
	v_mul_hi_u32 v5, s15, v3
	v_add_nc_u32_e32 v5, v3, v5
	v_lshrrev_b32_e32 v5, s9, v5
	v_mul_lo_u32 v7, v5, s14
	v_sub_nc_u32_e32 v7, v3, v7
	v_mad_u64_u32 v[2:3], null, v7, s16, v[2:3]
	v_mad_u64_u32 v[9:10], null, v7, s17, v[9:10]
	v_mov_b32_e32 v3, v5
	s_cbranch_scc1 .LBB31_1128
.LBB31_1129:
	s_andn2_b32 vcc_lo, exec_lo, s8
	s_cbranch_vccnz .LBB31_1132
; %bb.1130:
	s_clause 0x1
	s_load_dwordx4 s[8:11], s[2:3], 0x4
	s_load_dwordx2 s[0:1], s[2:3], 0xc4
	s_cmp_lt_u32 s24, 2
	s_waitcnt lgkmcnt(0)
	v_mul_hi_u32 v2, s9, v1
	v_add_nc_u32_e32 v2, v1, v2
	s_waitcnt vmcnt(0)
	v_lshrrev_b32_e32 v3, s10, v2
	v_mul_lo_u32 v2, v3, s8
	v_sub_nc_u32_e32 v1, v1, v2
	v_mul_lo_u32 v2, v1, s0
	v_mul_lo_u32 v9, v1, s1
	s_cbranch_scc1 .LBB31_1132
; %bb.1131:
	s_clause 0x1
	s_load_dwordx4 s[8:11], s[2:3], 0x10
	s_load_dwordx2 s[0:1], s[2:3], 0xcc
	s_waitcnt lgkmcnt(0)
	v_mul_hi_u32 v1, s9, v3
	v_add_nc_u32_e32 v1, v3, v1
	v_lshrrev_b32_e32 v1, s10, v1
	v_mul_lo_u32 v1, v1, s8
	v_sub_nc_u32_e32 v1, v3, v1
	v_mad_u64_u32 v[2:3], null, v1, s0, v[2:3]
	v_mad_u64_u32 v[9:10], null, v1, s1, v[9:10]
.LBB31_1132:
	v_cmp_ne_u32_e32 vcc_lo, 1, v0
	s_cbranch_vccnz .LBB31_1138
; %bb.1133:
	s_cmp_lg_u32 s24, 0
	s_mov_b32 s8, 0
	s_cbranch_scc0 .LBB31_1139
; %bb.1134:
	s_min_u32 s10, s25, 15
	s_add_i32 s10, s10, 1
	s_cmp_eq_u32 s25, 2
	s_cbranch_scc1 .LBB31_1140
; %bb.1135:
	v_mov_b32_e32 v7, 0
	v_mov_b32_e32 v0, 0
	;; [unrolled: 1-line block ×3, first 2 shown]
	s_and_b32 s9, s10, 28
	s_add_u32 s0, s2, 0xc4
	s_addc_u32 s1, s3, 0
	s_mov_b32 s11, 0
	s_mov_b64 s[6:7], s[2:3]
.LBB31_1136:                            ; =>This Inner Loop Header: Depth=1
	s_clause 0x1
	s_load_dwordx8 s[16:23], s[6:7], 0x4
	s_load_dwordx4 s[28:31], s[6:7], 0x24
	s_load_dwordx8 s[36:43], s[0:1], 0x0
	s_add_u32 s6, s6, 48
	s_addc_u32 s7, s7, 0
	s_add_i32 s11, s11, 4
	s_add_u32 s0, s0, 32
	s_addc_u32 s1, s1, 0
	s_cmp_lg_u32 s9, s11
	s_waitcnt vmcnt(0) lgkmcnt(0)
	v_mul_hi_u32 v3, s17, v1
	v_add_nc_u32_e32 v3, v1, v3
	v_lshrrev_b32_e32 v3, s18, v3
	v_mul_hi_u32 v5, s20, v3
	v_mul_lo_u32 v10, v3, s16
	v_add_nc_u32_e32 v5, v3, v5
	v_sub_nc_u32_e32 v1, v1, v10
	v_lshrrev_b32_e32 v5, s21, v5
	v_mul_lo_u32 v10, v1, s36
	v_mul_lo_u32 v14, v1, s37
	v_mul_hi_u32 v8, s23, v5
	v_add_nc_u32_e32 v8, v5, v8
	v_lshrrev_b32_e32 v8, s28, v8
	v_mul_hi_u32 v12, s30, v8
	v_mul_lo_u32 v16, v8, s22
	v_add_nc_u32_e32 v1, v8, v12
	v_mul_lo_u32 v12, v5, s19
	v_sub_nc_u32_e32 v5, v5, v16
	v_lshrrev_b32_e32 v1, s31, v1
	v_mul_lo_u32 v16, v5, s40
	v_mul_lo_u32 v5, v5, s41
	v_sub_nc_u32_e32 v3, v3, v12
	v_mul_lo_u32 v17, v1, s29
	v_mul_lo_u32 v12, v3, s38
	;; [unrolled: 1-line block ×3, first 2 shown]
	v_sub_nc_u32_e32 v8, v8, v17
	v_add3_u32 v0, v10, v0, v12
	v_mul_lo_u32 v17, v8, s42
	v_mul_lo_u32 v8, v8, s43
	v_add3_u32 v3, v14, v7, v3
	v_add3_u32 v0, v16, v0, v17
	;; [unrolled: 1-line block ×3, first 2 shown]
	s_cbranch_scc1 .LBB31_1136
; %bb.1137:
	s_and_b32 s10, s10, 3
	s_cmp_eq_u32 s10, 0
	s_cbranch_scc0 .LBB31_1141
	s_branch .LBB31_1143
.LBB31_1138:
	s_mov_b32 s8, -1
                                        ; implicit-def: $vgpr0
                                        ; implicit-def: $vgpr7
	s_branch .LBB31_1143
.LBB31_1139:
	v_mov_b32_e32 v0, 0
	v_mov_b32_e32 v7, 0
	s_branch .LBB31_1143
.LBB31_1140:
	v_mov_b32_e32 v0, 0
	v_mov_b32_e32 v7, 0
	;; [unrolled: 1-line block ×3, first 2 shown]
	s_mov_b32 s9, 0
	s_and_b32 s10, s10, 3
	s_cmp_eq_u32 s10, 0
	s_cbranch_scc1 .LBB31_1143
.LBB31_1141:
	s_lshl_b32 s0, s9, 3
	s_mul_i32 s6, s9, 12
	s_add_u32 s0, s2, s0
	s_addc_u32 s1, s3, 0
	s_add_u32 s0, s0, 0xc4
	s_addc_u32 s1, s1, 0
	;; [unrolled: 2-line block ×3, first 2 shown]
	.p2align	6
.LBB31_1142:                            ; =>This Inner Loop Header: Depth=1
	s_clause 0x1
	s_load_dwordx2 s[14:15], s[6:7], 0x4
	s_load_dword s9, s[6:7], 0xc
	s_load_dwordx2 s[16:17], s[0:1], 0x0
	s_add_u32 s6, s6, 12
	s_addc_u32 s7, s7, 0
	s_add_u32 s0, s0, 8
	s_addc_u32 s1, s1, 0
	s_add_i32 s10, s10, -1
	s_cmp_lg_u32 s10, 0
	s_waitcnt vmcnt(0) lgkmcnt(0)
	v_mul_hi_u32 v3, s15, v1
	v_add_nc_u32_e32 v3, v1, v3
	v_lshrrev_b32_e32 v3, s9, v3
	v_mul_lo_u32 v5, v3, s14
	v_sub_nc_u32_e32 v5, v1, v5
	v_mad_u64_u32 v[0:1], null, v5, s16, v[0:1]
	v_mad_u64_u32 v[7:8], null, v5, s17, v[7:8]
	v_mov_b32_e32 v1, v3
	s_cbranch_scc1 .LBB31_1142
.LBB31_1143:
	s_andn2_b32 vcc_lo, exec_lo, s8
	s_cbranch_vccnz .LBB31_1146
; %bb.1144:
	s_clause 0x1
	s_load_dwordx4 s[8:11], s[2:3], 0x4
	s_load_dwordx2 s[0:1], s[2:3], 0xc4
	s_cmp_lt_u32 s24, 2
	s_waitcnt lgkmcnt(0)
	v_mul_hi_u32 v0, s9, v15
	v_add_nc_u32_e32 v0, v15, v0
	v_lshrrev_b32_e32 v1, s10, v0
	v_mul_lo_u32 v0, v1, s8
	s_waitcnt vmcnt(0)
	v_sub_nc_u32_e32 v3, v15, v0
	v_mul_lo_u32 v0, v3, s0
	v_mul_lo_u32 v7, v3, s1
	s_cbranch_scc1 .LBB31_1146
; %bb.1145:
	s_clause 0x1
	s_load_dwordx4 s[8:11], s[2:3], 0x10
	s_load_dwordx2 s[0:1], s[2:3], 0xcc
	s_waitcnt lgkmcnt(0)
	v_mul_hi_u32 v3, s9, v1
	v_add_nc_u32_e32 v3, v1, v3
	v_lshrrev_b32_e32 v3, s10, v3
	v_mul_lo_u32 v3, v3, s8
	v_sub_nc_u32_e32 v3, v1, v3
	v_mad_u64_u32 v[0:1], null, v3, s0, v[0:1]
	v_mad_u64_u32 v[7:8], null, v3, s1, v[7:8]
.LBB31_1146:
	s_clause 0x1
	s_load_dwordx4 s[8:11], s[2:3], 0x148
	s_load_dword s2, s[4:5], 0x160
	s_waitcnt lgkmcnt(0)
	v_add_co_u32 v12, s0, s10, v13
	v_add_co_ci_u32_e64 v13, null, s11, 0, s0
	s_bfe_u32 s0, s2, 0x80010
	s_cmp_lt_i32 s0, 11
	s_cbranch_scc1 .LBB31_1153
; %bb.1147:
	s_and_b32 s1, 0xffff, s0
	s_mov_b32 s4, 0
	s_cmp_gt_i32 s1, 25
	s_cbranch_scc0 .LBB31_1155
; %bb.1148:
	s_cmp_gt_i32 s1, 28
	s_cbranch_scc0 .LBB31_1156
; %bb.1149:
	;; [unrolled: 3-line block ×4, first 2 shown]
	s_cmp_eq_u32 s1, 46
	s_mov_b32 s6, 0
	s_cbranch_scc0 .LBB31_1161
; %bb.1152:
	global_load_dword v1, v[12:13], off
	s_mov_b32 s3, 0
	s_mov_b32 s5, -1
	s_branch .LBB31_1163
.LBB31_1153:
	s_mov_b32 s5, 0
	s_mov_b32 s1, s12
                                        ; implicit-def: $vgpr1
	s_cbranch_execnz .LBB31_1226
.LBB31_1154:
	s_andn2_b32 vcc_lo, exec_lo, s5
	s_cbranch_vccz .LBB31_1271
	s_branch .LBB31_2095
.LBB31_1155:
	s_mov_b32 s5, 0
	s_mov_b32 s3, 0
                                        ; implicit-def: $vgpr1
	s_cbranch_execnz .LBB31_1191
	s_branch .LBB31_1222
.LBB31_1156:
	s_mov_b32 s6, -1
	s_mov_b32 s5, 0
	s_mov_b32 s3, 0
                                        ; implicit-def: $vgpr1
	s_branch .LBB31_1172
.LBB31_1157:
	s_mov_b32 s5, 0
	s_mov_b32 s3, 0
                                        ; implicit-def: $vgpr1
	s_cbranch_execnz .LBB31_1168
	s_branch .LBB31_1171
.LBB31_1158:
	s_mov_b32 s6, -1
	s_mov_b32 s5, 0
	s_mov_b32 s3, 0
	s_branch .LBB31_1162
.LBB31_1159:
	s_andn2_saveexec_b32 s11, s11
	s_cbranch_execz .LBB31_1002
.LBB31_1160:
	v_add_f32_e64 v4, 0x46000000, |v5|
	s_andn2_b32 s10, s10, exec_lo
	v_and_b32_e32 v4, 0xff, v4
	v_cmp_ne_u32_e32 vcc_lo, 0, v4
	s_and_b32 s12, vcc_lo, exec_lo
	s_or_b32 s10, s10, s12
	s_or_b32 exec_lo, exec_lo, s11
	v_mov_b32_e32 v6, 0
	s_and_saveexec_b32 s11, s10
	s_cbranch_execnz .LBB31_1003
	s_branch .LBB31_1004
.LBB31_1161:
	s_mov_b32 s3, -1
	s_mov_b32 s5, 0
.LBB31_1162:
                                        ; implicit-def: $vgpr1
.LBB31_1163:
	s_and_b32 vcc_lo, exec_lo, s6
	s_cbranch_vccz .LBB31_1166
; %bb.1164:
	s_cmp_eq_u32 s1, 44
	s_cbranch_scc0 .LBB31_1167
; %bb.1165:
	global_load_ubyte v1, v[12:13], off
	s_mov_b32 s3, 0
	s_mov_b32 s5, -1
	s_waitcnt vmcnt(0)
	v_lshlrev_b32_e32 v3, 23, v1
	v_cmp_ne_u32_e32 vcc_lo, 0xff, v1
	v_cndmask_b32_e32 v3, 0x7f800001, v3, vcc_lo
	v_cmp_ne_u32_e32 vcc_lo, 0, v1
	v_cndmask_b32_e32 v1, 0x400000, v3, vcc_lo
	v_mov_b32_e32 v3, 0x7fc0
	v_cmp_o_f32_e32 vcc_lo, v1, v1
	v_add_nc_u32_e32 v1, 0x7fff, v1
	v_cndmask_b32_sdwa v1, v3, v1, vcc_lo dst_sel:DWORD dst_unused:UNUSED_PAD src0_sel:DWORD src1_sel:WORD_1
.LBB31_1166:
	s_branch .LBB31_1171
.LBB31_1167:
	s_mov_b32 s3, -1
                                        ; implicit-def: $vgpr1
	s_branch .LBB31_1171
.LBB31_1168:
	s_cmp_eq_u32 s1, 29
	s_cbranch_scc0 .LBB31_1170
; %bb.1169:
	global_load_dwordx2 v[14:15], v[12:13], off
	s_mov_b32 s3, 0
	s_mov_b32 s5, -1
	s_mov_b32 s6, 0
	s_waitcnt vmcnt(0)
	v_ffbh_u32_e32 v1, v15
	v_min_u32_e32 v1, 32, v1
	v_lshlrev_b64 v[14:15], v1, v[14:15]
	v_sub_nc_u32_e32 v1, 32, v1
	v_min_u32_e32 v3, 1, v14
	v_or_b32_e32 v3, v15, v3
	v_cvt_f32_u32_e32 v3, v3
	v_ldexp_f32 v1, v3, v1
	v_bfe_u32 v3, v1, 16, 1
	v_add3_u32 v1, v1, v3, 0x7fff
	v_lshrrev_b32_e32 v1, 16, v1
	s_branch .LBB31_1172
.LBB31_1170:
	s_mov_b32 s3, -1
                                        ; implicit-def: $vgpr1
.LBB31_1171:
	s_mov_b32 s6, 0
.LBB31_1172:
	s_and_b32 vcc_lo, exec_lo, s6
	s_cbranch_vccz .LBB31_1190
; %bb.1173:
	s_cmp_lt_i32 s1, 27
	s_cbranch_scc1 .LBB31_1176
; %bb.1174:
	s_cmp_gt_i32 s1, 27
	s_cbranch_scc0 .LBB31_1177
; %bb.1175:
	global_load_dword v1, v[12:13], off
	s_mov_b32 s5, 0
	s_waitcnt vmcnt(0)
	v_cvt_f32_u32_e32 v1, v1
	v_bfe_u32 v3, v1, 16, 1
	v_add3_u32 v1, v1, v3, 0x7fff
	v_lshrrev_b32_e32 v1, 16, v1
	s_branch .LBB31_1178
.LBB31_1176:
	s_mov_b32 s5, -1
                                        ; implicit-def: $vgpr1
	s_branch .LBB31_1181
.LBB31_1177:
	s_mov_b32 s5, -1
                                        ; implicit-def: $vgpr1
.LBB31_1178:
	s_andn2_b32 vcc_lo, exec_lo, s5
	s_cbranch_vccnz .LBB31_1180
; %bb.1179:
	global_load_ushort v1, v[12:13], off
	s_waitcnt vmcnt(0)
	v_cvt_f32_u32_e32 v1, v1
	v_bfe_u32 v3, v1, 16, 1
	v_add3_u32 v1, v1, v3, 0x7fff
	v_lshrrev_b32_e32 v1, 16, v1
.LBB31_1180:
	s_mov_b32 s5, 0
.LBB31_1181:
	s_andn2_b32 vcc_lo, exec_lo, s5
	s_cbranch_vccnz .LBB31_1189
; %bb.1182:
	global_load_ubyte v1, v[12:13], off
	s_mov_b32 s5, 0
	s_mov_b32 s6, exec_lo
	s_waitcnt vmcnt(0)
	v_cmpx_lt_i16_e32 0x7f, v1
	s_xor_b32 s6, exec_lo, s6
	s_cbranch_execz .LBB31_1202
; %bb.1183:
	s_mov_b32 s5, -1
	s_mov_b32 s7, exec_lo
	v_cmpx_eq_u16_e32 0x80, v1
; %bb.1184:
	s_xor_b32 s5, exec_lo, -1
; %bb.1185:
	s_or_b32 exec_lo, exec_lo, s7
	s_and_b32 s5, s5, exec_lo
	s_or_saveexec_b32 s6, s6
	v_mov_b32_e32 v3, 0x7f800001
	s_xor_b32 exec_lo, exec_lo, s6
	s_cbranch_execnz .LBB31_1203
.LBB31_1186:
	s_or_b32 exec_lo, exec_lo, s6
	s_and_saveexec_b32 s6, s5
	s_cbranch_execz .LBB31_1188
.LBB31_1187:
	v_and_b32_e32 v3, 0xffff, v1
	v_lshlrev_b32_e32 v1, 24, v1
	v_and_b32_e32 v5, 7, v3
	v_bfe_u32 v14, v3, 3, 4
	v_and_b32_e32 v1, 0x80000000, v1
	v_ffbh_u32_e32 v8, v5
	v_cmp_eq_u32_e32 vcc_lo, 0, v14
	v_min_u32_e32 v8, 32, v8
	v_subrev_nc_u32_e32 v10, 28, v8
	v_sub_nc_u32_e32 v8, 29, v8
	v_lshlrev_b32_e32 v3, v10, v3
	v_cndmask_b32_e32 v8, v14, v8, vcc_lo
	v_and_b32_e32 v3, 7, v3
	v_cndmask_b32_e32 v3, v5, v3, vcc_lo
	v_lshl_add_u32 v5, v8, 23, 0x3b800000
	v_lshlrev_b32_e32 v3, 20, v3
	v_or3_b32 v3, v1, v5, v3
.LBB31_1188:
	s_or_b32 exec_lo, exec_lo, s6
	v_bfe_u32 v1, v3, 16, 1
	v_cmp_o_f32_e32 vcc_lo, v3, v3
	v_add3_u32 v1, v3, v1, 0x7fff
	v_mov_b32_e32 v3, 0x7fc0
	v_cndmask_b32_sdwa v1, v3, v1, vcc_lo dst_sel:DWORD dst_unused:UNUSED_PAD src0_sel:DWORD src1_sel:WORD_1
.LBB31_1189:
	s_mov_b32 s5, -1
.LBB31_1190:
	s_branch .LBB31_1222
.LBB31_1191:
	s_cmp_gt_i32 s1, 22
	s_cbranch_scc0 .LBB31_1201
; %bb.1192:
	s_cmp_lt_i32 s1, 24
	s_cbranch_scc1 .LBB31_1204
; %bb.1193:
	s_cmp_gt_i32 s1, 24
	s_cbranch_scc0 .LBB31_1205
; %bb.1194:
	global_load_ubyte v1, v[12:13], off
	s_mov_b32 s5, exec_lo
	s_waitcnt vmcnt(0)
	v_cmpx_lt_i16_e32 0x7f, v1
	s_xor_b32 s5, exec_lo, s5
	s_cbranch_execz .LBB31_1216
; %bb.1195:
	s_mov_b32 s4, -1
	s_mov_b32 s6, exec_lo
	v_cmpx_eq_u16_e32 0x80, v1
; %bb.1196:
	s_xor_b32 s4, exec_lo, -1
; %bb.1197:
	s_or_b32 exec_lo, exec_lo, s6
	s_and_b32 s4, s4, exec_lo
	s_or_saveexec_b32 s5, s5
	v_mov_b32_e32 v3, 0x7f800001
	s_xor_b32 exec_lo, exec_lo, s5
	s_cbranch_execnz .LBB31_1217
.LBB31_1198:
	s_or_b32 exec_lo, exec_lo, s5
	s_and_saveexec_b32 s5, s4
	s_cbranch_execz .LBB31_1200
.LBB31_1199:
	v_and_b32_e32 v3, 0xffff, v1
	v_lshlrev_b32_e32 v1, 24, v1
	v_and_b32_e32 v5, 3, v3
	v_bfe_u32 v14, v3, 2, 5
	v_and_b32_e32 v1, 0x80000000, v1
	v_ffbh_u32_e32 v8, v5
	v_cmp_eq_u32_e32 vcc_lo, 0, v14
	v_min_u32_e32 v8, 32, v8
	v_subrev_nc_u32_e32 v10, 29, v8
	v_sub_nc_u32_e32 v8, 30, v8
	v_lshlrev_b32_e32 v3, v10, v3
	v_cndmask_b32_e32 v8, v14, v8, vcc_lo
	v_and_b32_e32 v3, 3, v3
	v_cndmask_b32_e32 v3, v5, v3, vcc_lo
	v_lshl_add_u32 v5, v8, 23, 0x37800000
	v_lshlrev_b32_e32 v3, 21, v3
	v_or3_b32 v3, v1, v5, v3
.LBB31_1200:
	s_or_b32 exec_lo, exec_lo, s5
	v_bfe_u32 v1, v3, 16, 1
	v_cmp_o_f32_e32 vcc_lo, v3, v3
	s_mov_b32 s4, 0
	v_add3_u32 v1, v3, v1, 0x7fff
	v_mov_b32_e32 v3, 0x7fc0
	v_cndmask_b32_sdwa v1, v3, v1, vcc_lo dst_sel:DWORD dst_unused:UNUSED_PAD src0_sel:DWORD src1_sel:WORD_1
	s_branch .LBB31_1206
.LBB31_1201:
                                        ; implicit-def: $vgpr1
	s_mov_b32 s4, 0
	s_branch .LBB31_1212
.LBB31_1202:
	s_or_saveexec_b32 s6, s6
	v_mov_b32_e32 v3, 0x7f800001
	s_xor_b32 exec_lo, exec_lo, s6
	s_cbranch_execz .LBB31_1186
.LBB31_1203:
	v_cmp_ne_u16_e32 vcc_lo, 0, v1
	v_mov_b32_e32 v3, 0
	s_andn2_b32 s5, s5, exec_lo
	s_and_b32 s7, vcc_lo, exec_lo
	s_or_b32 s5, s5, s7
	s_or_b32 exec_lo, exec_lo, s6
	s_and_saveexec_b32 s6, s5
	s_cbranch_execnz .LBB31_1187
	s_branch .LBB31_1188
.LBB31_1204:
	s_mov_b32 s4, -1
                                        ; implicit-def: $vgpr1
	s_branch .LBB31_1209
.LBB31_1205:
	s_mov_b32 s4, -1
                                        ; implicit-def: $vgpr1
.LBB31_1206:
	s_and_b32 vcc_lo, exec_lo, s4
	s_cbranch_vccz .LBB31_1208
; %bb.1207:
	global_load_ubyte v1, v[12:13], off
	s_waitcnt vmcnt(0)
	v_lshlrev_b32_e32 v1, 24, v1
	v_and_b32_e32 v3, 0x7f000000, v1
	v_ffbh_u32_e32 v5, v3
	v_add_nc_u32_e32 v10, 0x1000000, v3
	v_cmp_ne_u32_e32 vcc_lo, 0, v3
	v_min_u32_e32 v5, 32, v5
	v_sub_nc_u32_e64 v5, v5, 4 clamp
	v_lshlrev_b32_e32 v8, v5, v3
	v_lshlrev_b32_e32 v5, 23, v5
	v_lshrrev_b32_e32 v8, 4, v8
	v_sub_nc_u32_e32 v5, v8, v5
	v_ashrrev_i32_e32 v8, 8, v10
	v_add_nc_u32_e32 v5, 0x3c000000, v5
	v_and_or_b32 v5, 0x7f800000, v8, v5
	v_cndmask_b32_e32 v3, 0, v5, vcc_lo
	v_and_or_b32 v1, 0x80000000, v1, v3
	v_bfe_u32 v3, v3, 16, 1
	v_cmp_o_f32_e32 vcc_lo, v1, v1
	v_add3_u32 v1, v1, v3, 0x7fff
	v_mov_b32_e32 v3, 0x7fc0
	v_cndmask_b32_sdwa v1, v3, v1, vcc_lo dst_sel:DWORD dst_unused:UNUSED_PAD src0_sel:DWORD src1_sel:WORD_1
.LBB31_1208:
	s_mov_b32 s4, 0
.LBB31_1209:
	s_andn2_b32 vcc_lo, exec_lo, s4
	s_cbranch_vccnz .LBB31_1211
; %bb.1210:
	global_load_ubyte v1, v[12:13], off
	s_waitcnt vmcnt(0)
	v_lshlrev_b32_e32 v3, 25, v1
	v_lshlrev_b16 v1, 8, v1
	v_lshrrev_b32_e32 v5, 4, v3
	v_and_or_b32 v8, 0x7f00, v1, 0.5
	v_cmp_gt_u32_e32 vcc_lo, 0x8000000, v3
	v_bfe_i32 v1, v1, 0, 16
	v_or_b32_e32 v5, 0x70000000, v5
	v_add_f32_e32 v8, -0.5, v8
	v_mul_f32_e32 v5, 0x7800000, v5
	v_cndmask_b32_e32 v3, v5, v8, vcc_lo
	v_and_or_b32 v1, 0x80000000, v1, v3
	v_bfe_u32 v3, v3, 16, 1
	v_cmp_o_f32_e32 vcc_lo, v1, v1
	v_add3_u32 v1, v1, v3, 0x7fff
	v_mov_b32_e32 v3, 0x7fc0
	v_cndmask_b32_sdwa v1, v3, v1, vcc_lo dst_sel:DWORD dst_unused:UNUSED_PAD src0_sel:DWORD src1_sel:WORD_1
.LBB31_1211:
	s_mov_b32 s5, -1
	s_mov_b32 s4, 0
	s_cbranch_execnz .LBB31_1222
.LBB31_1212:
	s_cmp_gt_i32 s1, 14
	s_cbranch_scc0 .LBB31_1215
; %bb.1213:
	s_cmp_eq_u32 s1, 15
	s_cbranch_scc0 .LBB31_1218
; %bb.1214:
	global_load_ushort v1, v[12:13], off
	s_mov_b32 s3, 0
	s_mov_b32 s5, -1
	s_branch .LBB31_1220
.LBB31_1215:
	s_mov_b32 s4, -1
	s_branch .LBB31_1219
.LBB31_1216:
	s_or_saveexec_b32 s5, s5
	v_mov_b32_e32 v3, 0x7f800001
	s_xor_b32 exec_lo, exec_lo, s5
	s_cbranch_execz .LBB31_1198
.LBB31_1217:
	v_cmp_ne_u16_e32 vcc_lo, 0, v1
	v_mov_b32_e32 v3, 0
	s_andn2_b32 s4, s4, exec_lo
	s_and_b32 s6, vcc_lo, exec_lo
	s_or_b32 s4, s4, s6
	s_or_b32 exec_lo, exec_lo, s5
	s_and_saveexec_b32 s5, s4
	s_cbranch_execnz .LBB31_1199
	s_branch .LBB31_1200
.LBB31_1218:
	s_mov_b32 s3, -1
.LBB31_1219:
                                        ; implicit-def: $vgpr1
.LBB31_1220:
	s_and_b32 vcc_lo, exec_lo, s4
	s_mov_b32 s4, 0
	s_cbranch_vccz .LBB31_1222
; %bb.1221:
	s_cmp_lg_u32 s1, 11
	s_mov_b32 s4, -1
	s_cselect_b32 s3, -1, 0
.LBB31_1222:
	s_and_b32 vcc_lo, exec_lo, s3
	s_mov_b32 s1, s12
	s_cbranch_vccnz .LBB31_1283
; %bb.1223:
	s_andn2_b32 vcc_lo, exec_lo, s4
	s_cbranch_vccnz .LBB31_1225
.LBB31_1224:
	global_load_ubyte v1, v[12:13], off
	s_mov_b32 s5, -1
	s_waitcnt vmcnt(0)
	v_cmp_ne_u16_e32 vcc_lo, 0, v1
	v_cndmask_b32_e64 v1, 0, 1.0, vcc_lo
	v_lshrrev_b32_e32 v1, 16, v1
.LBB31_1225:
	s_branch .LBB31_1154
.LBB31_1226:
	s_and_b32 s0, 0xffff, s0
	s_cmp_lt_i32 s0, 5
	s_cbranch_scc1 .LBB31_1231
; %bb.1227:
	s_cmp_lt_i32 s0, 8
	s_cbranch_scc1 .LBB31_1232
; %bb.1228:
	;; [unrolled: 3-line block ×3, first 2 shown]
	s_cmp_gt_i32 s0, 9
	s_cbranch_scc0 .LBB31_1234
; %bb.1230:
	global_load_dwordx2 v[14:15], v[12:13], off
	s_mov_b32 s3, 0
	s_waitcnt vmcnt(0)
	v_cvt_f32_f64_e32 v1, v[14:15]
	v_bfe_u32 v3, v1, 16, 1
	v_cmp_o_f32_e32 vcc_lo, v1, v1
	v_add3_u32 v1, v1, v3, 0x7fff
	v_mov_b32_e32 v3, 0x7fc0
	v_cndmask_b32_sdwa v1, v3, v1, vcc_lo dst_sel:DWORD dst_unused:UNUSED_PAD src0_sel:DWORD src1_sel:WORD_1
	s_branch .LBB31_1235
.LBB31_1231:
                                        ; implicit-def: $vgpr1
	s_branch .LBB31_1252
.LBB31_1232:
                                        ; implicit-def: $vgpr1
	s_branch .LBB31_1241
.LBB31_1233:
	s_mov_b32 s3, -1
                                        ; implicit-def: $vgpr1
	s_branch .LBB31_1238
.LBB31_1234:
	s_mov_b32 s3, -1
                                        ; implicit-def: $vgpr1
.LBB31_1235:
	s_andn2_b32 vcc_lo, exec_lo, s3
	s_cbranch_vccnz .LBB31_1237
; %bb.1236:
	global_load_dword v1, v[12:13], off
	s_waitcnt vmcnt(0)
	v_bfe_u32 v3, v1, 16, 1
	v_cmp_o_f32_e32 vcc_lo, v1, v1
	v_add3_u32 v1, v1, v3, 0x7fff
	v_mov_b32_e32 v3, 0x7fc0
	v_cndmask_b32_sdwa v1, v3, v1, vcc_lo dst_sel:DWORD dst_unused:UNUSED_PAD src0_sel:DWORD src1_sel:WORD_1
.LBB31_1237:
	s_mov_b32 s3, 0
.LBB31_1238:
	s_andn2_b32 vcc_lo, exec_lo, s3
	s_cbranch_vccnz .LBB31_1240
; %bb.1239:
	global_load_dword v1, v[12:13], off
	s_waitcnt vmcnt(0)
	v_cvt_f32_f16_e32 v3, v1
	v_cmp_o_f16_e32 vcc_lo, v1, v1
	v_bfe_u32 v5, v3, 16, 1
	v_add3_u32 v1, v3, v5, 0x7fff
	v_mov_b32_e32 v3, 0x7fc0
	v_cndmask_b32_sdwa v1, v3, v1, vcc_lo dst_sel:DWORD dst_unused:UNUSED_PAD src0_sel:DWORD src1_sel:WORD_1
.LBB31_1240:
	s_cbranch_execnz .LBB31_1251
.LBB31_1241:
	s_cmp_lt_i32 s0, 6
	s_cbranch_scc1 .LBB31_1244
; %bb.1242:
	s_cmp_gt_i32 s0, 6
	s_cbranch_scc0 .LBB31_1245
; %bb.1243:
	global_load_dwordx2 v[14:15], v[12:13], off
	s_mov_b32 s3, 0
	s_waitcnt vmcnt(0)
	v_cvt_f32_f64_e32 v1, v[14:15]
	v_bfe_u32 v3, v1, 16, 1
	v_cmp_o_f32_e32 vcc_lo, v1, v1
	v_add3_u32 v1, v1, v3, 0x7fff
	v_mov_b32_e32 v3, 0x7fc0
	v_cndmask_b32_sdwa v1, v3, v1, vcc_lo dst_sel:DWORD dst_unused:UNUSED_PAD src0_sel:DWORD src1_sel:WORD_1
	s_branch .LBB31_1246
.LBB31_1244:
	s_mov_b32 s3, -1
                                        ; implicit-def: $vgpr1
	s_branch .LBB31_1249
.LBB31_1245:
	s_mov_b32 s3, -1
                                        ; implicit-def: $vgpr1
.LBB31_1246:
	s_andn2_b32 vcc_lo, exec_lo, s3
	s_cbranch_vccnz .LBB31_1248
; %bb.1247:
	global_load_dword v1, v[12:13], off
	s_waitcnt vmcnt(0)
	v_bfe_u32 v3, v1, 16, 1
	v_cmp_o_f32_e32 vcc_lo, v1, v1
	v_add3_u32 v1, v1, v3, 0x7fff
	v_mov_b32_e32 v3, 0x7fc0
	v_cndmask_b32_sdwa v1, v3, v1, vcc_lo dst_sel:DWORD dst_unused:UNUSED_PAD src0_sel:DWORD src1_sel:WORD_1
.LBB31_1248:
	s_mov_b32 s3, 0
.LBB31_1249:
	s_andn2_b32 vcc_lo, exec_lo, s3
	s_cbranch_vccnz .LBB31_1251
; %bb.1250:
	global_load_ushort v1, v[12:13], off
	s_waitcnt vmcnt(0)
	v_cvt_f32_f16_e32 v3, v1
	v_cmp_o_f16_e32 vcc_lo, v1, v1
	v_bfe_u32 v5, v3, 16, 1
	v_add3_u32 v1, v3, v5, 0x7fff
	v_mov_b32_e32 v3, 0x7fc0
	v_cndmask_b32_sdwa v1, v3, v1, vcc_lo dst_sel:DWORD dst_unused:UNUSED_PAD src0_sel:DWORD src1_sel:WORD_1
.LBB31_1251:
	s_cbranch_execnz .LBB31_1270
.LBB31_1252:
	s_cmp_lt_i32 s0, 2
	s_cbranch_scc1 .LBB31_1256
; %bb.1253:
	s_cmp_lt_i32 s0, 3
	s_cbranch_scc1 .LBB31_1257
; %bb.1254:
	s_cmp_gt_i32 s0, 3
	s_cbranch_scc0 .LBB31_1258
; %bb.1255:
	global_load_dwordx2 v[14:15], v[12:13], off
	s_mov_b32 s3, 0
	s_waitcnt vmcnt(0)
	v_xor_b32_e32 v1, v14, v15
	v_ffbh_i32_e32 v3, v15
	v_ashrrev_i32_e32 v1, 31, v1
	v_add_nc_u32_e32 v3, -1, v3
	v_add_nc_u32_e32 v1, 32, v1
	v_min_u32_e32 v1, v3, v1
	v_lshlrev_b64 v[14:15], v1, v[14:15]
	v_sub_nc_u32_e32 v1, 32, v1
	v_min_u32_e32 v3, 1, v14
	v_or_b32_e32 v3, v15, v3
	v_cvt_f32_i32_e32 v3, v3
	v_ldexp_f32 v1, v3, v1
	v_bfe_u32 v3, v1, 16, 1
	v_add3_u32 v1, v1, v3, 0x7fff
	v_lshrrev_b32_e32 v1, 16, v1
	s_branch .LBB31_1259
.LBB31_1256:
                                        ; implicit-def: $vgpr1
	s_branch .LBB31_1265
.LBB31_1257:
	s_mov_b32 s3, -1
                                        ; implicit-def: $vgpr1
	s_branch .LBB31_1262
.LBB31_1258:
	s_mov_b32 s3, -1
                                        ; implicit-def: $vgpr1
.LBB31_1259:
	s_andn2_b32 vcc_lo, exec_lo, s3
	s_cbranch_vccnz .LBB31_1261
; %bb.1260:
	global_load_dword v1, v[12:13], off
	s_waitcnt vmcnt(0)
	v_cvt_f32_i32_e32 v1, v1
	v_bfe_u32 v3, v1, 16, 1
	v_add3_u32 v1, v1, v3, 0x7fff
	v_lshrrev_b32_e32 v1, 16, v1
.LBB31_1261:
	s_mov_b32 s3, 0
.LBB31_1262:
	s_andn2_b32 vcc_lo, exec_lo, s3
	s_cbranch_vccnz .LBB31_1264
; %bb.1263:
	global_load_sshort v1, v[12:13], off
	s_waitcnt vmcnt(0)
	v_cvt_f32_i32_e32 v1, v1
	v_bfe_u32 v3, v1, 16, 1
	v_add3_u32 v1, v1, v3, 0x7fff
	v_lshrrev_b32_e32 v1, 16, v1
.LBB31_1264:
	s_cbranch_execnz .LBB31_1270
.LBB31_1265:
	s_cmp_gt_i32 s0, 0
	s_mov_b32 s0, 0
	s_cbranch_scc0 .LBB31_1267
; %bb.1266:
	global_load_sbyte v1, v[12:13], off
	s_waitcnt vmcnt(0)
	v_cvt_f32_i32_e32 v1, v1
	v_bfe_u32 v3, v1, 16, 1
	v_add3_u32 v1, v1, v3, 0x7fff
	v_lshrrev_b32_e32 v1, 16, v1
	s_branch .LBB31_1268
.LBB31_1267:
	s_mov_b32 s0, -1
                                        ; implicit-def: $vgpr1
.LBB31_1268:
	s_andn2_b32 vcc_lo, exec_lo, s0
	s_cbranch_vccnz .LBB31_1270
; %bb.1269:
	global_load_ubyte v1, v[12:13], off
	s_waitcnt vmcnt(0)
	v_cvt_f32_ubyte0_e32 v1, v1
	v_bfe_u32 v3, v1, 16, 1
	v_add3_u32 v1, v1, v3, 0x7fff
	v_lshrrev_b32_e32 v1, 16, v1
.LBB31_1270:
.LBB31_1271:
	v_add_co_u32 v10, s3, s10, v11
	s_lshr_b32 s0, s2, 16
	v_add_co_ci_u32_e64 v11, null, s11, 0, s3
	s_and_b32 s0, s0, 0xff
	s_cmp_lt_i32 s0, 11
	s_cbranch_scc1 .LBB31_1278
; %bb.1272:
	s_and_b32 s3, 0xffff, s0
	s_mov_b32 s5, 0
	s_cmp_gt_i32 s3, 25
	s_cbranch_scc0 .LBB31_1280
; %bb.1273:
	s_cmp_gt_i32 s3, 28
	s_cbranch_scc0 .LBB31_1281
; %bb.1274:
	;; [unrolled: 3-line block ×4, first 2 shown]
	s_cmp_eq_u32 s3, 46
	s_mov_b32 s7, 0
	s_cbranch_scc0 .LBB31_1287
; %bb.1277:
	global_load_dword v3, v[10:11], off
	s_mov_b32 s4, 0
	s_mov_b32 s6, -1
	s_branch .LBB31_1289
.LBB31_1278:
	s_mov_b32 s6, 0
                                        ; implicit-def: $vgpr3
	s_cbranch_execnz .LBB31_1354
.LBB31_1279:
	s_andn2_b32 vcc_lo, exec_lo, s6
	s_cbranch_vccnz .LBB31_2095
	s_branch .LBB31_1401
.LBB31_1280:
	s_mov_b32 s6, 0
	s_mov_b32 s4, 0
                                        ; implicit-def: $vgpr3
	s_cbranch_execnz .LBB31_1318
	s_branch .LBB31_1350
.LBB31_1281:
	s_mov_b32 s7, -1
	s_mov_b32 s6, 0
	s_mov_b32 s4, 0
                                        ; implicit-def: $vgpr3
	s_branch .LBB31_1299
.LBB31_1282:
	s_mov_b32 s7, -1
	s_mov_b32 s6, 0
	s_mov_b32 s4, 0
                                        ; implicit-def: $vgpr3
	s_branch .LBB31_1294
.LBB31_1283:
	s_or_b32 s1, s12, exec_lo
	s_trap 2
	s_cbranch_execz .LBB31_1224
	s_branch .LBB31_1225
.LBB31_1284:
	s_mov_b32 s7, -1
	s_mov_b32 s6, 0
	s_mov_b32 s4, 0
	s_branch .LBB31_1288
.LBB31_1285:
	s_andn2_saveexec_b32 s12, s12
	s_cbranch_execz .LBB31_1014
.LBB31_1286:
	v_add_f32_e64 v4, 0x42800000, |v5|
	s_andn2_b32 s11, s11, exec_lo
	v_and_b32_e32 v4, 0xff, v4
	v_cmp_ne_u32_e32 vcc_lo, 0, v4
	s_and_b32 s13, vcc_lo, exec_lo
	s_or_b32 s11, s11, s13
	s_or_b32 exec_lo, exec_lo, s12
	v_mov_b32_e32 v6, 0
	s_and_saveexec_b32 s12, s11
	s_cbranch_execnz .LBB31_1015
	s_branch .LBB31_1016
.LBB31_1287:
	s_mov_b32 s4, -1
	s_mov_b32 s6, 0
.LBB31_1288:
                                        ; implicit-def: $vgpr3
.LBB31_1289:
	s_and_b32 vcc_lo, exec_lo, s7
	s_cbranch_vccz .LBB31_1293
; %bb.1290:
	s_cmp_eq_u32 s3, 44
	s_cbranch_scc0 .LBB31_1292
; %bb.1291:
	global_load_ubyte v3, v[10:11], off
	s_mov_b32 s4, 0
	s_mov_b32 s6, -1
	s_waitcnt vmcnt(0)
	v_lshlrev_b32_e32 v5, 23, v3
	v_cmp_ne_u32_e32 vcc_lo, 0xff, v3
	v_cndmask_b32_e32 v5, 0x7f800001, v5, vcc_lo
	v_cmp_ne_u32_e32 vcc_lo, 0, v3
	v_cndmask_b32_e32 v3, 0x400000, v5, vcc_lo
	v_mov_b32_e32 v5, 0x7fc0
	v_cmp_o_f32_e32 vcc_lo, v3, v3
	v_add_nc_u32_e32 v3, 0x7fff, v3
	v_cndmask_b32_sdwa v3, v5, v3, vcc_lo dst_sel:DWORD dst_unused:UNUSED_PAD src0_sel:DWORD src1_sel:WORD_1
	s_branch .LBB31_1293
.LBB31_1292:
	s_mov_b32 s4, -1
                                        ; implicit-def: $vgpr3
.LBB31_1293:
	s_mov_b32 s7, 0
.LBB31_1294:
	s_and_b32 vcc_lo, exec_lo, s7
	s_cbranch_vccz .LBB31_1298
; %bb.1295:
	s_cmp_eq_u32 s3, 29
	s_cbranch_scc0 .LBB31_1297
; %bb.1296:
	global_load_dwordx2 v[12:13], v[10:11], off
	s_mov_b32 s4, 0
	s_mov_b32 s6, -1
	s_mov_b32 s7, 0
	s_waitcnt vmcnt(0)
	v_ffbh_u32_e32 v3, v13
	v_min_u32_e32 v3, 32, v3
	v_lshlrev_b64 v[12:13], v3, v[12:13]
	v_sub_nc_u32_e32 v3, 32, v3
	v_min_u32_e32 v5, 1, v12
	v_or_b32_e32 v5, v13, v5
	v_cvt_f32_u32_e32 v5, v5
	v_ldexp_f32 v3, v5, v3
	v_bfe_u32 v5, v3, 16, 1
	v_add3_u32 v3, v3, v5, 0x7fff
	v_lshrrev_b32_e32 v3, 16, v3
	s_branch .LBB31_1299
.LBB31_1297:
	s_mov_b32 s4, -1
                                        ; implicit-def: $vgpr3
.LBB31_1298:
	s_mov_b32 s7, 0
.LBB31_1299:
	s_and_b32 vcc_lo, exec_lo, s7
	s_cbranch_vccz .LBB31_1317
; %bb.1300:
	s_cmp_lt_i32 s3, 27
	s_cbranch_scc1 .LBB31_1303
; %bb.1301:
	s_cmp_gt_i32 s3, 27
	s_cbranch_scc0 .LBB31_1304
; %bb.1302:
	global_load_dword v3, v[10:11], off
	s_mov_b32 s6, 0
	s_waitcnt vmcnt(0)
	v_cvt_f32_u32_e32 v3, v3
	v_bfe_u32 v5, v3, 16, 1
	v_add3_u32 v3, v3, v5, 0x7fff
	v_lshrrev_b32_e32 v3, 16, v3
	s_branch .LBB31_1305
.LBB31_1303:
	s_mov_b32 s6, -1
                                        ; implicit-def: $vgpr3
	s_branch .LBB31_1308
.LBB31_1304:
	s_mov_b32 s6, -1
                                        ; implicit-def: $vgpr3
.LBB31_1305:
	s_andn2_b32 vcc_lo, exec_lo, s6
	s_cbranch_vccnz .LBB31_1307
; %bb.1306:
	global_load_ushort v3, v[10:11], off
	s_waitcnt vmcnt(0)
	v_cvt_f32_u32_e32 v3, v3
	v_bfe_u32 v5, v3, 16, 1
	v_add3_u32 v3, v3, v5, 0x7fff
	v_lshrrev_b32_e32 v3, 16, v3
.LBB31_1307:
	s_mov_b32 s6, 0
.LBB31_1308:
	s_andn2_b32 vcc_lo, exec_lo, s6
	s_cbranch_vccnz .LBB31_1316
; %bb.1309:
	global_load_ubyte v3, v[10:11], off
	s_mov_b32 s6, 0
	s_mov_b32 s7, exec_lo
	s_waitcnt vmcnt(0)
	v_cmpx_lt_i16_e32 0x7f, v3
	s_xor_b32 s7, exec_lo, s7
	s_cbranch_execz .LBB31_1329
; %bb.1310:
	s_mov_b32 s6, -1
	s_mov_b32 s14, exec_lo
	v_cmpx_eq_u16_e32 0x80, v3
; %bb.1311:
	s_xor_b32 s6, exec_lo, -1
; %bb.1312:
	s_or_b32 exec_lo, exec_lo, s14
	s_and_b32 s6, s6, exec_lo
	s_or_saveexec_b32 s7, s7
	v_mov_b32_e32 v5, 0x7f800001
	s_xor_b32 exec_lo, exec_lo, s7
	s_cbranch_execnz .LBB31_1330
.LBB31_1313:
	s_or_b32 exec_lo, exec_lo, s7
	s_and_saveexec_b32 s7, s6
	s_cbranch_execz .LBB31_1315
.LBB31_1314:
	v_and_b32_e32 v5, 0xffff, v3
	v_lshlrev_b32_e32 v3, 24, v3
	v_and_b32_e32 v8, 7, v5
	v_bfe_u32 v14, v5, 3, 4
	v_and_b32_e32 v3, 0x80000000, v3
	v_ffbh_u32_e32 v12, v8
	v_cmp_eq_u32_e32 vcc_lo, 0, v14
	v_min_u32_e32 v12, 32, v12
	v_subrev_nc_u32_e32 v13, 28, v12
	v_sub_nc_u32_e32 v12, 29, v12
	v_lshlrev_b32_e32 v5, v13, v5
	v_cndmask_b32_e32 v12, v14, v12, vcc_lo
	v_and_b32_e32 v5, 7, v5
	v_cndmask_b32_e32 v5, v8, v5, vcc_lo
	v_lshl_add_u32 v8, v12, 23, 0x3b800000
	v_lshlrev_b32_e32 v5, 20, v5
	v_or3_b32 v5, v3, v8, v5
.LBB31_1315:
	s_or_b32 exec_lo, exec_lo, s7
	v_bfe_u32 v3, v5, 16, 1
	v_cmp_o_f32_e32 vcc_lo, v5, v5
	v_add3_u32 v3, v5, v3, 0x7fff
	v_mov_b32_e32 v5, 0x7fc0
	v_cndmask_b32_sdwa v3, v5, v3, vcc_lo dst_sel:DWORD dst_unused:UNUSED_PAD src0_sel:DWORD src1_sel:WORD_1
.LBB31_1316:
	s_mov_b32 s6, -1
.LBB31_1317:
	s_branch .LBB31_1350
.LBB31_1318:
	s_cmp_gt_i32 s3, 22
	s_cbranch_scc0 .LBB31_1328
; %bb.1319:
	s_cmp_lt_i32 s3, 24
	s_cbranch_scc1 .LBB31_1331
; %bb.1320:
	s_cmp_gt_i32 s3, 24
	s_cbranch_scc0 .LBB31_1332
; %bb.1321:
	global_load_ubyte v3, v[10:11], off
	s_mov_b32 s6, exec_lo
	s_waitcnt vmcnt(0)
	v_cmpx_lt_i16_e32 0x7f, v3
	s_xor_b32 s6, exec_lo, s6
	s_cbranch_execz .LBB31_1344
; %bb.1322:
	s_mov_b32 s5, -1
	s_mov_b32 s7, exec_lo
	v_cmpx_eq_u16_e32 0x80, v3
; %bb.1323:
	s_xor_b32 s5, exec_lo, -1
; %bb.1324:
	s_or_b32 exec_lo, exec_lo, s7
	s_and_b32 s5, s5, exec_lo
	s_or_saveexec_b32 s6, s6
	v_mov_b32_e32 v5, 0x7f800001
	s_xor_b32 exec_lo, exec_lo, s6
	s_cbranch_execnz .LBB31_1345
.LBB31_1325:
	s_or_b32 exec_lo, exec_lo, s6
	s_and_saveexec_b32 s6, s5
	s_cbranch_execz .LBB31_1327
.LBB31_1326:
	v_and_b32_e32 v5, 0xffff, v3
	v_lshlrev_b32_e32 v3, 24, v3
	v_and_b32_e32 v8, 3, v5
	v_bfe_u32 v14, v5, 2, 5
	v_and_b32_e32 v3, 0x80000000, v3
	v_ffbh_u32_e32 v12, v8
	v_cmp_eq_u32_e32 vcc_lo, 0, v14
	v_min_u32_e32 v12, 32, v12
	v_subrev_nc_u32_e32 v13, 29, v12
	v_sub_nc_u32_e32 v12, 30, v12
	v_lshlrev_b32_e32 v5, v13, v5
	v_cndmask_b32_e32 v12, v14, v12, vcc_lo
	v_and_b32_e32 v5, 3, v5
	v_cndmask_b32_e32 v5, v8, v5, vcc_lo
	v_lshl_add_u32 v8, v12, 23, 0x37800000
	v_lshlrev_b32_e32 v5, 21, v5
	v_or3_b32 v5, v3, v8, v5
.LBB31_1327:
	s_or_b32 exec_lo, exec_lo, s6
	v_bfe_u32 v3, v5, 16, 1
	v_cmp_o_f32_e32 vcc_lo, v5, v5
	s_mov_b32 s5, 0
	v_add3_u32 v3, v5, v3, 0x7fff
	v_mov_b32_e32 v5, 0x7fc0
	v_cndmask_b32_sdwa v3, v5, v3, vcc_lo dst_sel:DWORD dst_unused:UNUSED_PAD src0_sel:DWORD src1_sel:WORD_1
	s_branch .LBB31_1333
.LBB31_1328:
	s_mov_b32 s5, -1
                                        ; implicit-def: $vgpr3
	s_branch .LBB31_1339
.LBB31_1329:
	s_or_saveexec_b32 s7, s7
	v_mov_b32_e32 v5, 0x7f800001
	s_xor_b32 exec_lo, exec_lo, s7
	s_cbranch_execz .LBB31_1313
.LBB31_1330:
	v_cmp_ne_u16_e32 vcc_lo, 0, v3
	v_mov_b32_e32 v5, 0
	s_andn2_b32 s6, s6, exec_lo
	s_and_b32 s14, vcc_lo, exec_lo
	s_or_b32 s6, s6, s14
	s_or_b32 exec_lo, exec_lo, s7
	s_and_saveexec_b32 s7, s6
	s_cbranch_execnz .LBB31_1314
	s_branch .LBB31_1315
.LBB31_1331:
	s_mov_b32 s5, -1
                                        ; implicit-def: $vgpr3
	s_branch .LBB31_1336
.LBB31_1332:
	s_mov_b32 s5, -1
                                        ; implicit-def: $vgpr3
.LBB31_1333:
	s_and_b32 vcc_lo, exec_lo, s5
	s_cbranch_vccz .LBB31_1335
; %bb.1334:
	global_load_ubyte v3, v[10:11], off
	s_waitcnt vmcnt(0)
	v_lshlrev_b32_e32 v3, 24, v3
	v_and_b32_e32 v5, 0x7f000000, v3
	v_ffbh_u32_e32 v8, v5
	v_add_nc_u32_e32 v13, 0x1000000, v5
	v_cmp_ne_u32_e32 vcc_lo, 0, v5
	v_min_u32_e32 v8, 32, v8
	v_sub_nc_u32_e64 v8, v8, 4 clamp
	v_lshlrev_b32_e32 v12, v8, v5
	v_lshlrev_b32_e32 v8, 23, v8
	v_lshrrev_b32_e32 v12, 4, v12
	v_sub_nc_u32_e32 v8, v12, v8
	v_ashrrev_i32_e32 v12, 8, v13
	v_add_nc_u32_e32 v8, 0x3c000000, v8
	v_and_or_b32 v8, 0x7f800000, v12, v8
	v_cndmask_b32_e32 v5, 0, v8, vcc_lo
	v_and_or_b32 v3, 0x80000000, v3, v5
	v_bfe_u32 v5, v5, 16, 1
	v_cmp_o_f32_e32 vcc_lo, v3, v3
	v_add3_u32 v3, v3, v5, 0x7fff
	v_mov_b32_e32 v5, 0x7fc0
	v_cndmask_b32_sdwa v3, v5, v3, vcc_lo dst_sel:DWORD dst_unused:UNUSED_PAD src0_sel:DWORD src1_sel:WORD_1
.LBB31_1335:
	s_mov_b32 s5, 0
.LBB31_1336:
	s_andn2_b32 vcc_lo, exec_lo, s5
	s_cbranch_vccnz .LBB31_1338
; %bb.1337:
	global_load_ubyte v3, v[10:11], off
	s_waitcnt vmcnt(0)
	v_lshlrev_b32_e32 v5, 25, v3
	v_lshlrev_b16 v3, 8, v3
	v_lshrrev_b32_e32 v8, 4, v5
	v_and_or_b32 v12, 0x7f00, v3, 0.5
	v_cmp_gt_u32_e32 vcc_lo, 0x8000000, v5
	v_bfe_i32 v3, v3, 0, 16
	v_or_b32_e32 v8, 0x70000000, v8
	v_add_f32_e32 v12, -0.5, v12
	v_mul_f32_e32 v8, 0x7800000, v8
	v_cndmask_b32_e32 v5, v8, v12, vcc_lo
	v_and_or_b32 v3, 0x80000000, v3, v5
	v_bfe_u32 v5, v5, 16, 1
	v_cmp_o_f32_e32 vcc_lo, v3, v3
	v_add3_u32 v3, v3, v5, 0x7fff
	v_mov_b32_e32 v5, 0x7fc0
	v_cndmask_b32_sdwa v3, v5, v3, vcc_lo dst_sel:DWORD dst_unused:UNUSED_PAD src0_sel:DWORD src1_sel:WORD_1
.LBB31_1338:
	s_mov_b32 s5, 0
	s_mov_b32 s6, -1
.LBB31_1339:
	s_andn2_b32 vcc_lo, exec_lo, s5
	s_mov_b32 s5, 0
	s_cbranch_vccnz .LBB31_1350
; %bb.1340:
	s_cmp_gt_i32 s3, 14
	s_cbranch_scc0 .LBB31_1343
; %bb.1341:
	s_cmp_eq_u32 s3, 15
	s_cbranch_scc0 .LBB31_1346
; %bb.1342:
	global_load_ushort v3, v[10:11], off
	s_mov_b32 s4, 0
	s_mov_b32 s6, -1
	s_branch .LBB31_1348
.LBB31_1343:
	s_mov_b32 s5, -1
	s_branch .LBB31_1347
.LBB31_1344:
	s_or_saveexec_b32 s6, s6
	v_mov_b32_e32 v5, 0x7f800001
	s_xor_b32 exec_lo, exec_lo, s6
	s_cbranch_execz .LBB31_1325
.LBB31_1345:
	v_cmp_ne_u16_e32 vcc_lo, 0, v3
	v_mov_b32_e32 v5, 0
	s_andn2_b32 s5, s5, exec_lo
	s_and_b32 s7, vcc_lo, exec_lo
	s_or_b32 s5, s5, s7
	s_or_b32 exec_lo, exec_lo, s6
	s_and_saveexec_b32 s6, s5
	s_cbranch_execnz .LBB31_1326
	s_branch .LBB31_1327
.LBB31_1346:
	s_mov_b32 s4, -1
.LBB31_1347:
                                        ; implicit-def: $vgpr3
.LBB31_1348:
	s_and_b32 vcc_lo, exec_lo, s5
	s_mov_b32 s5, 0
	s_cbranch_vccz .LBB31_1350
; %bb.1349:
	s_cmp_lg_u32 s3, 11
	s_mov_b32 s5, -1
	s_cselect_b32 s4, -1, 0
.LBB31_1350:
	s_and_b32 vcc_lo, exec_lo, s4
	s_cbranch_vccnz .LBB31_1413
; %bb.1351:
	s_andn2_b32 vcc_lo, exec_lo, s5
	s_cbranch_vccnz .LBB31_1353
.LBB31_1352:
	global_load_ubyte v3, v[10:11], off
	s_mov_b32 s6, -1
	s_waitcnt vmcnt(0)
	v_cmp_ne_u16_e32 vcc_lo, 0, v3
	v_cndmask_b32_e64 v3, 0, 1.0, vcc_lo
	v_lshrrev_b32_e32 v3, 16, v3
.LBB31_1353:
	s_branch .LBB31_1279
.LBB31_1354:
	s_and_b32 s3, 0xffff, s0
	s_cmp_lt_i32 s3, 5
	s_cbranch_scc1 .LBB31_1359
; %bb.1355:
	s_cmp_lt_i32 s3, 8
	s_cbranch_scc1 .LBB31_1360
; %bb.1356:
	;; [unrolled: 3-line block ×3, first 2 shown]
	s_cmp_gt_i32 s3, 9
	s_cbranch_scc0 .LBB31_1362
; %bb.1358:
	global_load_dwordx2 v[12:13], v[10:11], off
	s_mov_b32 s4, 0
	s_waitcnt vmcnt(0)
	v_cvt_f32_f64_e32 v3, v[12:13]
	v_bfe_u32 v5, v3, 16, 1
	v_cmp_o_f32_e32 vcc_lo, v3, v3
	v_add3_u32 v3, v3, v5, 0x7fff
	v_mov_b32_e32 v5, 0x7fc0
	v_cndmask_b32_sdwa v3, v5, v3, vcc_lo dst_sel:DWORD dst_unused:UNUSED_PAD src0_sel:DWORD src1_sel:WORD_1
	s_branch .LBB31_1363
.LBB31_1359:
                                        ; implicit-def: $vgpr3
	s_branch .LBB31_1381
.LBB31_1360:
	s_mov_b32 s4, -1
                                        ; implicit-def: $vgpr3
	s_branch .LBB31_1369
.LBB31_1361:
	s_mov_b32 s4, -1
                                        ; implicit-def: $vgpr3
	s_branch .LBB31_1366
.LBB31_1362:
	s_mov_b32 s4, -1
                                        ; implicit-def: $vgpr3
.LBB31_1363:
	s_andn2_b32 vcc_lo, exec_lo, s4
	s_cbranch_vccnz .LBB31_1365
; %bb.1364:
	global_load_dword v3, v[10:11], off
	s_waitcnt vmcnt(0)
	v_bfe_u32 v5, v3, 16, 1
	v_cmp_o_f32_e32 vcc_lo, v3, v3
	v_add3_u32 v3, v3, v5, 0x7fff
	v_mov_b32_e32 v5, 0x7fc0
	v_cndmask_b32_sdwa v3, v5, v3, vcc_lo dst_sel:DWORD dst_unused:UNUSED_PAD src0_sel:DWORD src1_sel:WORD_1
.LBB31_1365:
	s_mov_b32 s4, 0
.LBB31_1366:
	s_andn2_b32 vcc_lo, exec_lo, s4
	s_cbranch_vccnz .LBB31_1368
; %bb.1367:
	global_load_dword v3, v[10:11], off
	s_waitcnt vmcnt(0)
	v_cvt_f32_f16_e32 v5, v3
	v_cmp_o_f16_e32 vcc_lo, v3, v3
	v_bfe_u32 v8, v5, 16, 1
	v_add3_u32 v3, v5, v8, 0x7fff
	v_mov_b32_e32 v5, 0x7fc0
	v_cndmask_b32_sdwa v3, v5, v3, vcc_lo dst_sel:DWORD dst_unused:UNUSED_PAD src0_sel:DWORD src1_sel:WORD_1
.LBB31_1368:
	s_mov_b32 s4, 0
.LBB31_1369:
	s_andn2_b32 vcc_lo, exec_lo, s4
	s_cbranch_vccnz .LBB31_1380
; %bb.1370:
	s_cmp_lt_i32 s3, 6
	s_cbranch_scc1 .LBB31_1373
; %bb.1371:
	s_cmp_gt_i32 s3, 6
	s_cbranch_scc0 .LBB31_1374
; %bb.1372:
	global_load_dwordx2 v[12:13], v[10:11], off
	s_mov_b32 s4, 0
	s_waitcnt vmcnt(0)
	v_cvt_f32_f64_e32 v3, v[12:13]
	v_bfe_u32 v5, v3, 16, 1
	v_cmp_o_f32_e32 vcc_lo, v3, v3
	v_add3_u32 v3, v3, v5, 0x7fff
	v_mov_b32_e32 v5, 0x7fc0
	v_cndmask_b32_sdwa v3, v5, v3, vcc_lo dst_sel:DWORD dst_unused:UNUSED_PAD src0_sel:DWORD src1_sel:WORD_1
	s_branch .LBB31_1375
.LBB31_1373:
	s_mov_b32 s4, -1
                                        ; implicit-def: $vgpr3
	s_branch .LBB31_1378
.LBB31_1374:
	s_mov_b32 s4, -1
                                        ; implicit-def: $vgpr3
.LBB31_1375:
	s_andn2_b32 vcc_lo, exec_lo, s4
	s_cbranch_vccnz .LBB31_1377
; %bb.1376:
	global_load_dword v3, v[10:11], off
	s_waitcnt vmcnt(0)
	v_bfe_u32 v5, v3, 16, 1
	v_cmp_o_f32_e32 vcc_lo, v3, v3
	v_add3_u32 v3, v3, v5, 0x7fff
	v_mov_b32_e32 v5, 0x7fc0
	v_cndmask_b32_sdwa v3, v5, v3, vcc_lo dst_sel:DWORD dst_unused:UNUSED_PAD src0_sel:DWORD src1_sel:WORD_1
.LBB31_1377:
	s_mov_b32 s4, 0
.LBB31_1378:
	s_andn2_b32 vcc_lo, exec_lo, s4
	s_cbranch_vccnz .LBB31_1380
; %bb.1379:
	global_load_ushort v3, v[10:11], off
	s_waitcnt vmcnt(0)
	v_cvt_f32_f16_e32 v5, v3
	v_cmp_o_f16_e32 vcc_lo, v3, v3
	v_bfe_u32 v8, v5, 16, 1
	v_add3_u32 v3, v5, v8, 0x7fff
	v_mov_b32_e32 v5, 0x7fc0
	v_cndmask_b32_sdwa v3, v5, v3, vcc_lo dst_sel:DWORD dst_unused:UNUSED_PAD src0_sel:DWORD src1_sel:WORD_1
.LBB31_1380:
	s_cbranch_execnz .LBB31_1400
.LBB31_1381:
	s_cmp_lt_i32 s3, 2
	s_cbranch_scc1 .LBB31_1385
; %bb.1382:
	s_cmp_lt_i32 s3, 3
	s_cbranch_scc1 .LBB31_1386
; %bb.1383:
	s_cmp_gt_i32 s3, 3
	s_cbranch_scc0 .LBB31_1387
; %bb.1384:
	global_load_dwordx2 v[12:13], v[10:11], off
	s_mov_b32 s4, 0
	s_waitcnt vmcnt(0)
	v_xor_b32_e32 v3, v12, v13
	v_ffbh_i32_e32 v5, v13
	v_ashrrev_i32_e32 v3, 31, v3
	v_add_nc_u32_e32 v5, -1, v5
	v_add_nc_u32_e32 v3, 32, v3
	v_min_u32_e32 v3, v5, v3
	v_lshlrev_b64 v[12:13], v3, v[12:13]
	v_sub_nc_u32_e32 v3, 32, v3
	v_min_u32_e32 v5, 1, v12
	v_or_b32_e32 v5, v13, v5
	v_cvt_f32_i32_e32 v5, v5
	v_ldexp_f32 v3, v5, v3
	v_bfe_u32 v5, v3, 16, 1
	v_add3_u32 v3, v3, v5, 0x7fff
	v_lshrrev_b32_e32 v3, 16, v3
	s_branch .LBB31_1388
.LBB31_1385:
	s_mov_b32 s4, -1
                                        ; implicit-def: $vgpr3
	s_branch .LBB31_1394
.LBB31_1386:
	s_mov_b32 s4, -1
                                        ; implicit-def: $vgpr3
	s_branch .LBB31_1391
.LBB31_1387:
	s_mov_b32 s4, -1
                                        ; implicit-def: $vgpr3
.LBB31_1388:
	s_andn2_b32 vcc_lo, exec_lo, s4
	s_cbranch_vccnz .LBB31_1390
; %bb.1389:
	global_load_dword v3, v[10:11], off
	s_waitcnt vmcnt(0)
	v_cvt_f32_i32_e32 v3, v3
	v_bfe_u32 v5, v3, 16, 1
	v_add3_u32 v3, v3, v5, 0x7fff
	v_lshrrev_b32_e32 v3, 16, v3
.LBB31_1390:
	s_mov_b32 s4, 0
.LBB31_1391:
	s_andn2_b32 vcc_lo, exec_lo, s4
	s_cbranch_vccnz .LBB31_1393
; %bb.1392:
	global_load_sshort v3, v[10:11], off
	s_waitcnt vmcnt(0)
	v_cvt_f32_i32_e32 v3, v3
	v_bfe_u32 v5, v3, 16, 1
	v_add3_u32 v3, v3, v5, 0x7fff
	v_lshrrev_b32_e32 v3, 16, v3
.LBB31_1393:
	s_mov_b32 s4, 0
.LBB31_1394:
	s_andn2_b32 vcc_lo, exec_lo, s4
	s_cbranch_vccnz .LBB31_1400
; %bb.1395:
	s_cmp_gt_i32 s3, 0
	s_mov_b32 s3, 0
	s_cbranch_scc0 .LBB31_1397
; %bb.1396:
	global_load_sbyte v3, v[10:11], off
	s_waitcnt vmcnt(0)
	v_cvt_f32_i32_e32 v3, v3
	v_bfe_u32 v5, v3, 16, 1
	v_add3_u32 v3, v3, v5, 0x7fff
	v_lshrrev_b32_e32 v3, 16, v3
	s_branch .LBB31_1398
.LBB31_1397:
	s_mov_b32 s3, -1
                                        ; implicit-def: $vgpr3
.LBB31_1398:
	s_andn2_b32 vcc_lo, exec_lo, s3
	s_cbranch_vccnz .LBB31_1400
; %bb.1399:
	global_load_ubyte v3, v[10:11], off
	s_waitcnt vmcnt(0)
	v_cvt_f32_ubyte0_e32 v3, v3
	v_bfe_u32 v5, v3, 16, 1
	v_add3_u32 v3, v3, v5, 0x7fff
	v_lshrrev_b32_e32 v3, 16, v3
.LBB31_1400:
.LBB31_1401:
	v_add_co_u32 v8, s3, s10, v9
	v_add_co_ci_u32_e64 v9, null, s11, 0, s3
	s_cmp_lt_i32 s0, 11
	s_cbranch_scc1 .LBB31_1408
; %bb.1402:
	s_and_b32 s3, 0xffff, s0
	s_mov_b32 s5, 0
	s_cmp_gt_i32 s3, 25
	s_cbranch_scc0 .LBB31_1410
; %bb.1403:
	s_cmp_gt_i32 s3, 28
	s_cbranch_scc0 .LBB31_1411
; %bb.1404:
	;; [unrolled: 3-line block ×4, first 2 shown]
	s_cmp_eq_u32 s3, 46
	s_mov_b32 s7, 0
	s_cbranch_scc0 .LBB31_1415
; %bb.1407:
	global_load_dword v10, v[8:9], off
	s_mov_b32 s4, 0
	s_mov_b32 s6, -1
	s_branch .LBB31_1417
.LBB31_1408:
	s_mov_b32 s6, 0
                                        ; implicit-def: $vgpr10
	s_cbranch_execnz .LBB31_1483
.LBB31_1409:
	s_andn2_b32 vcc_lo, exec_lo, s6
	s_cbranch_vccnz .LBB31_2095
	s_branch .LBB31_1531
.LBB31_1410:
	s_mov_b32 s7, -1
	s_mov_b32 s6, 0
	s_mov_b32 s4, 0
                                        ; implicit-def: $vgpr10
	s_branch .LBB31_1446
.LBB31_1411:
	s_mov_b32 s7, -1
	s_mov_b32 s6, 0
	s_mov_b32 s4, 0
                                        ; implicit-def: $vgpr10
	s_branch .LBB31_1427
.LBB31_1412:
	s_mov_b32 s7, -1
	s_mov_b32 s6, 0
	s_mov_b32 s4, 0
                                        ; implicit-def: $vgpr10
	s_branch .LBB31_1422
.LBB31_1413:
	s_or_b32 s1, s1, exec_lo
	s_trap 2
	s_cbranch_execz .LBB31_1352
	s_branch .LBB31_1353
.LBB31_1414:
	s_mov_b32 s7, -1
	s_mov_b32 s6, 0
	s_mov_b32 s4, 0
	s_branch .LBB31_1416
.LBB31_1415:
	s_mov_b32 s4, -1
	s_mov_b32 s6, 0
.LBB31_1416:
                                        ; implicit-def: $vgpr10
.LBB31_1417:
	s_and_b32 vcc_lo, exec_lo, s7
	s_cbranch_vccz .LBB31_1421
; %bb.1418:
	s_cmp_eq_u32 s3, 44
	s_cbranch_scc0 .LBB31_1420
; %bb.1419:
	global_load_ubyte v5, v[8:9], off
	s_mov_b32 s4, 0
	s_mov_b32 s6, -1
	s_waitcnt vmcnt(0)
	v_lshlrev_b32_e32 v10, 23, v5
	v_cmp_ne_u32_e32 vcc_lo, 0xff, v5
	v_cndmask_b32_e32 v10, 0x7f800001, v10, vcc_lo
	v_cmp_ne_u32_e32 vcc_lo, 0, v5
	v_cndmask_b32_e32 v5, 0x400000, v10, vcc_lo
	v_mov_b32_e32 v10, 0x7fc0
	v_cmp_o_f32_e32 vcc_lo, v5, v5
	v_add_nc_u32_e32 v5, 0x7fff, v5
	v_cndmask_b32_sdwa v10, v10, v5, vcc_lo dst_sel:DWORD dst_unused:UNUSED_PAD src0_sel:DWORD src1_sel:WORD_1
	s_branch .LBB31_1421
.LBB31_1420:
	s_mov_b32 s4, -1
                                        ; implicit-def: $vgpr10
.LBB31_1421:
	s_mov_b32 s7, 0
.LBB31_1422:
	s_and_b32 vcc_lo, exec_lo, s7
	s_cbranch_vccz .LBB31_1426
; %bb.1423:
	s_cmp_eq_u32 s3, 29
	s_cbranch_scc0 .LBB31_1425
; %bb.1424:
	global_load_dwordx2 v[10:11], v[8:9], off
	s_mov_b32 s4, 0
	s_mov_b32 s6, -1
	s_mov_b32 s7, 0
	s_waitcnt vmcnt(0)
	v_ffbh_u32_e32 v5, v11
	v_min_u32_e32 v5, 32, v5
	v_lshlrev_b64 v[10:11], v5, v[10:11]
	v_sub_nc_u32_e32 v5, 32, v5
	v_min_u32_e32 v10, 1, v10
	v_or_b32_e32 v10, v11, v10
	v_cvt_f32_u32_e32 v10, v10
	v_ldexp_f32 v5, v10, v5
	v_bfe_u32 v10, v5, 16, 1
	v_add3_u32 v5, v5, v10, 0x7fff
	v_lshrrev_b32_e32 v10, 16, v5
	s_branch .LBB31_1427
.LBB31_1425:
	s_mov_b32 s4, -1
                                        ; implicit-def: $vgpr10
.LBB31_1426:
	s_mov_b32 s7, 0
.LBB31_1427:
	s_and_b32 vcc_lo, exec_lo, s7
	s_cbranch_vccz .LBB31_1445
; %bb.1428:
	s_cmp_lt_i32 s3, 27
	s_cbranch_scc1 .LBB31_1431
; %bb.1429:
	s_cmp_gt_i32 s3, 27
	s_cbranch_scc0 .LBB31_1432
; %bb.1430:
	global_load_dword v5, v[8:9], off
	s_mov_b32 s6, 0
	s_waitcnt vmcnt(0)
	v_cvt_f32_u32_e32 v5, v5
	v_bfe_u32 v10, v5, 16, 1
	v_add3_u32 v5, v5, v10, 0x7fff
	v_lshrrev_b32_e32 v10, 16, v5
	s_branch .LBB31_1433
.LBB31_1431:
	s_mov_b32 s6, -1
                                        ; implicit-def: $vgpr10
	s_branch .LBB31_1436
.LBB31_1432:
	s_mov_b32 s6, -1
                                        ; implicit-def: $vgpr10
.LBB31_1433:
	s_andn2_b32 vcc_lo, exec_lo, s6
	s_cbranch_vccnz .LBB31_1435
; %bb.1434:
	global_load_ushort v5, v[8:9], off
	s_waitcnt vmcnt(0)
	v_cvt_f32_u32_e32 v5, v5
	v_bfe_u32 v10, v5, 16, 1
	v_add3_u32 v5, v5, v10, 0x7fff
	v_lshrrev_b32_e32 v10, 16, v5
.LBB31_1435:
	s_mov_b32 s6, 0
.LBB31_1436:
	s_andn2_b32 vcc_lo, exec_lo, s6
	s_cbranch_vccnz .LBB31_1444
; %bb.1437:
	global_load_ubyte v5, v[8:9], off
	s_mov_b32 s6, 0
	s_mov_b32 s7, exec_lo
	s_waitcnt vmcnt(0)
	v_cmpx_lt_i16_e32 0x7f, v5
	s_xor_b32 s7, exec_lo, s7
	s_cbranch_execz .LBB31_1458
; %bb.1438:
	s_mov_b32 s6, -1
	s_mov_b32 s14, exec_lo
	v_cmpx_eq_u16_e32 0x80, v5
; %bb.1439:
	s_xor_b32 s6, exec_lo, -1
; %bb.1440:
	s_or_b32 exec_lo, exec_lo, s14
	s_and_b32 s6, s6, exec_lo
	s_or_saveexec_b32 s7, s7
	v_mov_b32_e32 v10, 0x7f800001
	s_xor_b32 exec_lo, exec_lo, s7
	s_cbranch_execnz .LBB31_1459
.LBB31_1441:
	s_or_b32 exec_lo, exec_lo, s7
	s_and_saveexec_b32 s7, s6
	s_cbranch_execz .LBB31_1443
.LBB31_1442:
	v_and_b32_e32 v10, 0xffff, v5
	v_lshlrev_b32_e32 v5, 24, v5
	v_and_b32_e32 v11, 7, v10
	v_bfe_u32 v14, v10, 3, 4
	v_and_b32_e32 v5, 0x80000000, v5
	v_ffbh_u32_e32 v12, v11
	v_cmp_eq_u32_e32 vcc_lo, 0, v14
	v_min_u32_e32 v12, 32, v12
	v_subrev_nc_u32_e32 v13, 28, v12
	v_sub_nc_u32_e32 v12, 29, v12
	v_lshlrev_b32_e32 v10, v13, v10
	v_cndmask_b32_e32 v12, v14, v12, vcc_lo
	v_and_b32_e32 v10, 7, v10
	v_cndmask_b32_e32 v10, v11, v10, vcc_lo
	v_lshl_add_u32 v11, v12, 23, 0x3b800000
	v_lshlrev_b32_e32 v10, 20, v10
	v_or3_b32 v10, v5, v11, v10
.LBB31_1443:
	s_or_b32 exec_lo, exec_lo, s7
	v_bfe_u32 v5, v10, 16, 1
	v_cmp_o_f32_e32 vcc_lo, v10, v10
	v_add3_u32 v5, v10, v5, 0x7fff
	v_mov_b32_e32 v10, 0x7fc0
	v_cndmask_b32_sdwa v10, v10, v5, vcc_lo dst_sel:DWORD dst_unused:UNUSED_PAD src0_sel:DWORD src1_sel:WORD_1
.LBB31_1444:
	s_mov_b32 s6, -1
.LBB31_1445:
	s_mov_b32 s7, 0
.LBB31_1446:
	s_and_b32 vcc_lo, exec_lo, s7
	s_cbranch_vccz .LBB31_1479
; %bb.1447:
	s_cmp_gt_i32 s3, 22
	s_cbranch_scc0 .LBB31_1457
; %bb.1448:
	s_cmp_lt_i32 s3, 24
	s_cbranch_scc1 .LBB31_1460
; %bb.1449:
	s_cmp_gt_i32 s3, 24
	s_cbranch_scc0 .LBB31_1461
; %bb.1450:
	global_load_ubyte v5, v[8:9], off
	s_mov_b32 s6, exec_lo
	s_waitcnt vmcnt(0)
	v_cmpx_lt_i16_e32 0x7f, v5
	s_xor_b32 s6, exec_lo, s6
	s_cbranch_execz .LBB31_1473
; %bb.1451:
	s_mov_b32 s5, -1
	s_mov_b32 s7, exec_lo
	v_cmpx_eq_u16_e32 0x80, v5
; %bb.1452:
	s_xor_b32 s5, exec_lo, -1
; %bb.1453:
	s_or_b32 exec_lo, exec_lo, s7
	s_and_b32 s5, s5, exec_lo
	s_or_saveexec_b32 s6, s6
	v_mov_b32_e32 v10, 0x7f800001
	s_xor_b32 exec_lo, exec_lo, s6
	s_cbranch_execnz .LBB31_1474
.LBB31_1454:
	s_or_b32 exec_lo, exec_lo, s6
	s_and_saveexec_b32 s6, s5
	s_cbranch_execz .LBB31_1456
.LBB31_1455:
	v_and_b32_e32 v10, 0xffff, v5
	v_lshlrev_b32_e32 v5, 24, v5
	v_and_b32_e32 v11, 3, v10
	v_bfe_u32 v14, v10, 2, 5
	v_and_b32_e32 v5, 0x80000000, v5
	v_ffbh_u32_e32 v12, v11
	v_cmp_eq_u32_e32 vcc_lo, 0, v14
	v_min_u32_e32 v12, 32, v12
	v_subrev_nc_u32_e32 v13, 29, v12
	v_sub_nc_u32_e32 v12, 30, v12
	v_lshlrev_b32_e32 v10, v13, v10
	v_cndmask_b32_e32 v12, v14, v12, vcc_lo
	v_and_b32_e32 v10, 3, v10
	v_cndmask_b32_e32 v10, v11, v10, vcc_lo
	v_lshl_add_u32 v11, v12, 23, 0x37800000
	v_lshlrev_b32_e32 v10, 21, v10
	v_or3_b32 v10, v5, v11, v10
.LBB31_1456:
	s_or_b32 exec_lo, exec_lo, s6
	v_bfe_u32 v5, v10, 16, 1
	v_cmp_o_f32_e32 vcc_lo, v10, v10
	s_mov_b32 s5, 0
	v_add3_u32 v5, v10, v5, 0x7fff
	v_mov_b32_e32 v10, 0x7fc0
	v_cndmask_b32_sdwa v10, v10, v5, vcc_lo dst_sel:DWORD dst_unused:UNUSED_PAD src0_sel:DWORD src1_sel:WORD_1
	s_branch .LBB31_1462
.LBB31_1457:
	s_mov_b32 s5, -1
                                        ; implicit-def: $vgpr10
	s_branch .LBB31_1468
.LBB31_1458:
	s_or_saveexec_b32 s7, s7
	v_mov_b32_e32 v10, 0x7f800001
	s_xor_b32 exec_lo, exec_lo, s7
	s_cbranch_execz .LBB31_1441
.LBB31_1459:
	v_cmp_ne_u16_e32 vcc_lo, 0, v5
	v_mov_b32_e32 v10, 0
	s_andn2_b32 s6, s6, exec_lo
	s_and_b32 s14, vcc_lo, exec_lo
	s_or_b32 s6, s6, s14
	s_or_b32 exec_lo, exec_lo, s7
	s_and_saveexec_b32 s7, s6
	s_cbranch_execnz .LBB31_1442
	s_branch .LBB31_1443
.LBB31_1460:
	s_mov_b32 s5, -1
                                        ; implicit-def: $vgpr10
	s_branch .LBB31_1465
.LBB31_1461:
	s_mov_b32 s5, -1
                                        ; implicit-def: $vgpr10
.LBB31_1462:
	s_and_b32 vcc_lo, exec_lo, s5
	s_cbranch_vccz .LBB31_1464
; %bb.1463:
	global_load_ubyte v5, v[8:9], off
	s_waitcnt vmcnt(0)
	v_lshlrev_b32_e32 v5, 24, v5
	v_and_b32_e32 v10, 0x7f000000, v5
	v_ffbh_u32_e32 v11, v10
	v_add_nc_u32_e32 v13, 0x1000000, v10
	v_cmp_ne_u32_e32 vcc_lo, 0, v10
	v_min_u32_e32 v11, 32, v11
	v_sub_nc_u32_e64 v11, v11, 4 clamp
	v_lshlrev_b32_e32 v12, v11, v10
	v_lshlrev_b32_e32 v11, 23, v11
	v_lshrrev_b32_e32 v12, 4, v12
	v_sub_nc_u32_e32 v11, v12, v11
	v_ashrrev_i32_e32 v12, 8, v13
	v_add_nc_u32_e32 v11, 0x3c000000, v11
	v_and_or_b32 v11, 0x7f800000, v12, v11
	v_cndmask_b32_e32 v10, 0, v11, vcc_lo
	v_and_or_b32 v5, 0x80000000, v5, v10
	v_bfe_u32 v10, v10, 16, 1
	v_cmp_o_f32_e32 vcc_lo, v5, v5
	v_add3_u32 v5, v5, v10, 0x7fff
	v_mov_b32_e32 v10, 0x7fc0
	v_cndmask_b32_sdwa v10, v10, v5, vcc_lo dst_sel:DWORD dst_unused:UNUSED_PAD src0_sel:DWORD src1_sel:WORD_1
.LBB31_1464:
	s_mov_b32 s5, 0
.LBB31_1465:
	s_andn2_b32 vcc_lo, exec_lo, s5
	s_cbranch_vccnz .LBB31_1467
; %bb.1466:
	global_load_ubyte v5, v[8:9], off
	s_waitcnt vmcnt(0)
	v_lshlrev_b32_e32 v10, 25, v5
	v_lshlrev_b16 v5, 8, v5
	v_lshrrev_b32_e32 v11, 4, v10
	v_and_or_b32 v12, 0x7f00, v5, 0.5
	v_cmp_gt_u32_e32 vcc_lo, 0x8000000, v10
	v_bfe_i32 v5, v5, 0, 16
	v_or_b32_e32 v11, 0x70000000, v11
	v_add_f32_e32 v12, -0.5, v12
	v_mul_f32_e32 v11, 0x7800000, v11
	v_cndmask_b32_e32 v10, v11, v12, vcc_lo
	v_and_or_b32 v5, 0x80000000, v5, v10
	v_bfe_u32 v10, v10, 16, 1
	v_cmp_o_f32_e32 vcc_lo, v5, v5
	v_add3_u32 v5, v5, v10, 0x7fff
	v_mov_b32_e32 v10, 0x7fc0
	v_cndmask_b32_sdwa v10, v10, v5, vcc_lo dst_sel:DWORD dst_unused:UNUSED_PAD src0_sel:DWORD src1_sel:WORD_1
.LBB31_1467:
	s_mov_b32 s5, 0
	s_mov_b32 s6, -1
.LBB31_1468:
	s_andn2_b32 vcc_lo, exec_lo, s5
	s_mov_b32 s5, 0
	s_cbranch_vccnz .LBB31_1479
; %bb.1469:
	s_cmp_gt_i32 s3, 14
	s_cbranch_scc0 .LBB31_1472
; %bb.1470:
	s_cmp_eq_u32 s3, 15
	s_cbranch_scc0 .LBB31_1475
; %bb.1471:
	global_load_ushort v10, v[8:9], off
	s_mov_b32 s4, 0
	s_mov_b32 s6, -1
	s_branch .LBB31_1477
.LBB31_1472:
	s_mov_b32 s5, -1
	s_branch .LBB31_1476
.LBB31_1473:
	s_or_saveexec_b32 s6, s6
	v_mov_b32_e32 v10, 0x7f800001
	s_xor_b32 exec_lo, exec_lo, s6
	s_cbranch_execz .LBB31_1454
.LBB31_1474:
	v_cmp_ne_u16_e32 vcc_lo, 0, v5
	v_mov_b32_e32 v10, 0
	s_andn2_b32 s5, s5, exec_lo
	s_and_b32 s7, vcc_lo, exec_lo
	s_or_b32 s5, s5, s7
	s_or_b32 exec_lo, exec_lo, s6
	s_and_saveexec_b32 s6, s5
	s_cbranch_execnz .LBB31_1455
	s_branch .LBB31_1456
.LBB31_1475:
	s_mov_b32 s4, -1
.LBB31_1476:
                                        ; implicit-def: $vgpr10
.LBB31_1477:
	s_and_b32 vcc_lo, exec_lo, s5
	s_mov_b32 s5, 0
	s_cbranch_vccz .LBB31_1479
; %bb.1478:
	s_cmp_lg_u32 s3, 11
	s_mov_b32 s5, -1
	s_cselect_b32 s4, -1, 0
.LBB31_1479:
	s_and_b32 vcc_lo, exec_lo, s4
	s_cbranch_vccnz .LBB31_1542
; %bb.1480:
	s_andn2_b32 vcc_lo, exec_lo, s5
	s_cbranch_vccnz .LBB31_1482
.LBB31_1481:
	global_load_ubyte v5, v[8:9], off
	s_mov_b32 s6, -1
	s_waitcnt vmcnt(0)
	v_cmp_ne_u16_e32 vcc_lo, 0, v5
	v_cndmask_b32_e64 v5, 0, 1.0, vcc_lo
	v_lshrrev_b32_e32 v10, 16, v5
.LBB31_1482:
	s_branch .LBB31_1409
.LBB31_1483:
	s_and_b32 s3, 0xffff, s0
	s_cmp_lt_i32 s3, 5
	s_cbranch_scc1 .LBB31_1488
; %bb.1484:
	s_cmp_lt_i32 s3, 8
	s_cbranch_scc1 .LBB31_1489
; %bb.1485:
	;; [unrolled: 3-line block ×3, first 2 shown]
	s_cmp_gt_i32 s3, 9
	s_cbranch_scc0 .LBB31_1491
; %bb.1487:
	global_load_dwordx2 v[10:11], v[8:9], off
	s_mov_b32 s4, 0
	s_waitcnt vmcnt(0)
	v_cvt_f32_f64_e32 v5, v[10:11]
	v_bfe_u32 v10, v5, 16, 1
	v_cmp_o_f32_e32 vcc_lo, v5, v5
	v_add3_u32 v5, v5, v10, 0x7fff
	v_mov_b32_e32 v10, 0x7fc0
	v_cndmask_b32_sdwa v10, v10, v5, vcc_lo dst_sel:DWORD dst_unused:UNUSED_PAD src0_sel:DWORD src1_sel:WORD_1
	s_branch .LBB31_1492
.LBB31_1488:
	s_mov_b32 s4, -1
                                        ; implicit-def: $vgpr10
	s_branch .LBB31_1510
.LBB31_1489:
	s_mov_b32 s4, -1
                                        ; implicit-def: $vgpr10
	s_branch .LBB31_1498
.LBB31_1490:
	s_mov_b32 s4, -1
                                        ; implicit-def: $vgpr10
	s_branch .LBB31_1495
.LBB31_1491:
	s_mov_b32 s4, -1
                                        ; implicit-def: $vgpr10
.LBB31_1492:
	s_andn2_b32 vcc_lo, exec_lo, s4
	s_cbranch_vccnz .LBB31_1494
; %bb.1493:
	global_load_dword v5, v[8:9], off
	s_waitcnt vmcnt(0)
	v_bfe_u32 v10, v5, 16, 1
	v_cmp_o_f32_e32 vcc_lo, v5, v5
	v_add3_u32 v5, v5, v10, 0x7fff
	v_mov_b32_e32 v10, 0x7fc0
	v_cndmask_b32_sdwa v10, v10, v5, vcc_lo dst_sel:DWORD dst_unused:UNUSED_PAD src0_sel:DWORD src1_sel:WORD_1
.LBB31_1494:
	s_mov_b32 s4, 0
.LBB31_1495:
	s_andn2_b32 vcc_lo, exec_lo, s4
	s_cbranch_vccnz .LBB31_1497
; %bb.1496:
	global_load_dword v5, v[8:9], off
	s_waitcnt vmcnt(0)
	v_cvt_f32_f16_e32 v10, v5
	v_cmp_o_f16_e32 vcc_lo, v5, v5
	v_bfe_u32 v11, v10, 16, 1
	v_add3_u32 v5, v10, v11, 0x7fff
	v_mov_b32_e32 v10, 0x7fc0
	v_cndmask_b32_sdwa v10, v10, v5, vcc_lo dst_sel:DWORD dst_unused:UNUSED_PAD src0_sel:DWORD src1_sel:WORD_1
.LBB31_1497:
	s_mov_b32 s4, 0
.LBB31_1498:
	s_andn2_b32 vcc_lo, exec_lo, s4
	s_cbranch_vccnz .LBB31_1509
; %bb.1499:
	s_cmp_lt_i32 s3, 6
	s_cbranch_scc1 .LBB31_1502
; %bb.1500:
	s_cmp_gt_i32 s3, 6
	s_cbranch_scc0 .LBB31_1503
; %bb.1501:
	global_load_dwordx2 v[10:11], v[8:9], off
	s_mov_b32 s4, 0
	s_waitcnt vmcnt(0)
	v_cvt_f32_f64_e32 v5, v[10:11]
	v_bfe_u32 v10, v5, 16, 1
	v_cmp_o_f32_e32 vcc_lo, v5, v5
	v_add3_u32 v5, v5, v10, 0x7fff
	v_mov_b32_e32 v10, 0x7fc0
	v_cndmask_b32_sdwa v10, v10, v5, vcc_lo dst_sel:DWORD dst_unused:UNUSED_PAD src0_sel:DWORD src1_sel:WORD_1
	s_branch .LBB31_1504
.LBB31_1502:
	s_mov_b32 s4, -1
                                        ; implicit-def: $vgpr10
	s_branch .LBB31_1507
.LBB31_1503:
	s_mov_b32 s4, -1
                                        ; implicit-def: $vgpr10
.LBB31_1504:
	s_andn2_b32 vcc_lo, exec_lo, s4
	s_cbranch_vccnz .LBB31_1506
; %bb.1505:
	global_load_dword v5, v[8:9], off
	s_waitcnt vmcnt(0)
	v_bfe_u32 v10, v5, 16, 1
	v_cmp_o_f32_e32 vcc_lo, v5, v5
	v_add3_u32 v5, v5, v10, 0x7fff
	v_mov_b32_e32 v10, 0x7fc0
	v_cndmask_b32_sdwa v10, v10, v5, vcc_lo dst_sel:DWORD dst_unused:UNUSED_PAD src0_sel:DWORD src1_sel:WORD_1
.LBB31_1506:
	s_mov_b32 s4, 0
.LBB31_1507:
	s_andn2_b32 vcc_lo, exec_lo, s4
	s_cbranch_vccnz .LBB31_1509
; %bb.1508:
	global_load_ushort v5, v[8:9], off
	s_waitcnt vmcnt(0)
	v_cvt_f32_f16_e32 v10, v5
	v_cmp_o_f16_e32 vcc_lo, v5, v5
	v_bfe_u32 v11, v10, 16, 1
	v_add3_u32 v5, v10, v11, 0x7fff
	v_mov_b32_e32 v10, 0x7fc0
	v_cndmask_b32_sdwa v10, v10, v5, vcc_lo dst_sel:DWORD dst_unused:UNUSED_PAD src0_sel:DWORD src1_sel:WORD_1
.LBB31_1509:
	s_mov_b32 s4, 0
.LBB31_1510:
	s_andn2_b32 vcc_lo, exec_lo, s4
	s_cbranch_vccnz .LBB31_1530
; %bb.1511:
	s_cmp_lt_i32 s3, 2
	s_cbranch_scc1 .LBB31_1515
; %bb.1512:
	s_cmp_lt_i32 s3, 3
	s_cbranch_scc1 .LBB31_1516
; %bb.1513:
	s_cmp_gt_i32 s3, 3
	s_cbranch_scc0 .LBB31_1517
; %bb.1514:
	global_load_dwordx2 v[10:11], v[8:9], off
	s_mov_b32 s4, 0
	s_waitcnt vmcnt(0)
	v_xor_b32_e32 v5, v10, v11
	v_ffbh_i32_e32 v12, v11
	v_ashrrev_i32_e32 v5, 31, v5
	v_add_nc_u32_e32 v12, -1, v12
	v_add_nc_u32_e32 v5, 32, v5
	v_min_u32_e32 v5, v12, v5
	v_lshlrev_b64 v[10:11], v5, v[10:11]
	v_sub_nc_u32_e32 v5, 32, v5
	v_min_u32_e32 v10, 1, v10
	v_or_b32_e32 v10, v11, v10
	v_cvt_f32_i32_e32 v10, v10
	v_ldexp_f32 v5, v10, v5
	v_bfe_u32 v10, v5, 16, 1
	v_add3_u32 v5, v5, v10, 0x7fff
	v_lshrrev_b32_e32 v10, 16, v5
	s_branch .LBB31_1518
.LBB31_1515:
	s_mov_b32 s4, -1
                                        ; implicit-def: $vgpr10
	s_branch .LBB31_1524
.LBB31_1516:
	s_mov_b32 s4, -1
                                        ; implicit-def: $vgpr10
	s_branch .LBB31_1521
.LBB31_1517:
	s_mov_b32 s4, -1
                                        ; implicit-def: $vgpr10
.LBB31_1518:
	s_andn2_b32 vcc_lo, exec_lo, s4
	s_cbranch_vccnz .LBB31_1520
; %bb.1519:
	global_load_dword v5, v[8:9], off
	s_waitcnt vmcnt(0)
	v_cvt_f32_i32_e32 v5, v5
	v_bfe_u32 v10, v5, 16, 1
	v_add3_u32 v5, v5, v10, 0x7fff
	v_lshrrev_b32_e32 v10, 16, v5
.LBB31_1520:
	s_mov_b32 s4, 0
.LBB31_1521:
	s_andn2_b32 vcc_lo, exec_lo, s4
	s_cbranch_vccnz .LBB31_1523
; %bb.1522:
	global_load_sshort v5, v[8:9], off
	s_waitcnt vmcnt(0)
	v_cvt_f32_i32_e32 v5, v5
	v_bfe_u32 v10, v5, 16, 1
	v_add3_u32 v5, v5, v10, 0x7fff
	v_lshrrev_b32_e32 v10, 16, v5
.LBB31_1523:
	s_mov_b32 s4, 0
.LBB31_1524:
	s_andn2_b32 vcc_lo, exec_lo, s4
	s_cbranch_vccnz .LBB31_1530
; %bb.1525:
	s_cmp_gt_i32 s3, 0
	s_mov_b32 s3, 0
	s_cbranch_scc0 .LBB31_1527
; %bb.1526:
	global_load_sbyte v5, v[8:9], off
	s_waitcnt vmcnt(0)
	v_cvt_f32_i32_e32 v5, v5
	v_bfe_u32 v10, v5, 16, 1
	v_add3_u32 v5, v5, v10, 0x7fff
	v_lshrrev_b32_e32 v10, 16, v5
	s_branch .LBB31_1528
.LBB31_1527:
	s_mov_b32 s3, -1
                                        ; implicit-def: $vgpr10
.LBB31_1528:
	s_andn2_b32 vcc_lo, exec_lo, s3
	s_cbranch_vccnz .LBB31_1530
; %bb.1529:
	global_load_ubyte v5, v[8:9], off
	s_waitcnt vmcnt(0)
	v_cvt_f32_ubyte0_e32 v5, v5
	v_bfe_u32 v8, v5, 16, 1
	v_add3_u32 v5, v5, v8, 0x7fff
	v_lshrrev_b32_e32 v10, 16, v5
.LBB31_1530:
.LBB31_1531:
	v_add_co_u32 v7, s3, s10, v7
	v_add_co_ci_u32_e64 v8, null, s11, 0, s3
	s_cmp_lt_i32 s0, 11
	s_cbranch_scc1 .LBB31_1538
; %bb.1532:
	s_and_b32 s3, 0xffff, s0
	s_mov_b32 s5, 0
	s_cmp_gt_i32 s3, 25
	s_cbranch_scc0 .LBB31_1539
; %bb.1533:
	s_cmp_gt_i32 s3, 28
	s_cbranch_scc0 .LBB31_1540
; %bb.1534:
	;; [unrolled: 3-line block ×4, first 2 shown]
	s_cmp_eq_u32 s3, 46
	s_mov_b32 s7, 0
	s_cbranch_scc0 .LBB31_1544
; %bb.1537:
	global_load_dword v9, v[7:8], off
	s_mov_b32 s4, 0
	s_mov_b32 s6, -1
	s_branch .LBB31_1546
.LBB31_1538:
	s_mov_b32 s3, -1
	s_mov_b32 s6, 0
                                        ; implicit-def: $vgpr9
	s_branch .LBB31_1612
.LBB31_1539:
	s_mov_b32 s7, -1
	s_mov_b32 s6, 0
	s_mov_b32 s4, 0
                                        ; implicit-def: $vgpr9
	s_branch .LBB31_1575
.LBB31_1540:
	s_mov_b32 s7, -1
	s_mov_b32 s6, 0
	s_mov_b32 s4, 0
                                        ; implicit-def: $vgpr9
	s_branch .LBB31_1556
.LBB31_1541:
	s_mov_b32 s7, -1
	s_mov_b32 s6, 0
	s_mov_b32 s4, 0
                                        ; implicit-def: $vgpr9
	s_branch .LBB31_1551
.LBB31_1542:
	s_or_b32 s1, s1, exec_lo
	s_trap 2
	s_cbranch_execz .LBB31_1481
	s_branch .LBB31_1482
.LBB31_1543:
	s_mov_b32 s7, -1
	s_mov_b32 s6, 0
	s_mov_b32 s4, 0
	s_branch .LBB31_1545
.LBB31_1544:
	s_mov_b32 s4, -1
	s_mov_b32 s6, 0
.LBB31_1545:
                                        ; implicit-def: $vgpr9
.LBB31_1546:
	s_and_b32 vcc_lo, exec_lo, s7
	s_cbranch_vccz .LBB31_1550
; %bb.1547:
	s_cmp_eq_u32 s3, 44
	s_cbranch_scc0 .LBB31_1549
; %bb.1548:
	global_load_ubyte v5, v[7:8], off
	s_mov_b32 s4, 0
	s_mov_b32 s6, -1
	s_waitcnt vmcnt(0)
	v_lshlrev_b32_e32 v9, 23, v5
	v_cmp_ne_u32_e32 vcc_lo, 0xff, v5
	v_cndmask_b32_e32 v9, 0x7f800001, v9, vcc_lo
	v_cmp_ne_u32_e32 vcc_lo, 0, v5
	v_cndmask_b32_e32 v5, 0x400000, v9, vcc_lo
	v_mov_b32_e32 v9, 0x7fc0
	v_cmp_o_f32_e32 vcc_lo, v5, v5
	v_add_nc_u32_e32 v5, 0x7fff, v5
	v_cndmask_b32_sdwa v9, v9, v5, vcc_lo dst_sel:DWORD dst_unused:UNUSED_PAD src0_sel:DWORD src1_sel:WORD_1
	s_branch .LBB31_1550
.LBB31_1549:
	s_mov_b32 s4, -1
                                        ; implicit-def: $vgpr9
.LBB31_1550:
	s_mov_b32 s7, 0
.LBB31_1551:
	s_and_b32 vcc_lo, exec_lo, s7
	s_cbranch_vccz .LBB31_1555
; %bb.1552:
	s_cmp_eq_u32 s3, 29
	s_cbranch_scc0 .LBB31_1554
; %bb.1553:
	global_load_dwordx2 v[11:12], v[7:8], off
	s_mov_b32 s4, 0
	s_mov_b32 s6, -1
	s_mov_b32 s7, 0
	s_waitcnt vmcnt(0)
	v_ffbh_u32_e32 v5, v12
	v_min_u32_e32 v5, 32, v5
	v_lshlrev_b64 v[11:12], v5, v[11:12]
	v_sub_nc_u32_e32 v5, 32, v5
	v_min_u32_e32 v9, 1, v11
	v_or_b32_e32 v9, v12, v9
	v_cvt_f32_u32_e32 v9, v9
	v_ldexp_f32 v5, v9, v5
	v_bfe_u32 v9, v5, 16, 1
	v_add3_u32 v5, v5, v9, 0x7fff
	v_lshrrev_b32_e32 v9, 16, v5
	s_branch .LBB31_1556
.LBB31_1554:
	s_mov_b32 s4, -1
                                        ; implicit-def: $vgpr9
.LBB31_1555:
	s_mov_b32 s7, 0
.LBB31_1556:
	s_and_b32 vcc_lo, exec_lo, s7
	s_cbranch_vccz .LBB31_1574
; %bb.1557:
	s_cmp_lt_i32 s3, 27
	s_cbranch_scc1 .LBB31_1560
; %bb.1558:
	s_cmp_gt_i32 s3, 27
	s_cbranch_scc0 .LBB31_1561
; %bb.1559:
	global_load_dword v5, v[7:8], off
	s_mov_b32 s6, 0
	s_waitcnt vmcnt(0)
	v_cvt_f32_u32_e32 v5, v5
	v_bfe_u32 v9, v5, 16, 1
	v_add3_u32 v5, v5, v9, 0x7fff
	v_lshrrev_b32_e32 v9, 16, v5
	s_branch .LBB31_1562
.LBB31_1560:
	s_mov_b32 s6, -1
                                        ; implicit-def: $vgpr9
	s_branch .LBB31_1565
.LBB31_1561:
	s_mov_b32 s6, -1
                                        ; implicit-def: $vgpr9
.LBB31_1562:
	s_andn2_b32 vcc_lo, exec_lo, s6
	s_cbranch_vccnz .LBB31_1564
; %bb.1563:
	global_load_ushort v5, v[7:8], off
	s_waitcnt vmcnt(0)
	v_cvt_f32_u32_e32 v5, v5
	v_bfe_u32 v9, v5, 16, 1
	v_add3_u32 v5, v5, v9, 0x7fff
	v_lshrrev_b32_e32 v9, 16, v5
.LBB31_1564:
	s_mov_b32 s6, 0
.LBB31_1565:
	s_andn2_b32 vcc_lo, exec_lo, s6
	s_cbranch_vccnz .LBB31_1573
; %bb.1566:
	global_load_ubyte v5, v[7:8], off
	s_mov_b32 s6, 0
	s_mov_b32 s7, exec_lo
	s_waitcnt vmcnt(0)
	v_cmpx_lt_i16_e32 0x7f, v5
	s_xor_b32 s7, exec_lo, s7
	s_cbranch_execz .LBB31_1587
; %bb.1567:
	s_mov_b32 s6, -1
	s_mov_b32 s10, exec_lo
	v_cmpx_eq_u16_e32 0x80, v5
; %bb.1568:
	s_xor_b32 s6, exec_lo, -1
; %bb.1569:
	s_or_b32 exec_lo, exec_lo, s10
	s_and_b32 s6, s6, exec_lo
	s_or_saveexec_b32 s7, s7
	v_mov_b32_e32 v9, 0x7f800001
	s_xor_b32 exec_lo, exec_lo, s7
	s_cbranch_execnz .LBB31_1588
.LBB31_1570:
	s_or_b32 exec_lo, exec_lo, s7
	s_and_saveexec_b32 s7, s6
	s_cbranch_execz .LBB31_1572
.LBB31_1571:
	v_and_b32_e32 v9, 0xffff, v5
	v_lshlrev_b32_e32 v5, 24, v5
	v_and_b32_e32 v11, 7, v9
	v_bfe_u32 v14, v9, 3, 4
	v_and_b32_e32 v5, 0x80000000, v5
	v_ffbh_u32_e32 v12, v11
	v_cmp_eq_u32_e32 vcc_lo, 0, v14
	v_min_u32_e32 v12, 32, v12
	v_subrev_nc_u32_e32 v13, 28, v12
	v_sub_nc_u32_e32 v12, 29, v12
	v_lshlrev_b32_e32 v9, v13, v9
	v_cndmask_b32_e32 v12, v14, v12, vcc_lo
	v_and_b32_e32 v9, 7, v9
	v_cndmask_b32_e32 v9, v11, v9, vcc_lo
	v_lshl_add_u32 v11, v12, 23, 0x3b800000
	v_lshlrev_b32_e32 v9, 20, v9
	v_or3_b32 v9, v5, v11, v9
.LBB31_1572:
	s_or_b32 exec_lo, exec_lo, s7
	v_bfe_u32 v5, v9, 16, 1
	v_cmp_o_f32_e32 vcc_lo, v9, v9
	v_add3_u32 v5, v9, v5, 0x7fff
	v_mov_b32_e32 v9, 0x7fc0
	v_cndmask_b32_sdwa v9, v9, v5, vcc_lo dst_sel:DWORD dst_unused:UNUSED_PAD src0_sel:DWORD src1_sel:WORD_1
.LBB31_1573:
	s_mov_b32 s6, -1
.LBB31_1574:
	s_mov_b32 s7, 0
.LBB31_1575:
	s_and_b32 vcc_lo, exec_lo, s7
	s_cbranch_vccz .LBB31_1608
; %bb.1576:
	s_cmp_gt_i32 s3, 22
	s_cbranch_scc0 .LBB31_1586
; %bb.1577:
	s_cmp_lt_i32 s3, 24
	s_cbranch_scc1 .LBB31_1589
; %bb.1578:
	s_cmp_gt_i32 s3, 24
	s_cbranch_scc0 .LBB31_1590
; %bb.1579:
	global_load_ubyte v5, v[7:8], off
	s_mov_b32 s6, exec_lo
	s_waitcnt vmcnt(0)
	v_cmpx_lt_i16_e32 0x7f, v5
	s_xor_b32 s6, exec_lo, s6
	s_cbranch_execz .LBB31_1602
; %bb.1580:
	s_mov_b32 s5, -1
	s_mov_b32 s7, exec_lo
	v_cmpx_eq_u16_e32 0x80, v5
; %bb.1581:
	s_xor_b32 s5, exec_lo, -1
; %bb.1582:
	s_or_b32 exec_lo, exec_lo, s7
	s_and_b32 s5, s5, exec_lo
	s_or_saveexec_b32 s6, s6
	v_mov_b32_e32 v9, 0x7f800001
	s_xor_b32 exec_lo, exec_lo, s6
	s_cbranch_execnz .LBB31_1603
.LBB31_1583:
	s_or_b32 exec_lo, exec_lo, s6
	s_and_saveexec_b32 s6, s5
	s_cbranch_execz .LBB31_1585
.LBB31_1584:
	v_and_b32_e32 v9, 0xffff, v5
	v_lshlrev_b32_e32 v5, 24, v5
	v_and_b32_e32 v11, 3, v9
	v_bfe_u32 v14, v9, 2, 5
	v_and_b32_e32 v5, 0x80000000, v5
	v_ffbh_u32_e32 v12, v11
	v_cmp_eq_u32_e32 vcc_lo, 0, v14
	v_min_u32_e32 v12, 32, v12
	v_subrev_nc_u32_e32 v13, 29, v12
	v_sub_nc_u32_e32 v12, 30, v12
	v_lshlrev_b32_e32 v9, v13, v9
	v_cndmask_b32_e32 v12, v14, v12, vcc_lo
	v_and_b32_e32 v9, 3, v9
	v_cndmask_b32_e32 v9, v11, v9, vcc_lo
	v_lshl_add_u32 v11, v12, 23, 0x37800000
	v_lshlrev_b32_e32 v9, 21, v9
	v_or3_b32 v9, v5, v11, v9
.LBB31_1585:
	s_or_b32 exec_lo, exec_lo, s6
	v_bfe_u32 v5, v9, 16, 1
	v_cmp_o_f32_e32 vcc_lo, v9, v9
	s_mov_b32 s5, 0
	v_add3_u32 v5, v9, v5, 0x7fff
	v_mov_b32_e32 v9, 0x7fc0
	v_cndmask_b32_sdwa v9, v9, v5, vcc_lo dst_sel:DWORD dst_unused:UNUSED_PAD src0_sel:DWORD src1_sel:WORD_1
	s_branch .LBB31_1591
.LBB31_1586:
	s_mov_b32 s5, -1
                                        ; implicit-def: $vgpr9
	s_branch .LBB31_1597
.LBB31_1587:
	s_or_saveexec_b32 s7, s7
	v_mov_b32_e32 v9, 0x7f800001
	s_xor_b32 exec_lo, exec_lo, s7
	s_cbranch_execz .LBB31_1570
.LBB31_1588:
	v_cmp_ne_u16_e32 vcc_lo, 0, v5
	v_mov_b32_e32 v9, 0
	s_andn2_b32 s6, s6, exec_lo
	s_and_b32 s10, vcc_lo, exec_lo
	s_or_b32 s6, s6, s10
	s_or_b32 exec_lo, exec_lo, s7
	s_and_saveexec_b32 s7, s6
	s_cbranch_execnz .LBB31_1571
	s_branch .LBB31_1572
.LBB31_1589:
	s_mov_b32 s5, -1
                                        ; implicit-def: $vgpr9
	s_branch .LBB31_1594
.LBB31_1590:
	s_mov_b32 s5, -1
                                        ; implicit-def: $vgpr9
.LBB31_1591:
	s_and_b32 vcc_lo, exec_lo, s5
	s_cbranch_vccz .LBB31_1593
; %bb.1592:
	global_load_ubyte v5, v[7:8], off
	s_waitcnt vmcnt(0)
	v_lshlrev_b32_e32 v5, 24, v5
	v_and_b32_e32 v9, 0x7f000000, v5
	v_ffbh_u32_e32 v11, v9
	v_add_nc_u32_e32 v13, 0x1000000, v9
	v_cmp_ne_u32_e32 vcc_lo, 0, v9
	v_min_u32_e32 v11, 32, v11
	v_sub_nc_u32_e64 v11, v11, 4 clamp
	v_lshlrev_b32_e32 v12, v11, v9
	v_lshlrev_b32_e32 v11, 23, v11
	v_lshrrev_b32_e32 v12, 4, v12
	v_sub_nc_u32_e32 v11, v12, v11
	v_ashrrev_i32_e32 v12, 8, v13
	v_add_nc_u32_e32 v11, 0x3c000000, v11
	v_and_or_b32 v11, 0x7f800000, v12, v11
	v_cndmask_b32_e32 v9, 0, v11, vcc_lo
	v_and_or_b32 v5, 0x80000000, v5, v9
	v_bfe_u32 v9, v9, 16, 1
	v_cmp_o_f32_e32 vcc_lo, v5, v5
	v_add3_u32 v5, v5, v9, 0x7fff
	v_mov_b32_e32 v9, 0x7fc0
	v_cndmask_b32_sdwa v9, v9, v5, vcc_lo dst_sel:DWORD dst_unused:UNUSED_PAD src0_sel:DWORD src1_sel:WORD_1
.LBB31_1593:
	s_mov_b32 s5, 0
.LBB31_1594:
	s_andn2_b32 vcc_lo, exec_lo, s5
	s_cbranch_vccnz .LBB31_1596
; %bb.1595:
	global_load_ubyte v5, v[7:8], off
	s_waitcnt vmcnt(0)
	v_lshlrev_b32_e32 v9, 25, v5
	v_lshlrev_b16 v5, 8, v5
	v_lshrrev_b32_e32 v11, 4, v9
	v_and_or_b32 v12, 0x7f00, v5, 0.5
	v_cmp_gt_u32_e32 vcc_lo, 0x8000000, v9
	v_bfe_i32 v5, v5, 0, 16
	v_or_b32_e32 v11, 0x70000000, v11
	v_add_f32_e32 v12, -0.5, v12
	v_mul_f32_e32 v11, 0x7800000, v11
	v_cndmask_b32_e32 v9, v11, v12, vcc_lo
	v_and_or_b32 v5, 0x80000000, v5, v9
	v_bfe_u32 v9, v9, 16, 1
	v_cmp_o_f32_e32 vcc_lo, v5, v5
	v_add3_u32 v5, v5, v9, 0x7fff
	v_mov_b32_e32 v9, 0x7fc0
	v_cndmask_b32_sdwa v9, v9, v5, vcc_lo dst_sel:DWORD dst_unused:UNUSED_PAD src0_sel:DWORD src1_sel:WORD_1
.LBB31_1596:
	s_mov_b32 s5, 0
	s_mov_b32 s6, -1
.LBB31_1597:
	s_andn2_b32 vcc_lo, exec_lo, s5
	s_mov_b32 s5, 0
	s_cbranch_vccnz .LBB31_1608
; %bb.1598:
	s_cmp_gt_i32 s3, 14
	s_cbranch_scc0 .LBB31_1601
; %bb.1599:
	s_cmp_eq_u32 s3, 15
	s_cbranch_scc0 .LBB31_1604
; %bb.1600:
	global_load_ushort v9, v[7:8], off
	s_mov_b32 s4, 0
	s_mov_b32 s6, -1
	s_branch .LBB31_1606
.LBB31_1601:
	s_mov_b32 s5, -1
	s_branch .LBB31_1605
.LBB31_1602:
	s_or_saveexec_b32 s6, s6
	v_mov_b32_e32 v9, 0x7f800001
	s_xor_b32 exec_lo, exec_lo, s6
	s_cbranch_execz .LBB31_1583
.LBB31_1603:
	v_cmp_ne_u16_e32 vcc_lo, 0, v5
	v_mov_b32_e32 v9, 0
	s_andn2_b32 s5, s5, exec_lo
	s_and_b32 s7, vcc_lo, exec_lo
	s_or_b32 s5, s5, s7
	s_or_b32 exec_lo, exec_lo, s6
	s_and_saveexec_b32 s6, s5
	s_cbranch_execnz .LBB31_1584
	s_branch .LBB31_1585
.LBB31_1604:
	s_mov_b32 s4, -1
.LBB31_1605:
                                        ; implicit-def: $vgpr9
.LBB31_1606:
	s_and_b32 vcc_lo, exec_lo, s5
	s_mov_b32 s5, 0
	s_cbranch_vccz .LBB31_1608
; %bb.1607:
	s_cmp_lg_u32 s3, 11
	s_mov_b32 s5, -1
	s_cselect_b32 s4, -1, 0
.LBB31_1608:
	s_and_b32 vcc_lo, exec_lo, s4
	s_cbranch_vccnz .LBB31_2141
; %bb.1609:
	s_andn2_b32 vcc_lo, exec_lo, s5
	s_cbranch_vccnz .LBB31_1611
.LBB31_1610:
	global_load_ubyte v5, v[7:8], off
	s_mov_b32 s6, -1
	s_waitcnt vmcnt(0)
	v_cmp_ne_u16_e32 vcc_lo, 0, v5
	v_cndmask_b32_e64 v5, 0, 1.0, vcc_lo
	v_lshrrev_b32_e32 v9, 16, v5
.LBB31_1611:
	s_mov_b32 s3, 0
.LBB31_1612:
	s_and_b32 vcc_lo, exec_lo, s3
	s_cbranch_vccz .LBB31_1661
; %bb.1613:
	s_and_b32 s0, 0xffff, s0
	s_cmp_lt_i32 s0, 5
	s_cbranch_scc1 .LBB31_1618
; %bb.1614:
	s_cmp_lt_i32 s0, 8
	s_cbranch_scc1 .LBB31_1619
; %bb.1615:
	;; [unrolled: 3-line block ×3, first 2 shown]
	s_cmp_gt_i32 s0, 9
	s_cbranch_scc0 .LBB31_1621
; %bb.1617:
	global_load_dwordx2 v[11:12], v[7:8], off
	s_mov_b32 s3, 0
	s_waitcnt vmcnt(0)
	v_cvt_f32_f64_e32 v5, v[11:12]
	v_bfe_u32 v9, v5, 16, 1
	v_cmp_o_f32_e32 vcc_lo, v5, v5
	v_add3_u32 v5, v5, v9, 0x7fff
	v_mov_b32_e32 v9, 0x7fc0
	v_cndmask_b32_sdwa v9, v9, v5, vcc_lo dst_sel:DWORD dst_unused:UNUSED_PAD src0_sel:DWORD src1_sel:WORD_1
	s_branch .LBB31_1622
.LBB31_1618:
	s_mov_b32 s3, -1
                                        ; implicit-def: $vgpr9
	s_branch .LBB31_1640
.LBB31_1619:
	s_mov_b32 s3, -1
                                        ; implicit-def: $vgpr9
	s_branch .LBB31_1628
.LBB31_1620:
	s_mov_b32 s3, -1
                                        ; implicit-def: $vgpr9
	s_branch .LBB31_1625
.LBB31_1621:
	s_mov_b32 s3, -1
                                        ; implicit-def: $vgpr9
.LBB31_1622:
	s_andn2_b32 vcc_lo, exec_lo, s3
	s_cbranch_vccnz .LBB31_1624
; %bb.1623:
	global_load_dword v5, v[7:8], off
	s_waitcnt vmcnt(0)
	v_bfe_u32 v9, v5, 16, 1
	v_cmp_o_f32_e32 vcc_lo, v5, v5
	v_add3_u32 v5, v5, v9, 0x7fff
	v_mov_b32_e32 v9, 0x7fc0
	v_cndmask_b32_sdwa v9, v9, v5, vcc_lo dst_sel:DWORD dst_unused:UNUSED_PAD src0_sel:DWORD src1_sel:WORD_1
.LBB31_1624:
	s_mov_b32 s3, 0
.LBB31_1625:
	s_andn2_b32 vcc_lo, exec_lo, s3
	s_cbranch_vccnz .LBB31_1627
; %bb.1626:
	global_load_dword v5, v[7:8], off
	s_waitcnt vmcnt(0)
	v_cvt_f32_f16_e32 v9, v5
	v_cmp_o_f16_e32 vcc_lo, v5, v5
	v_bfe_u32 v11, v9, 16, 1
	v_add3_u32 v5, v9, v11, 0x7fff
	v_mov_b32_e32 v9, 0x7fc0
	v_cndmask_b32_sdwa v9, v9, v5, vcc_lo dst_sel:DWORD dst_unused:UNUSED_PAD src0_sel:DWORD src1_sel:WORD_1
.LBB31_1627:
	s_mov_b32 s3, 0
.LBB31_1628:
	s_andn2_b32 vcc_lo, exec_lo, s3
	s_cbranch_vccnz .LBB31_1639
; %bb.1629:
	s_cmp_lt_i32 s0, 6
	s_cbranch_scc1 .LBB31_1632
; %bb.1630:
	s_cmp_gt_i32 s0, 6
	s_cbranch_scc0 .LBB31_1633
; %bb.1631:
	global_load_dwordx2 v[11:12], v[7:8], off
	s_mov_b32 s3, 0
	s_waitcnt vmcnt(0)
	v_cvt_f32_f64_e32 v5, v[11:12]
	v_bfe_u32 v9, v5, 16, 1
	v_cmp_o_f32_e32 vcc_lo, v5, v5
	v_add3_u32 v5, v5, v9, 0x7fff
	v_mov_b32_e32 v9, 0x7fc0
	v_cndmask_b32_sdwa v9, v9, v5, vcc_lo dst_sel:DWORD dst_unused:UNUSED_PAD src0_sel:DWORD src1_sel:WORD_1
	s_branch .LBB31_1634
.LBB31_1632:
	s_mov_b32 s3, -1
                                        ; implicit-def: $vgpr9
	s_branch .LBB31_1637
.LBB31_1633:
	s_mov_b32 s3, -1
                                        ; implicit-def: $vgpr9
.LBB31_1634:
	s_andn2_b32 vcc_lo, exec_lo, s3
	s_cbranch_vccnz .LBB31_1636
; %bb.1635:
	global_load_dword v5, v[7:8], off
	s_waitcnt vmcnt(0)
	v_bfe_u32 v9, v5, 16, 1
	v_cmp_o_f32_e32 vcc_lo, v5, v5
	v_add3_u32 v5, v5, v9, 0x7fff
	v_mov_b32_e32 v9, 0x7fc0
	v_cndmask_b32_sdwa v9, v9, v5, vcc_lo dst_sel:DWORD dst_unused:UNUSED_PAD src0_sel:DWORD src1_sel:WORD_1
.LBB31_1636:
	s_mov_b32 s3, 0
.LBB31_1637:
	s_andn2_b32 vcc_lo, exec_lo, s3
	s_cbranch_vccnz .LBB31_1639
; %bb.1638:
	global_load_ushort v5, v[7:8], off
	s_waitcnt vmcnt(0)
	v_cvt_f32_f16_e32 v9, v5
	v_cmp_o_f16_e32 vcc_lo, v5, v5
	v_bfe_u32 v11, v9, 16, 1
	v_add3_u32 v5, v9, v11, 0x7fff
	v_mov_b32_e32 v9, 0x7fc0
	v_cndmask_b32_sdwa v9, v9, v5, vcc_lo dst_sel:DWORD dst_unused:UNUSED_PAD src0_sel:DWORD src1_sel:WORD_1
.LBB31_1639:
	s_mov_b32 s3, 0
.LBB31_1640:
	s_andn2_b32 vcc_lo, exec_lo, s3
	s_cbranch_vccnz .LBB31_1660
; %bb.1641:
	s_cmp_lt_i32 s0, 2
	s_cbranch_scc1 .LBB31_1645
; %bb.1642:
	s_cmp_lt_i32 s0, 3
	s_cbranch_scc1 .LBB31_1646
; %bb.1643:
	s_cmp_gt_i32 s0, 3
	s_cbranch_scc0 .LBB31_1647
; %bb.1644:
	global_load_dwordx2 v[11:12], v[7:8], off
	s_mov_b32 s3, 0
	s_waitcnt vmcnt(0)
	v_xor_b32_e32 v5, v11, v12
	v_ffbh_i32_e32 v9, v12
	v_ashrrev_i32_e32 v5, 31, v5
	v_add_nc_u32_e32 v9, -1, v9
	v_add_nc_u32_e32 v5, 32, v5
	v_min_u32_e32 v5, v9, v5
	v_lshlrev_b64 v[11:12], v5, v[11:12]
	v_sub_nc_u32_e32 v5, 32, v5
	v_min_u32_e32 v9, 1, v11
	v_or_b32_e32 v9, v12, v9
	v_cvt_f32_i32_e32 v9, v9
	v_ldexp_f32 v5, v9, v5
	v_bfe_u32 v9, v5, 16, 1
	v_add3_u32 v5, v5, v9, 0x7fff
	v_lshrrev_b32_e32 v9, 16, v5
	s_branch .LBB31_1648
.LBB31_1645:
	s_mov_b32 s3, -1
                                        ; implicit-def: $vgpr9
	s_branch .LBB31_1654
.LBB31_1646:
	s_mov_b32 s3, -1
                                        ; implicit-def: $vgpr9
	s_branch .LBB31_1651
.LBB31_1647:
	s_mov_b32 s3, -1
                                        ; implicit-def: $vgpr9
.LBB31_1648:
	s_andn2_b32 vcc_lo, exec_lo, s3
	s_cbranch_vccnz .LBB31_1650
; %bb.1649:
	global_load_dword v5, v[7:8], off
	s_waitcnt vmcnt(0)
	v_cvt_f32_i32_e32 v5, v5
	v_bfe_u32 v9, v5, 16, 1
	v_add3_u32 v5, v5, v9, 0x7fff
	v_lshrrev_b32_e32 v9, 16, v5
.LBB31_1650:
	s_mov_b32 s3, 0
.LBB31_1651:
	s_andn2_b32 vcc_lo, exec_lo, s3
	s_cbranch_vccnz .LBB31_1653
; %bb.1652:
	global_load_sshort v5, v[7:8], off
	s_waitcnt vmcnt(0)
	v_cvt_f32_i32_e32 v5, v5
	v_bfe_u32 v9, v5, 16, 1
	v_add3_u32 v5, v5, v9, 0x7fff
	v_lshrrev_b32_e32 v9, 16, v5
.LBB31_1653:
	s_mov_b32 s3, 0
.LBB31_1654:
	s_andn2_b32 vcc_lo, exec_lo, s3
	s_cbranch_vccnz .LBB31_1660
; %bb.1655:
	s_cmp_gt_i32 s0, 0
	s_mov_b32 s0, 0
	s_cbranch_scc0 .LBB31_1657
; %bb.1656:
	global_load_sbyte v5, v[7:8], off
	s_waitcnt vmcnt(0)
	v_cvt_f32_i32_e32 v5, v5
	v_bfe_u32 v9, v5, 16, 1
	v_add3_u32 v5, v5, v9, 0x7fff
	v_lshrrev_b32_e32 v9, 16, v5
	s_branch .LBB31_1658
.LBB31_1657:
	s_mov_b32 s0, -1
                                        ; implicit-def: $vgpr9
.LBB31_1658:
	s_andn2_b32 vcc_lo, exec_lo, s0
	s_cbranch_vccnz .LBB31_1660
; %bb.1659:
	global_load_ubyte v5, v[7:8], off
	s_waitcnt vmcnt(0)
	v_cvt_f32_ubyte0_e32 v5, v5
	v_bfe_u32 v7, v5, 16, 1
	v_add3_u32 v5, v5, v7, 0x7fff
	v_lshrrev_b32_e32 v9, 16, v5
.LBB31_1660:
	s_mov_b32 s6, -1
.LBB31_1661:
	s_andn2_b32 vcc_lo, exec_lo, s6
	s_cbranch_vccnz .LBB31_2095
; %bb.1662:
	s_waitcnt vmcnt(0)
	v_lshlrev_b32_e32 v1, 16, v1
	s_mov_b32 s0, 0x3b2d2a58
	s_bfe_u32 s3, s2, 0x80008
	s_cmp_lt_i32 s3, 11
	v_rcp_f32_e64 v5, |v1|
	v_cmp_gt_f32_e64 vcc_lo, |v1|, 1.0
	v_cndmask_b32_e64 v5, |v1|, v5, vcc_lo
	v_mul_f32_e32 v7, v5, v5
	v_fmaak_f32 v8, s0, v7, 0xbc7a590c
	v_fmaak_f32 v8, v7, v8, 0x3d29fb3f
	;; [unrolled: 1-line block ×7, first 2 shown]
	v_mul_f32_e32 v7, v7, v8
	v_fmac_f32_e32 v5, v5, v7
	v_sub_f32_e32 v7, 0x3fc90fdb, v5
	v_cndmask_b32_e32 v5, v5, v7, vcc_lo
	v_mov_b32_e32 v7, 0x7fc0
	v_bfi_b32 v1, 0x7fffffff, v5, v1
	v_bfe_u32 v5, v1, 16, 1
	v_cmp_o_f32_e32 vcc_lo, v1, v1
	v_add3_u32 v1, v1, v5, 0x7fff
	v_add_co_u32 v5, s0, s8, v6
	v_add_co_ci_u32_e64 v6, null, s9, 0, s0
	v_cndmask_b32_sdwa v1, v7, v1, vcc_lo dst_sel:DWORD dst_unused:UNUSED_PAD src0_sel:DWORD src1_sel:WORD_1
	s_cbranch_scc1 .LBB31_1740
; %bb.1663:
	s_and_b32 s4, 0xffff, s3
	s_mov_b32 s7, -1
	s_mov_b32 s5, 0
	s_cmp_gt_i32 s4, 25
	s_mov_b32 s6, 0
	s_mov_b32 s0, 0
	s_cbranch_scc0 .LBB31_1696
; %bb.1664:
	s_cmp_gt_i32 s4, 28
	s_cbranch_scc0 .LBB31_1679
; %bb.1665:
	s_cmp_gt_i32 s4, 43
	;; [unrolled: 3-line block ×3, first 2 shown]
	s_cbranch_scc0 .LBB31_1669
; %bb.1667:
	s_mov_b32 s0, -1
	s_mov_b32 s7, 0
	s_cmp_eq_u32 s4, 46
	s_cbranch_scc0 .LBB31_1669
; %bb.1668:
	v_and_b32_e32 v7, 0xffff, v1
	s_mov_b32 s0, 0
	s_mov_b32 s6, -1
	global_store_dword v[5:6], v7, off
.LBB31_1669:
	s_and_b32 vcc_lo, exec_lo, s7
	s_cbranch_vccz .LBB31_1674
; %bb.1670:
	s_cmp_eq_u32 s4, 44
	s_mov_b32 s0, -1
	s_cbranch_scc0 .LBB31_1674
; %bb.1671:
	v_and_b32_e32 v7, 0xffff, v1
	v_mov_b32_e32 v8, 0xff
	s_mov_b32 s6, exec_lo
	v_bfe_u32 v11, v7, 7, 8
	v_cmpx_ne_u32_e32 0xff, v11
	s_cbranch_execz .LBB31_1673
; %bb.1672:
	v_lshlrev_b32_e32 v8, 16, v7
	v_and_b32_e32 v12, 64, v7
	v_lshrrev_b32_e32 v7, 7, v7
	v_and_or_b32 v8, 0x3f0000, v8, v11
	v_cmp_ne_u32_e32 vcc_lo, 0, v12
	v_cmp_ne_u32_e64 s0, 0, v8
	s_and_b32 s0, vcc_lo, s0
	v_cndmask_b32_e64 v8, 0, 1, s0
	v_add_nc_u32_e32 v8, v7, v8
.LBB31_1673:
	s_or_b32 exec_lo, exec_lo, s6
	s_mov_b32 s0, 0
	s_mov_b32 s6, -1
	global_store_byte v[5:6], v8, off
.LBB31_1674:
	s_mov_b32 s7, 0
.LBB31_1675:
	s_and_b32 vcc_lo, exec_lo, s7
	s_cbranch_vccz .LBB31_1678
; %bb.1676:
	s_cmp_eq_u32 s4, 29
	s_mov_b32 s0, -1
	s_cbranch_scc0 .LBB31_1678
; %bb.1677:
	v_lshlrev_b32_e32 v7, 16, v1
	s_mov_b32 s0, 0
	s_mov_b32 s6, -1
	v_trunc_f32_e32 v7, v7
	v_mul_f32_e32 v8, 0x2f800000, v7
	v_floor_f32_e32 v8, v8
	v_fmamk_f32 v7, v8, 0xcf800000, v7
	v_cvt_u32_f32_e32 v8, v8
	v_cvt_u32_f32_e32 v7, v7
	global_store_dwordx2 v[5:6], v[7:8], off
.LBB31_1678:
	s_mov_b32 s7, 0
.LBB31_1679:
	s_and_b32 vcc_lo, exec_lo, s7
	s_cbranch_vccz .LBB31_1695
; %bb.1680:
	s_cmp_lt_i32 s4, 27
	s_mov_b32 s6, -1
	s_cbranch_scc1 .LBB31_1686
; %bb.1681:
	s_cmp_gt_i32 s4, 27
	s_cbranch_scc0 .LBB31_1683
; %bb.1682:
	v_lshlrev_b32_e32 v7, 16, v1
	s_mov_b32 s6, 0
	v_cvt_u32_f32_e32 v7, v7
	global_store_dword v[5:6], v7, off
.LBB31_1683:
	s_andn2_b32 vcc_lo, exec_lo, s6
	s_cbranch_vccnz .LBB31_1685
; %bb.1684:
	v_lshlrev_b32_e32 v7, 16, v1
	v_cvt_u32_f32_e32 v7, v7
	global_store_short v[5:6], v7, off
.LBB31_1685:
	s_mov_b32 s6, 0
.LBB31_1686:
	s_andn2_b32 vcc_lo, exec_lo, s6
	s_cbranch_vccnz .LBB31_1694
; %bb.1687:
	v_lshlrev_b32_e32 v11, 16, v1
	v_mov_b32_e32 v12, 0x80
	s_mov_b32 s6, exec_lo
	v_and_b32_e32 v8, 0x7fffffff, v11
	v_cmpx_gt_u32_e32 0x43800000, v8
	s_cbranch_execz .LBB31_1693
; %bb.1688:
	v_and_b32_e32 v7, 0xffff, v1
	v_cmp_lt_u32_e32 vcc_lo, 0x3bffffff, v8
	s_mov_b32 s7, 0
                                        ; implicit-def: $vgpr8
	s_and_saveexec_b32 s10, vcc_lo
	s_xor_b32 s10, exec_lo, s10
	s_cbranch_execz .LBB31_2142
; %bb.1689:
	v_bfe_u32 v8, v7, 4, 1
	s_mov_b32 s7, exec_lo
	v_add3_u32 v8, v11, v8, 0x487ffff
                                        ; implicit-def: $vgpr11
	v_lshrrev_b32_e32 v8, 20, v8
	s_andn2_saveexec_b32 s10, s10
	s_cbranch_execnz .LBB31_2143
.LBB31_1690:
	s_or_b32 exec_lo, exec_lo, s10
	v_mov_b32_e32 v12, 0
	s_and_saveexec_b32 s10, s7
.LBB31_1691:
	v_lshrrev_b32_e32 v7, 8, v7
	v_and_or_b32 v12, 0x80, v7, v8
.LBB31_1692:
	s_or_b32 exec_lo, exec_lo, s10
.LBB31_1693:
	s_or_b32 exec_lo, exec_lo, s6
	global_store_byte v[5:6], v12, off
.LBB31_1694:
	s_mov_b32 s6, -1
.LBB31_1695:
	s_mov_b32 s7, 0
.LBB31_1696:
	s_and_b32 vcc_lo, exec_lo, s7
	s_cbranch_vccz .LBB31_1736
; %bb.1697:
	s_cmp_gt_i32 s4, 22
	s_mov_b32 s5, -1
	s_cbranch_scc0 .LBB31_1729
; %bb.1698:
	s_cmp_lt_i32 s4, 24
	s_cbranch_scc1 .LBB31_1718
; %bb.1699:
	s_cmp_gt_i32 s4, 24
	s_cbranch_scc0 .LBB31_1707
; %bb.1700:
	v_lshlrev_b32_e32 v11, 16, v1
	v_mov_b32_e32 v12, 0x80
	s_mov_b32 s5, exec_lo
	v_and_b32_e32 v8, 0x7fffffff, v11
	v_cmpx_gt_u32_e32 0x47800000, v8
	s_cbranch_execz .LBB31_1706
; %bb.1701:
	v_and_b32_e32 v7, 0xffff, v1
	v_cmp_lt_u32_e32 vcc_lo, 0x37ffffff, v8
	s_mov_b32 s6, 0
                                        ; implicit-def: $vgpr8
	s_and_saveexec_b32 s7, vcc_lo
	s_xor_b32 s7, exec_lo, s7
	s_cbranch_execz .LBB31_2145
; %bb.1702:
	v_bfe_u32 v8, v7, 5, 1
	s_mov_b32 s6, exec_lo
	v_add3_u32 v8, v11, v8, 0x88fffff
                                        ; implicit-def: $vgpr11
	v_lshrrev_b32_e32 v8, 21, v8
	s_andn2_saveexec_b32 s7, s7
	s_cbranch_execnz .LBB31_2146
.LBB31_1703:
	s_or_b32 exec_lo, exec_lo, s7
	v_mov_b32_e32 v12, 0
	s_and_saveexec_b32 s7, s6
.LBB31_1704:
	v_lshrrev_b32_e32 v7, 8, v7
	v_and_or_b32 v12, 0x80, v7, v8
.LBB31_1705:
	s_or_b32 exec_lo, exec_lo, s7
.LBB31_1706:
	s_or_b32 exec_lo, exec_lo, s5
	s_mov_b32 s5, 0
	global_store_byte v[5:6], v12, off
.LBB31_1707:
	s_and_b32 vcc_lo, exec_lo, s5
	s_cbranch_vccz .LBB31_1717
; %bb.1708:
	v_lshlrev_b32_e32 v11, 16, v1
	v_and_b32_e32 v7, 0xffff, v1
	s_mov_b32 s5, exec_lo
                                        ; implicit-def: $vgpr8
	v_and_b32_e32 v12, 0x7fffffff, v11
	v_cmpx_gt_u32_e32 0x43f00000, v12
	s_xor_b32 s5, exec_lo, s5
	s_cbranch_execz .LBB31_1714
; %bb.1709:
	s_mov_b32 s6, exec_lo
                                        ; implicit-def: $vgpr8
	v_cmpx_lt_u32_e32 0x3c7fffff, v12
	s_xor_b32 s6, exec_lo, s6
; %bb.1710:
	v_bfe_u32 v8, v7, 4, 1
	v_add3_u32 v8, v11, v8, 0x407ffff
	v_and_b32_e32 v11, 0xff00000, v8
	v_lshrrev_b32_e32 v8, 20, v8
	v_cmp_ne_u32_e32 vcc_lo, 0x7f00000, v11
                                        ; implicit-def: $vgpr11
	v_cndmask_b32_e32 v8, 0x7e, v8, vcc_lo
; %bb.1711:
	s_andn2_saveexec_b32 s6, s6
; %bb.1712:
	v_add_f32_e64 v8, 0x46800000, |v11|
; %bb.1713:
	s_or_b32 exec_lo, exec_lo, s6
                                        ; implicit-def: $vgpr12
.LBB31_1714:
	s_andn2_saveexec_b32 s5, s5
; %bb.1715:
	v_mov_b32_e32 v8, 0x7f
	v_cmp_lt_u32_e32 vcc_lo, 0x7f800000, v12
	v_cndmask_b32_e32 v8, 0x7e, v8, vcc_lo
; %bb.1716:
	s_or_b32 exec_lo, exec_lo, s5
	v_lshrrev_b32_e32 v7, 8, v7
	v_and_or_b32 v7, 0x80, v7, v8
	global_store_byte v[5:6], v7, off
.LBB31_1717:
	s_mov_b32 s5, 0
.LBB31_1718:
	s_andn2_b32 vcc_lo, exec_lo, s5
	s_cbranch_vccnz .LBB31_1728
; %bb.1719:
	v_lshlrev_b32_e32 v11, 16, v1
	v_and_b32_e32 v7, 0xffff, v1
	s_mov_b32 s5, exec_lo
                                        ; implicit-def: $vgpr8
	v_and_b32_e32 v12, 0x7fffffff, v11
	v_cmpx_gt_u32_e32 0x47800000, v12
	s_xor_b32 s5, exec_lo, s5
	s_cbranch_execz .LBB31_1725
; %bb.1720:
	s_mov_b32 s6, exec_lo
                                        ; implicit-def: $vgpr8
	v_cmpx_lt_u32_e32 0x387fffff, v12
	s_xor_b32 s6, exec_lo, s6
; %bb.1721:
	v_bfe_u32 v8, v7, 5, 1
	v_add3_u32 v8, v11, v8, 0x80fffff
                                        ; implicit-def: $vgpr11
	v_lshrrev_b32_e32 v8, 21, v8
; %bb.1722:
	s_andn2_saveexec_b32 s6, s6
; %bb.1723:
	v_add_f32_e64 v8, 0x43000000, |v11|
; %bb.1724:
	s_or_b32 exec_lo, exec_lo, s6
                                        ; implicit-def: $vgpr12
.LBB31_1725:
	s_andn2_saveexec_b32 s5, s5
; %bb.1726:
	v_mov_b32_e32 v8, 0x7f
	v_cmp_lt_u32_e32 vcc_lo, 0x7f800000, v12
	v_cndmask_b32_e32 v8, 0x7c, v8, vcc_lo
; %bb.1727:
	s_or_b32 exec_lo, exec_lo, s5
	v_lshrrev_b32_e32 v7, 8, v7
	v_and_or_b32 v7, 0x80, v7, v8
	global_store_byte v[5:6], v7, off
.LBB31_1728:
	s_mov_b32 s5, 0
	s_mov_b32 s6, -1
.LBB31_1729:
	s_andn2_b32 vcc_lo, exec_lo, s5
	s_mov_b32 s5, 0
	s_cbranch_vccnz .LBB31_1736
; %bb.1730:
	s_cmp_gt_i32 s4, 14
	s_mov_b32 s5, -1
	s_cbranch_scc0 .LBB31_1734
; %bb.1731:
	s_cmp_eq_u32 s4, 15
	s_mov_b32 s0, -1
	s_cbranch_scc0 .LBB31_1733
; %bb.1732:
	s_mov_b32 s0, 0
	s_mov_b32 s6, -1
	global_store_short v[5:6], v1, off
.LBB31_1733:
	s_mov_b32 s5, 0
.LBB31_1734:
	s_and_b32 vcc_lo, exec_lo, s5
	s_mov_b32 s5, 0
	s_cbranch_vccz .LBB31_1736
; %bb.1735:
	s_cmp_lg_u32 s4, 11
	s_mov_b32 s5, -1
	s_cselect_b32 s0, -1, 0
.LBB31_1736:
	s_and_b32 vcc_lo, exec_lo, s0
	s_cbranch_vccnz .LBB31_2144
; %bb.1737:
	s_andn2_b32 vcc_lo, exec_lo, s5
	s_cbranch_vccnz .LBB31_1739
.LBB31_1738:
	v_and_b32_e32 v7, 0x7fff, v1
	s_mov_b32 s6, -1
	v_cmp_ne_u16_e32 vcc_lo, 0, v7
	v_cndmask_b32_e64 v7, 0, 1, vcc_lo
	global_store_byte v[5:6], v7, off
.LBB31_1739:
	s_mov_b32 s0, 0
	s_branch .LBB31_1741
.LBB31_1740:
	s_mov_b32 s0, -1
	s_mov_b32 s6, 0
.LBB31_1741:
	s_and_b32 vcc_lo, exec_lo, s0
	s_cbranch_vccz .LBB31_1780
; %bb.1742:
	s_and_b32 s0, 0xffff, s3
	s_mov_b32 s3, -1
	s_cmp_lt_i32 s0, 5
	s_cbranch_scc1 .LBB31_1763
; %bb.1743:
	s_cmp_lt_i32 s0, 8
	s_cbranch_scc1 .LBB31_1753
; %bb.1744:
	;; [unrolled: 3-line block ×3, first 2 shown]
	s_cmp_gt_i32 s0, 9
	s_cbranch_scc0 .LBB31_1747
; %bb.1746:
	v_lshlrev_b32_e32 v7, 16, v1
	v_mov_b32_e32 v13, 0
	s_mov_b32 s3, 0
	v_cvt_f64_f32_e32 v[11:12], v7
	v_mov_b32_e32 v14, v13
	global_store_dwordx4 v[5:6], v[11:14], off
.LBB31_1747:
	s_andn2_b32 vcc_lo, exec_lo, s3
	s_cbranch_vccnz .LBB31_1749
; %bb.1748:
	v_lshlrev_b32_e32 v7, 16, v1
	v_mov_b32_e32 v8, 0
	global_store_dwordx2 v[5:6], v[7:8], off
.LBB31_1749:
	s_mov_b32 s3, 0
.LBB31_1750:
	s_andn2_b32 vcc_lo, exec_lo, s3
	s_cbranch_vccnz .LBB31_1752
; %bb.1751:
	v_lshlrev_b32_e32 v7, 16, v1
	v_cvt_f16_f32_e32 v7, v7
	v_and_b32_e32 v7, 0xffff, v7
	global_store_dword v[5:6], v7, off
.LBB31_1752:
	s_mov_b32 s3, 0
.LBB31_1753:
	s_andn2_b32 vcc_lo, exec_lo, s3
	s_cbranch_vccnz .LBB31_1762
; %bb.1754:
	s_cmp_lt_i32 s0, 6
	s_mov_b32 s3, -1
	s_cbranch_scc1 .LBB31_1760
; %bb.1755:
	s_cmp_gt_i32 s0, 6
	s_cbranch_scc0 .LBB31_1757
; %bb.1756:
	v_lshlrev_b32_e32 v7, 16, v1
	s_mov_b32 s3, 0
	v_cvt_f64_f32_e32 v[7:8], v7
	global_store_dwordx2 v[5:6], v[7:8], off
.LBB31_1757:
	s_andn2_b32 vcc_lo, exec_lo, s3
	s_cbranch_vccnz .LBB31_1759
; %bb.1758:
	v_lshlrev_b32_e32 v7, 16, v1
	global_store_dword v[5:6], v7, off
.LBB31_1759:
	s_mov_b32 s3, 0
.LBB31_1760:
	s_andn2_b32 vcc_lo, exec_lo, s3
	s_cbranch_vccnz .LBB31_1762
; %bb.1761:
	v_lshlrev_b32_e32 v7, 16, v1
	v_cvt_f16_f32_e32 v7, v7
	global_store_short v[5:6], v7, off
.LBB31_1762:
	s_mov_b32 s3, 0
.LBB31_1763:
	s_andn2_b32 vcc_lo, exec_lo, s3
	s_cbranch_vccnz .LBB31_1779
; %bb.1764:
	s_cmp_lt_i32 s0, 2
	s_mov_b32 s3, -1
	s_cbranch_scc1 .LBB31_1774
; %bb.1765:
	s_cmp_lt_i32 s0, 3
	s_cbranch_scc1 .LBB31_1771
; %bb.1766:
	s_cmp_gt_i32 s0, 3
	s_cbranch_scc0 .LBB31_1768
; %bb.1767:
	v_lshlrev_b32_e32 v7, 16, v1
	s_mov_b32 s3, 0
	v_trunc_f32_e32 v7, v7
	v_mul_f32_e64 v8, 0x2f800000, |v7|
	v_ashrrev_i32_e32 v12, 31, v7
	v_floor_f32_e32 v8, v8
	v_fma_f32 v11, 0xcf800000, v8, |v7|
	v_cvt_u32_f32_e32 v8, v8
	v_cvt_u32_f32_e32 v7, v11
	v_xor_b32_e32 v8, v8, v12
	v_xor_b32_e32 v7, v7, v12
	v_sub_co_u32 v7, vcc_lo, v7, v12
	v_sub_co_ci_u32_e64 v8, null, v8, v12, vcc_lo
	global_store_dwordx2 v[5:6], v[7:8], off
.LBB31_1768:
	s_andn2_b32 vcc_lo, exec_lo, s3
	s_cbranch_vccnz .LBB31_1770
; %bb.1769:
	v_lshlrev_b32_e32 v7, 16, v1
	v_cvt_i32_f32_e32 v7, v7
	global_store_dword v[5:6], v7, off
.LBB31_1770:
	s_mov_b32 s3, 0
.LBB31_1771:
	s_andn2_b32 vcc_lo, exec_lo, s3
	s_cbranch_vccnz .LBB31_1773
; %bb.1772:
	v_lshlrev_b32_e32 v7, 16, v1
	v_cvt_i32_f32_e32 v7, v7
	global_store_short v[5:6], v7, off
.LBB31_1773:
	s_mov_b32 s3, 0
.LBB31_1774:
	s_andn2_b32 vcc_lo, exec_lo, s3
	s_cbranch_vccnz .LBB31_1779
; %bb.1775:
	v_lshlrev_b32_e32 v1, 16, v1
	s_cmp_gt_i32 s0, 0
	s_mov_b32 s0, -1
	s_cbranch_scc0 .LBB31_1777
; %bb.1776:
	v_cvt_i32_f32_e32 v7, v1
	s_mov_b32 s0, 0
	global_store_byte v[5:6], v7, off
.LBB31_1777:
	s_andn2_b32 vcc_lo, exec_lo, s0
	s_cbranch_vccnz .LBB31_1779
; %bb.1778:
	v_trunc_f32_e32 v1, v1
	v_mul_f32_e64 v7, 0x2f800000, |v1|
	v_floor_f32_e32 v7, v7
	v_fma_f32 v7, 0xcf800000, v7, |v1|
	v_ashrrev_i32_e32 v1, 31, v1
	v_cvt_u32_f32_e32 v7, v7
	v_xor_b32_e32 v7, v7, v1
	v_sub_nc_u32_e32 v1, v7, v1
	global_store_byte v[5:6], v1, off
.LBB31_1779:
	s_mov_b32 s6, -1
.LBB31_1780:
	s_andn2_b32 vcc_lo, exec_lo, s6
	s_cbranch_vccnz .LBB31_2095
; %bb.1781:
	v_lshlrev_b32_e32 v1, 16, v3
	s_mov_b32 s0, 0x3b2d2a58
	v_rcp_f32_e64 v3, |v1|
	v_cmp_gt_f32_e64 vcc_lo, |v1|, 1.0
	v_cndmask_b32_e64 v3, |v1|, v3, vcc_lo
	v_mul_f32_e32 v5, v3, v3
	v_fmaak_f32 v6, s0, v5, 0xbc7a590c
	s_lshr_b32 s0, s2, 8
	s_and_b32 s6, s0, 0xff
	s_cmp_lt_i32 s6, 11
	v_fmaak_f32 v6, v5, v6, 0x3d29fb3f
	v_fmaak_f32 v6, v5, v6, 0xbd97d4d7
	;; [unrolled: 1-line block ×6, first 2 shown]
	v_mul_f32_e32 v5, v5, v6
	v_fmac_f32_e32 v3, v3, v5
	v_sub_f32_e32 v5, 0x3fc90fdb, v3
	v_cndmask_b32_e32 v3, v3, v5, vcc_lo
	v_mov_b32_e32 v5, 0x7fc0
	v_bfi_b32 v1, 0x7fffffff, v3, v1
	v_bfe_u32 v3, v1, 16, 1
	v_cmp_o_f32_e32 vcc_lo, v1, v1
	v_add3_u32 v1, v1, v3, 0x7fff
	v_add_co_u32 v3, s0, s8, v4
	v_add_co_ci_u32_e64 v4, null, s9, 0, s0
	v_cndmask_b32_sdwa v1, v5, v1, vcc_lo dst_sel:DWORD dst_unused:UNUSED_PAD src0_sel:DWORD src1_sel:WORD_1
	s_cbranch_scc1 .LBB31_1859
; %bb.1782:
	s_and_b32 s2, 0xffff, s6
	s_mov_b32 s5, -1
	s_mov_b32 s3, 0
	s_cmp_gt_i32 s2, 25
	s_mov_b32 s4, 0
	s_mov_b32 s0, 0
	s_cbranch_scc0 .LBB31_1815
; %bb.1783:
	s_cmp_gt_i32 s2, 28
	s_cbranch_scc0 .LBB31_1798
; %bb.1784:
	s_cmp_gt_i32 s2, 43
	;; [unrolled: 3-line block ×3, first 2 shown]
	s_cbranch_scc0 .LBB31_1788
; %bb.1786:
	s_mov_b32 s0, -1
	s_mov_b32 s5, 0
	s_cmp_eq_u32 s2, 46
	s_cbranch_scc0 .LBB31_1788
; %bb.1787:
	v_and_b32_e32 v5, 0xffff, v1
	s_mov_b32 s0, 0
	s_mov_b32 s4, -1
	global_store_dword v[3:4], v5, off
.LBB31_1788:
	s_and_b32 vcc_lo, exec_lo, s5
	s_cbranch_vccz .LBB31_1793
; %bb.1789:
	s_cmp_eq_u32 s2, 44
	s_mov_b32 s0, -1
	s_cbranch_scc0 .LBB31_1793
; %bb.1790:
	v_and_b32_e32 v5, 0xffff, v1
	v_mov_b32_e32 v6, 0xff
	s_mov_b32 s4, exec_lo
	v_bfe_u32 v7, v5, 7, 8
	v_cmpx_ne_u32_e32 0xff, v7
	s_cbranch_execz .LBB31_1792
; %bb.1791:
	v_lshlrev_b32_e32 v6, 16, v5
	v_and_b32_e32 v8, 64, v5
	v_lshrrev_b32_e32 v5, 7, v5
	v_and_or_b32 v6, 0x3f0000, v6, v7
	v_cmp_ne_u32_e32 vcc_lo, 0, v8
	v_cmp_ne_u32_e64 s0, 0, v6
	s_and_b32 s0, vcc_lo, s0
	v_cndmask_b32_e64 v6, 0, 1, s0
	v_add_nc_u32_e32 v6, v5, v6
.LBB31_1792:
	s_or_b32 exec_lo, exec_lo, s4
	s_mov_b32 s0, 0
	s_mov_b32 s4, -1
	global_store_byte v[3:4], v6, off
.LBB31_1793:
	s_mov_b32 s5, 0
.LBB31_1794:
	s_and_b32 vcc_lo, exec_lo, s5
	s_cbranch_vccz .LBB31_1797
; %bb.1795:
	s_cmp_eq_u32 s2, 29
	s_mov_b32 s0, -1
	s_cbranch_scc0 .LBB31_1797
; %bb.1796:
	v_lshlrev_b32_e32 v5, 16, v1
	s_mov_b32 s0, 0
	s_mov_b32 s4, -1
	v_trunc_f32_e32 v5, v5
	v_mul_f32_e32 v6, 0x2f800000, v5
	v_floor_f32_e32 v6, v6
	v_fmamk_f32 v5, v6, 0xcf800000, v5
	v_cvt_u32_f32_e32 v6, v6
	v_cvt_u32_f32_e32 v5, v5
	global_store_dwordx2 v[3:4], v[5:6], off
.LBB31_1797:
	s_mov_b32 s5, 0
.LBB31_1798:
	s_and_b32 vcc_lo, exec_lo, s5
	s_cbranch_vccz .LBB31_1814
; %bb.1799:
	s_cmp_lt_i32 s2, 27
	s_mov_b32 s4, -1
	s_cbranch_scc1 .LBB31_1805
; %bb.1800:
	s_cmp_gt_i32 s2, 27
	s_cbranch_scc0 .LBB31_1802
; %bb.1801:
	v_lshlrev_b32_e32 v5, 16, v1
	s_mov_b32 s4, 0
	v_cvt_u32_f32_e32 v5, v5
	global_store_dword v[3:4], v5, off
.LBB31_1802:
	s_andn2_b32 vcc_lo, exec_lo, s4
	s_cbranch_vccnz .LBB31_1804
; %bb.1803:
	v_lshlrev_b32_e32 v5, 16, v1
	v_cvt_u32_f32_e32 v5, v5
	global_store_short v[3:4], v5, off
.LBB31_1804:
	s_mov_b32 s4, 0
.LBB31_1805:
	s_andn2_b32 vcc_lo, exec_lo, s4
	s_cbranch_vccnz .LBB31_1813
; %bb.1806:
	v_lshlrev_b32_e32 v7, 16, v1
	v_mov_b32_e32 v8, 0x80
	s_mov_b32 s4, exec_lo
	v_and_b32_e32 v6, 0x7fffffff, v7
	v_cmpx_gt_u32_e32 0x43800000, v6
	s_cbranch_execz .LBB31_1812
; %bb.1807:
	v_and_b32_e32 v5, 0xffff, v1
	v_cmp_lt_u32_e32 vcc_lo, 0x3bffffff, v6
	s_mov_b32 s5, 0
                                        ; implicit-def: $vgpr6
	s_and_saveexec_b32 s7, vcc_lo
	s_xor_b32 s7, exec_lo, s7
	s_cbranch_execz .LBB31_2147
; %bb.1808:
	v_bfe_u32 v6, v5, 4, 1
	s_mov_b32 s5, exec_lo
	v_add3_u32 v6, v7, v6, 0x487ffff
                                        ; implicit-def: $vgpr7
	v_lshrrev_b32_e32 v6, 20, v6
	s_andn2_saveexec_b32 s7, s7
	s_cbranch_execnz .LBB31_2148
.LBB31_1809:
	s_or_b32 exec_lo, exec_lo, s7
	v_mov_b32_e32 v8, 0
	s_and_saveexec_b32 s7, s5
.LBB31_1810:
	v_lshrrev_b32_e32 v5, 8, v5
	v_and_or_b32 v8, 0x80, v5, v6
.LBB31_1811:
	s_or_b32 exec_lo, exec_lo, s7
.LBB31_1812:
	s_or_b32 exec_lo, exec_lo, s4
	global_store_byte v[3:4], v8, off
.LBB31_1813:
	s_mov_b32 s4, -1
.LBB31_1814:
	s_mov_b32 s5, 0
.LBB31_1815:
	s_and_b32 vcc_lo, exec_lo, s5
	s_cbranch_vccz .LBB31_1855
; %bb.1816:
	s_cmp_gt_i32 s2, 22
	s_mov_b32 s3, -1
	s_cbranch_scc0 .LBB31_1848
; %bb.1817:
	s_cmp_lt_i32 s2, 24
	s_cbranch_scc1 .LBB31_1837
; %bb.1818:
	s_cmp_gt_i32 s2, 24
	s_cbranch_scc0 .LBB31_1826
; %bb.1819:
	v_lshlrev_b32_e32 v7, 16, v1
	v_mov_b32_e32 v8, 0x80
	s_mov_b32 s3, exec_lo
	v_and_b32_e32 v6, 0x7fffffff, v7
	v_cmpx_gt_u32_e32 0x47800000, v6
	s_cbranch_execz .LBB31_1825
; %bb.1820:
	v_and_b32_e32 v5, 0xffff, v1
	v_cmp_lt_u32_e32 vcc_lo, 0x37ffffff, v6
	s_mov_b32 s4, 0
                                        ; implicit-def: $vgpr6
	s_and_saveexec_b32 s5, vcc_lo
	s_xor_b32 s5, exec_lo, s5
	s_cbranch_execz .LBB31_2150
; %bb.1821:
	v_bfe_u32 v6, v5, 5, 1
	s_mov_b32 s4, exec_lo
	v_add3_u32 v6, v7, v6, 0x88fffff
                                        ; implicit-def: $vgpr7
	v_lshrrev_b32_e32 v6, 21, v6
	s_andn2_saveexec_b32 s5, s5
	s_cbranch_execnz .LBB31_2151
.LBB31_1822:
	s_or_b32 exec_lo, exec_lo, s5
	v_mov_b32_e32 v8, 0
	s_and_saveexec_b32 s5, s4
.LBB31_1823:
	v_lshrrev_b32_e32 v5, 8, v5
	v_and_or_b32 v8, 0x80, v5, v6
.LBB31_1824:
	s_or_b32 exec_lo, exec_lo, s5
.LBB31_1825:
	s_or_b32 exec_lo, exec_lo, s3
	s_mov_b32 s3, 0
	global_store_byte v[3:4], v8, off
.LBB31_1826:
	s_and_b32 vcc_lo, exec_lo, s3
	s_cbranch_vccz .LBB31_1836
; %bb.1827:
	v_lshlrev_b32_e32 v7, 16, v1
	v_and_b32_e32 v5, 0xffff, v1
	s_mov_b32 s3, exec_lo
                                        ; implicit-def: $vgpr6
	v_and_b32_e32 v8, 0x7fffffff, v7
	v_cmpx_gt_u32_e32 0x43f00000, v8
	s_xor_b32 s3, exec_lo, s3
	s_cbranch_execz .LBB31_1833
; %bb.1828:
	s_mov_b32 s4, exec_lo
                                        ; implicit-def: $vgpr6
	v_cmpx_lt_u32_e32 0x3c7fffff, v8
	s_xor_b32 s4, exec_lo, s4
; %bb.1829:
	v_bfe_u32 v6, v5, 4, 1
	v_add3_u32 v6, v7, v6, 0x407ffff
	v_and_b32_e32 v7, 0xff00000, v6
	v_lshrrev_b32_e32 v6, 20, v6
	v_cmp_ne_u32_e32 vcc_lo, 0x7f00000, v7
                                        ; implicit-def: $vgpr7
	v_cndmask_b32_e32 v6, 0x7e, v6, vcc_lo
; %bb.1830:
	s_andn2_saveexec_b32 s4, s4
; %bb.1831:
	v_add_f32_e64 v6, 0x46800000, |v7|
; %bb.1832:
	s_or_b32 exec_lo, exec_lo, s4
                                        ; implicit-def: $vgpr8
.LBB31_1833:
	s_andn2_saveexec_b32 s3, s3
; %bb.1834:
	v_mov_b32_e32 v6, 0x7f
	v_cmp_lt_u32_e32 vcc_lo, 0x7f800000, v8
	v_cndmask_b32_e32 v6, 0x7e, v6, vcc_lo
; %bb.1835:
	s_or_b32 exec_lo, exec_lo, s3
	v_lshrrev_b32_e32 v5, 8, v5
	v_and_or_b32 v5, 0x80, v5, v6
	global_store_byte v[3:4], v5, off
.LBB31_1836:
	s_mov_b32 s3, 0
.LBB31_1837:
	s_andn2_b32 vcc_lo, exec_lo, s3
	s_cbranch_vccnz .LBB31_1847
; %bb.1838:
	v_lshlrev_b32_e32 v7, 16, v1
	v_and_b32_e32 v5, 0xffff, v1
	s_mov_b32 s3, exec_lo
                                        ; implicit-def: $vgpr6
	v_and_b32_e32 v8, 0x7fffffff, v7
	v_cmpx_gt_u32_e32 0x47800000, v8
	s_xor_b32 s3, exec_lo, s3
	s_cbranch_execz .LBB31_1844
; %bb.1839:
	s_mov_b32 s4, exec_lo
                                        ; implicit-def: $vgpr6
	v_cmpx_lt_u32_e32 0x387fffff, v8
	s_xor_b32 s4, exec_lo, s4
; %bb.1840:
	v_bfe_u32 v6, v5, 5, 1
	v_add3_u32 v6, v7, v6, 0x80fffff
                                        ; implicit-def: $vgpr7
	v_lshrrev_b32_e32 v6, 21, v6
; %bb.1841:
	s_andn2_saveexec_b32 s4, s4
; %bb.1842:
	v_add_f32_e64 v6, 0x43000000, |v7|
; %bb.1843:
	s_or_b32 exec_lo, exec_lo, s4
                                        ; implicit-def: $vgpr8
.LBB31_1844:
	s_andn2_saveexec_b32 s3, s3
; %bb.1845:
	v_mov_b32_e32 v6, 0x7f
	v_cmp_lt_u32_e32 vcc_lo, 0x7f800000, v8
	v_cndmask_b32_e32 v6, 0x7c, v6, vcc_lo
; %bb.1846:
	s_or_b32 exec_lo, exec_lo, s3
	v_lshrrev_b32_e32 v5, 8, v5
	v_and_or_b32 v5, 0x80, v5, v6
	global_store_byte v[3:4], v5, off
.LBB31_1847:
	s_mov_b32 s3, 0
	s_mov_b32 s4, -1
.LBB31_1848:
	s_andn2_b32 vcc_lo, exec_lo, s3
	s_mov_b32 s3, 0
	s_cbranch_vccnz .LBB31_1855
; %bb.1849:
	s_cmp_gt_i32 s2, 14
	s_mov_b32 s3, -1
	s_cbranch_scc0 .LBB31_1853
; %bb.1850:
	s_cmp_eq_u32 s2, 15
	s_mov_b32 s0, -1
	s_cbranch_scc0 .LBB31_1852
; %bb.1851:
	s_mov_b32 s0, 0
	s_mov_b32 s4, -1
	global_store_short v[3:4], v1, off
.LBB31_1852:
	s_mov_b32 s3, 0
.LBB31_1853:
	s_and_b32 vcc_lo, exec_lo, s3
	s_mov_b32 s3, 0
	s_cbranch_vccz .LBB31_1855
; %bb.1854:
	s_cmp_lg_u32 s2, 11
	s_mov_b32 s3, -1
	s_cselect_b32 s0, -1, 0
.LBB31_1855:
	s_and_b32 vcc_lo, exec_lo, s0
	s_cbranch_vccnz .LBB31_2149
; %bb.1856:
	s_andn2_b32 vcc_lo, exec_lo, s3
	s_cbranch_vccnz .LBB31_1858
.LBB31_1857:
	v_and_b32_e32 v5, 0x7fff, v1
	s_mov_b32 s4, -1
	v_cmp_ne_u16_e32 vcc_lo, 0, v5
	v_cndmask_b32_e64 v5, 0, 1, vcc_lo
	global_store_byte v[3:4], v5, off
.LBB31_1858:
	s_mov_b32 s0, 0
	s_branch .LBB31_1860
.LBB31_1859:
	s_mov_b32 s0, -1
	s_mov_b32 s4, 0
.LBB31_1860:
	s_and_b32 vcc_lo, exec_lo, s0
	s_cbranch_vccz .LBB31_1899
; %bb.1861:
	s_and_b32 s0, 0xffff, s6
	s_mov_b32 s2, -1
	s_cmp_lt_i32 s0, 5
	s_cbranch_scc1 .LBB31_1882
; %bb.1862:
	s_cmp_lt_i32 s0, 8
	s_cbranch_scc1 .LBB31_1872
; %bb.1863:
	;; [unrolled: 3-line block ×3, first 2 shown]
	s_cmp_gt_i32 s0, 9
	s_cbranch_scc0 .LBB31_1866
; %bb.1865:
	v_lshlrev_b32_e32 v5, 16, v1
	v_mov_b32_e32 v7, 0
	s_mov_b32 s2, 0
	v_cvt_f64_f32_e32 v[5:6], v5
	v_mov_b32_e32 v8, v7
	global_store_dwordx4 v[3:4], v[5:8], off
.LBB31_1866:
	s_andn2_b32 vcc_lo, exec_lo, s2
	s_cbranch_vccnz .LBB31_1868
; %bb.1867:
	v_lshlrev_b32_e32 v5, 16, v1
	v_mov_b32_e32 v6, 0
	global_store_dwordx2 v[3:4], v[5:6], off
.LBB31_1868:
	s_mov_b32 s2, 0
.LBB31_1869:
	s_andn2_b32 vcc_lo, exec_lo, s2
	s_cbranch_vccnz .LBB31_1871
; %bb.1870:
	v_lshlrev_b32_e32 v5, 16, v1
	v_cvt_f16_f32_e32 v5, v5
	v_and_b32_e32 v5, 0xffff, v5
	global_store_dword v[3:4], v5, off
.LBB31_1871:
	s_mov_b32 s2, 0
.LBB31_1872:
	s_andn2_b32 vcc_lo, exec_lo, s2
	s_cbranch_vccnz .LBB31_1881
; %bb.1873:
	s_cmp_lt_i32 s0, 6
	s_mov_b32 s2, -1
	s_cbranch_scc1 .LBB31_1879
; %bb.1874:
	s_cmp_gt_i32 s0, 6
	s_cbranch_scc0 .LBB31_1876
; %bb.1875:
	v_lshlrev_b32_e32 v5, 16, v1
	s_mov_b32 s2, 0
	v_cvt_f64_f32_e32 v[5:6], v5
	global_store_dwordx2 v[3:4], v[5:6], off
.LBB31_1876:
	s_andn2_b32 vcc_lo, exec_lo, s2
	s_cbranch_vccnz .LBB31_1878
; %bb.1877:
	v_lshlrev_b32_e32 v5, 16, v1
	global_store_dword v[3:4], v5, off
.LBB31_1878:
	s_mov_b32 s2, 0
.LBB31_1879:
	s_andn2_b32 vcc_lo, exec_lo, s2
	s_cbranch_vccnz .LBB31_1881
; %bb.1880:
	v_lshlrev_b32_e32 v5, 16, v1
	v_cvt_f16_f32_e32 v5, v5
	global_store_short v[3:4], v5, off
.LBB31_1881:
	s_mov_b32 s2, 0
.LBB31_1882:
	s_andn2_b32 vcc_lo, exec_lo, s2
	s_cbranch_vccnz .LBB31_1898
; %bb.1883:
	s_cmp_lt_i32 s0, 2
	s_mov_b32 s2, -1
	s_cbranch_scc1 .LBB31_1893
; %bb.1884:
	s_cmp_lt_i32 s0, 3
	s_cbranch_scc1 .LBB31_1890
; %bb.1885:
	s_cmp_gt_i32 s0, 3
	s_cbranch_scc0 .LBB31_1887
; %bb.1886:
	v_lshlrev_b32_e32 v5, 16, v1
	s_mov_b32 s2, 0
	v_trunc_f32_e32 v5, v5
	v_mul_f32_e64 v6, 0x2f800000, |v5|
	v_ashrrev_i32_e32 v8, 31, v5
	v_floor_f32_e32 v6, v6
	v_fma_f32 v7, 0xcf800000, v6, |v5|
	v_cvt_u32_f32_e32 v6, v6
	v_cvt_u32_f32_e32 v5, v7
	v_xor_b32_e32 v6, v6, v8
	v_xor_b32_e32 v5, v5, v8
	v_sub_co_u32 v5, vcc_lo, v5, v8
	v_sub_co_ci_u32_e64 v6, null, v6, v8, vcc_lo
	global_store_dwordx2 v[3:4], v[5:6], off
.LBB31_1887:
	s_andn2_b32 vcc_lo, exec_lo, s2
	s_cbranch_vccnz .LBB31_1889
; %bb.1888:
	v_lshlrev_b32_e32 v5, 16, v1
	v_cvt_i32_f32_e32 v5, v5
	global_store_dword v[3:4], v5, off
.LBB31_1889:
	s_mov_b32 s2, 0
.LBB31_1890:
	s_andn2_b32 vcc_lo, exec_lo, s2
	s_cbranch_vccnz .LBB31_1892
; %bb.1891:
	v_lshlrev_b32_e32 v5, 16, v1
	v_cvt_i32_f32_e32 v5, v5
	global_store_short v[3:4], v5, off
.LBB31_1892:
	s_mov_b32 s2, 0
.LBB31_1893:
	s_andn2_b32 vcc_lo, exec_lo, s2
	s_cbranch_vccnz .LBB31_1898
; %bb.1894:
	v_lshlrev_b32_e32 v1, 16, v1
	s_cmp_gt_i32 s0, 0
	s_mov_b32 s0, -1
	s_cbranch_scc0 .LBB31_1896
; %bb.1895:
	v_cvt_i32_f32_e32 v5, v1
	s_mov_b32 s0, 0
	global_store_byte v[3:4], v5, off
.LBB31_1896:
	s_andn2_b32 vcc_lo, exec_lo, s0
	s_cbranch_vccnz .LBB31_1898
; %bb.1897:
	v_trunc_f32_e32 v1, v1
	v_mul_f32_e64 v5, 0x2f800000, |v1|
	v_floor_f32_e32 v5, v5
	v_fma_f32 v5, 0xcf800000, v5, |v1|
	v_ashrrev_i32_e32 v1, 31, v1
	v_cvt_u32_f32_e32 v5, v5
	v_xor_b32_e32 v5, v5, v1
	v_sub_nc_u32_e32 v1, v5, v1
	global_store_byte v[3:4], v1, off
.LBB31_1898:
	s_mov_b32 s4, -1
.LBB31_1899:
	s_andn2_b32 vcc_lo, exec_lo, s4
	s_cbranch_vccnz .LBB31_2095
; %bb.1900:
	v_lshlrev_b32_e32 v1, 16, v10
	s_mov_b32 s0, 0x3b2d2a58
	s_cmp_lt_i32 s6, 11
	v_rcp_f32_e64 v3, |v1|
	v_cmp_gt_f32_e64 vcc_lo, |v1|, 1.0
	v_cndmask_b32_e64 v3, |v1|, v3, vcc_lo
	v_mul_f32_e32 v4, v3, v3
	v_fmaak_f32 v5, s0, v4, 0xbc7a590c
	v_fmaak_f32 v5, v4, v5, 0x3d29fb3f
	v_fmaak_f32 v5, v4, v5, 0xbd97d4d7
	v_fmaak_f32 v5, v4, v5, 0x3dd931b2
	v_fmaak_f32 v5, v4, v5, 0xbe1160e6
	v_fmaak_f32 v5, v4, v5, 0x3e4cb8bf
	v_fmaak_f32 v5, v4, v5, 0xbeaaaa62
	v_mul_f32_e32 v4, v4, v5
	v_fmac_f32_e32 v3, v3, v4
	v_sub_f32_e32 v4, 0x3fc90fdb, v3
	v_cndmask_b32_e32 v3, v3, v4, vcc_lo
	v_mov_b32_e32 v4, 0x7fc0
	v_bfi_b32 v1, 0x7fffffff, v3, v1
	v_bfe_u32 v3, v1, 16, 1
	v_cmp_o_f32_e32 vcc_lo, v1, v1
	v_add3_u32 v1, v1, v3, 0x7fff
	v_cndmask_b32_sdwa v3, v4, v1, vcc_lo dst_sel:DWORD dst_unused:UNUSED_PAD src0_sel:DWORD src1_sel:WORD_1
	v_add_co_u32 v1, s0, s8, v2
	v_add_co_ci_u32_e64 v2, null, s9, 0, s0
	s_cbranch_scc1 .LBB31_1978
; %bb.1901:
	s_and_b32 s2, 0xffff, s6
	s_mov_b32 s5, -1
	s_mov_b32 s3, 0
	s_cmp_gt_i32 s2, 25
	s_mov_b32 s4, 0
	s_mov_b32 s0, 0
	s_cbranch_scc0 .LBB31_1934
; %bb.1902:
	s_cmp_gt_i32 s2, 28
	s_cbranch_scc0 .LBB31_1917
; %bb.1903:
	s_cmp_gt_i32 s2, 43
	;; [unrolled: 3-line block ×3, first 2 shown]
	s_cbranch_scc0 .LBB31_1907
; %bb.1905:
	s_mov_b32 s0, -1
	s_mov_b32 s5, 0
	s_cmp_eq_u32 s2, 46
	s_cbranch_scc0 .LBB31_1907
; %bb.1906:
	v_and_b32_e32 v4, 0xffff, v3
	s_mov_b32 s0, 0
	s_mov_b32 s4, -1
	global_store_dword v[1:2], v4, off
.LBB31_1907:
	s_and_b32 vcc_lo, exec_lo, s5
	s_cbranch_vccz .LBB31_1912
; %bb.1908:
	s_cmp_eq_u32 s2, 44
	s_mov_b32 s0, -1
	s_cbranch_scc0 .LBB31_1912
; %bb.1909:
	v_and_b32_e32 v4, 0xffff, v3
	v_mov_b32_e32 v5, 0xff
	s_mov_b32 s4, exec_lo
	v_bfe_u32 v6, v4, 7, 8
	v_cmpx_ne_u32_e32 0xff, v6
	s_cbranch_execz .LBB31_1911
; %bb.1910:
	v_lshlrev_b32_e32 v5, 16, v4
	v_and_b32_e32 v7, 64, v4
	v_lshrrev_b32_e32 v4, 7, v4
	v_and_or_b32 v5, 0x3f0000, v5, v6
	v_cmp_ne_u32_e32 vcc_lo, 0, v7
	v_cmp_ne_u32_e64 s0, 0, v5
	s_and_b32 s0, vcc_lo, s0
	v_cndmask_b32_e64 v5, 0, 1, s0
	v_add_nc_u32_e32 v5, v4, v5
.LBB31_1911:
	s_or_b32 exec_lo, exec_lo, s4
	s_mov_b32 s0, 0
	s_mov_b32 s4, -1
	global_store_byte v[1:2], v5, off
.LBB31_1912:
	s_mov_b32 s5, 0
.LBB31_1913:
	s_and_b32 vcc_lo, exec_lo, s5
	s_cbranch_vccz .LBB31_1916
; %bb.1914:
	s_cmp_eq_u32 s2, 29
	s_mov_b32 s0, -1
	s_cbranch_scc0 .LBB31_1916
; %bb.1915:
	v_lshlrev_b32_e32 v4, 16, v3
	s_mov_b32 s0, 0
	s_mov_b32 s4, -1
	v_trunc_f32_e32 v4, v4
	v_mul_f32_e32 v5, 0x2f800000, v4
	v_floor_f32_e32 v5, v5
	v_fmamk_f32 v4, v5, 0xcf800000, v4
	v_cvt_u32_f32_e32 v5, v5
	v_cvt_u32_f32_e32 v4, v4
	global_store_dwordx2 v[1:2], v[4:5], off
.LBB31_1916:
	s_mov_b32 s5, 0
.LBB31_1917:
	s_and_b32 vcc_lo, exec_lo, s5
	s_cbranch_vccz .LBB31_1933
; %bb.1918:
	s_cmp_lt_i32 s2, 27
	s_mov_b32 s4, -1
	s_cbranch_scc1 .LBB31_1924
; %bb.1919:
	s_cmp_gt_i32 s2, 27
	s_cbranch_scc0 .LBB31_1921
; %bb.1920:
	v_lshlrev_b32_e32 v4, 16, v3
	s_mov_b32 s4, 0
	v_cvt_u32_f32_e32 v4, v4
	global_store_dword v[1:2], v4, off
.LBB31_1921:
	s_andn2_b32 vcc_lo, exec_lo, s4
	s_cbranch_vccnz .LBB31_1923
; %bb.1922:
	v_lshlrev_b32_e32 v4, 16, v3
	v_cvt_u32_f32_e32 v4, v4
	global_store_short v[1:2], v4, off
.LBB31_1923:
	s_mov_b32 s4, 0
.LBB31_1924:
	s_andn2_b32 vcc_lo, exec_lo, s4
	s_cbranch_vccnz .LBB31_1932
; %bb.1925:
	v_lshlrev_b32_e32 v6, 16, v3
	v_mov_b32_e32 v7, 0x80
	s_mov_b32 s4, exec_lo
	v_and_b32_e32 v5, 0x7fffffff, v6
	v_cmpx_gt_u32_e32 0x43800000, v5
	s_cbranch_execz .LBB31_1931
; %bb.1926:
	v_and_b32_e32 v4, 0xffff, v3
	v_cmp_lt_u32_e32 vcc_lo, 0x3bffffff, v5
	s_mov_b32 s5, 0
                                        ; implicit-def: $vgpr5
	s_and_saveexec_b32 s7, vcc_lo
	s_xor_b32 s7, exec_lo, s7
	s_cbranch_execz .LBB31_2152
; %bb.1927:
	v_bfe_u32 v5, v4, 4, 1
	s_mov_b32 s5, exec_lo
	v_add3_u32 v5, v6, v5, 0x487ffff
                                        ; implicit-def: $vgpr6
	v_lshrrev_b32_e32 v5, 20, v5
	s_andn2_saveexec_b32 s7, s7
	s_cbranch_execnz .LBB31_2153
.LBB31_1928:
	s_or_b32 exec_lo, exec_lo, s7
	v_mov_b32_e32 v7, 0
	s_and_saveexec_b32 s7, s5
.LBB31_1929:
	v_lshrrev_b32_e32 v4, 8, v4
	v_and_or_b32 v7, 0x80, v4, v5
.LBB31_1930:
	s_or_b32 exec_lo, exec_lo, s7
.LBB31_1931:
	s_or_b32 exec_lo, exec_lo, s4
	global_store_byte v[1:2], v7, off
.LBB31_1932:
	s_mov_b32 s4, -1
.LBB31_1933:
	s_mov_b32 s5, 0
.LBB31_1934:
	s_and_b32 vcc_lo, exec_lo, s5
	s_cbranch_vccz .LBB31_1974
; %bb.1935:
	s_cmp_gt_i32 s2, 22
	s_mov_b32 s3, -1
	s_cbranch_scc0 .LBB31_1967
; %bb.1936:
	s_cmp_lt_i32 s2, 24
	s_cbranch_scc1 .LBB31_1956
; %bb.1937:
	s_cmp_gt_i32 s2, 24
	s_cbranch_scc0 .LBB31_1945
; %bb.1938:
	v_lshlrev_b32_e32 v6, 16, v3
	v_mov_b32_e32 v7, 0x80
	s_mov_b32 s3, exec_lo
	v_and_b32_e32 v5, 0x7fffffff, v6
	v_cmpx_gt_u32_e32 0x47800000, v5
	s_cbranch_execz .LBB31_1944
; %bb.1939:
	v_and_b32_e32 v4, 0xffff, v3
	v_cmp_lt_u32_e32 vcc_lo, 0x37ffffff, v5
	s_mov_b32 s4, 0
                                        ; implicit-def: $vgpr5
	s_and_saveexec_b32 s5, vcc_lo
	s_xor_b32 s5, exec_lo, s5
	s_cbranch_execz .LBB31_2155
; %bb.1940:
	v_bfe_u32 v5, v4, 5, 1
	s_mov_b32 s4, exec_lo
	v_add3_u32 v5, v6, v5, 0x88fffff
                                        ; implicit-def: $vgpr6
	v_lshrrev_b32_e32 v5, 21, v5
	s_andn2_saveexec_b32 s5, s5
	s_cbranch_execnz .LBB31_2156
.LBB31_1941:
	s_or_b32 exec_lo, exec_lo, s5
	v_mov_b32_e32 v7, 0
	s_and_saveexec_b32 s5, s4
.LBB31_1942:
	v_lshrrev_b32_e32 v4, 8, v4
	v_and_or_b32 v7, 0x80, v4, v5
.LBB31_1943:
	s_or_b32 exec_lo, exec_lo, s5
.LBB31_1944:
	s_or_b32 exec_lo, exec_lo, s3
	s_mov_b32 s3, 0
	global_store_byte v[1:2], v7, off
.LBB31_1945:
	s_and_b32 vcc_lo, exec_lo, s3
	s_cbranch_vccz .LBB31_1955
; %bb.1946:
	v_lshlrev_b32_e32 v6, 16, v3
	v_and_b32_e32 v4, 0xffff, v3
	s_mov_b32 s3, exec_lo
                                        ; implicit-def: $vgpr5
	v_and_b32_e32 v7, 0x7fffffff, v6
	v_cmpx_gt_u32_e32 0x43f00000, v7
	s_xor_b32 s3, exec_lo, s3
	s_cbranch_execz .LBB31_1952
; %bb.1947:
	s_mov_b32 s4, exec_lo
                                        ; implicit-def: $vgpr5
	v_cmpx_lt_u32_e32 0x3c7fffff, v7
	s_xor_b32 s4, exec_lo, s4
; %bb.1948:
	v_bfe_u32 v5, v4, 4, 1
	v_add3_u32 v5, v6, v5, 0x407ffff
	v_and_b32_e32 v6, 0xff00000, v5
	v_lshrrev_b32_e32 v5, 20, v5
	v_cmp_ne_u32_e32 vcc_lo, 0x7f00000, v6
                                        ; implicit-def: $vgpr6
	v_cndmask_b32_e32 v5, 0x7e, v5, vcc_lo
; %bb.1949:
	s_andn2_saveexec_b32 s4, s4
; %bb.1950:
	v_add_f32_e64 v5, 0x46800000, |v6|
; %bb.1951:
	s_or_b32 exec_lo, exec_lo, s4
                                        ; implicit-def: $vgpr7
.LBB31_1952:
	s_andn2_saveexec_b32 s3, s3
; %bb.1953:
	v_mov_b32_e32 v5, 0x7f
	v_cmp_lt_u32_e32 vcc_lo, 0x7f800000, v7
	v_cndmask_b32_e32 v5, 0x7e, v5, vcc_lo
; %bb.1954:
	s_or_b32 exec_lo, exec_lo, s3
	v_lshrrev_b32_e32 v4, 8, v4
	v_and_or_b32 v4, 0x80, v4, v5
	global_store_byte v[1:2], v4, off
.LBB31_1955:
	s_mov_b32 s3, 0
.LBB31_1956:
	s_andn2_b32 vcc_lo, exec_lo, s3
	s_cbranch_vccnz .LBB31_1966
; %bb.1957:
	v_lshlrev_b32_e32 v6, 16, v3
	v_and_b32_e32 v4, 0xffff, v3
	s_mov_b32 s3, exec_lo
                                        ; implicit-def: $vgpr5
	v_and_b32_e32 v7, 0x7fffffff, v6
	v_cmpx_gt_u32_e32 0x47800000, v7
	s_xor_b32 s3, exec_lo, s3
	s_cbranch_execz .LBB31_1963
; %bb.1958:
	s_mov_b32 s4, exec_lo
                                        ; implicit-def: $vgpr5
	v_cmpx_lt_u32_e32 0x387fffff, v7
	s_xor_b32 s4, exec_lo, s4
; %bb.1959:
	v_bfe_u32 v5, v4, 5, 1
	v_add3_u32 v5, v6, v5, 0x80fffff
                                        ; implicit-def: $vgpr6
	v_lshrrev_b32_e32 v5, 21, v5
; %bb.1960:
	s_andn2_saveexec_b32 s4, s4
; %bb.1961:
	v_add_f32_e64 v5, 0x43000000, |v6|
; %bb.1962:
	s_or_b32 exec_lo, exec_lo, s4
                                        ; implicit-def: $vgpr7
.LBB31_1963:
	s_andn2_saveexec_b32 s3, s3
; %bb.1964:
	v_mov_b32_e32 v5, 0x7f
	v_cmp_lt_u32_e32 vcc_lo, 0x7f800000, v7
	v_cndmask_b32_e32 v5, 0x7c, v5, vcc_lo
; %bb.1965:
	s_or_b32 exec_lo, exec_lo, s3
	v_lshrrev_b32_e32 v4, 8, v4
	v_and_or_b32 v4, 0x80, v4, v5
	global_store_byte v[1:2], v4, off
.LBB31_1966:
	s_mov_b32 s3, 0
	s_mov_b32 s4, -1
.LBB31_1967:
	s_andn2_b32 vcc_lo, exec_lo, s3
	s_mov_b32 s3, 0
	s_cbranch_vccnz .LBB31_1974
; %bb.1968:
	s_cmp_gt_i32 s2, 14
	s_mov_b32 s3, -1
	s_cbranch_scc0 .LBB31_1972
; %bb.1969:
	s_cmp_eq_u32 s2, 15
	s_mov_b32 s0, -1
	s_cbranch_scc0 .LBB31_1971
; %bb.1970:
	s_mov_b32 s0, 0
	s_mov_b32 s4, -1
	global_store_short v[1:2], v3, off
.LBB31_1971:
	s_mov_b32 s3, 0
.LBB31_1972:
	s_and_b32 vcc_lo, exec_lo, s3
	s_mov_b32 s3, 0
	s_cbranch_vccz .LBB31_1974
; %bb.1973:
	s_cmp_lg_u32 s2, 11
	s_mov_b32 s3, -1
	s_cselect_b32 s0, -1, 0
.LBB31_1974:
	s_and_b32 vcc_lo, exec_lo, s0
	s_cbranch_vccnz .LBB31_2154
; %bb.1975:
	s_andn2_b32 vcc_lo, exec_lo, s3
	s_cbranch_vccnz .LBB31_1977
.LBB31_1976:
	v_and_b32_e32 v4, 0x7fff, v3
	s_mov_b32 s4, -1
	v_cmp_ne_u16_e32 vcc_lo, 0, v4
	v_cndmask_b32_e64 v4, 0, 1, vcc_lo
	global_store_byte v[1:2], v4, off
.LBB31_1977:
	s_mov_b32 s0, 0
	s_branch .LBB31_1979
.LBB31_1978:
	s_mov_b32 s0, -1
	s_mov_b32 s4, 0
.LBB31_1979:
	s_and_b32 vcc_lo, exec_lo, s0
	s_cbranch_vccz .LBB31_2018
; %bb.1980:
	s_and_b32 s0, 0xffff, s6
	s_mov_b32 s2, -1
	s_cmp_lt_i32 s0, 5
	s_cbranch_scc1 .LBB31_2001
; %bb.1981:
	s_cmp_lt_i32 s0, 8
	s_cbranch_scc1 .LBB31_1991
; %bb.1982:
	;; [unrolled: 3-line block ×3, first 2 shown]
	s_cmp_gt_i32 s0, 9
	s_cbranch_scc0 .LBB31_1985
; %bb.1984:
	v_lshlrev_b32_e32 v4, 16, v3
	v_mov_b32_e32 v6, 0
	s_mov_b32 s2, 0
	v_cvt_f64_f32_e32 v[4:5], v4
	v_mov_b32_e32 v7, v6
	global_store_dwordx4 v[1:2], v[4:7], off
.LBB31_1985:
	s_andn2_b32 vcc_lo, exec_lo, s2
	s_cbranch_vccnz .LBB31_1987
; %bb.1986:
	v_lshlrev_b32_e32 v4, 16, v3
	v_mov_b32_e32 v5, 0
	global_store_dwordx2 v[1:2], v[4:5], off
.LBB31_1987:
	s_mov_b32 s2, 0
.LBB31_1988:
	s_andn2_b32 vcc_lo, exec_lo, s2
	s_cbranch_vccnz .LBB31_1990
; %bb.1989:
	v_lshlrev_b32_e32 v4, 16, v3
	v_cvt_f16_f32_e32 v4, v4
	v_and_b32_e32 v4, 0xffff, v4
	global_store_dword v[1:2], v4, off
.LBB31_1990:
	s_mov_b32 s2, 0
.LBB31_1991:
	s_andn2_b32 vcc_lo, exec_lo, s2
	s_cbranch_vccnz .LBB31_2000
; %bb.1992:
	s_cmp_lt_i32 s0, 6
	s_mov_b32 s2, -1
	s_cbranch_scc1 .LBB31_1998
; %bb.1993:
	s_cmp_gt_i32 s0, 6
	s_cbranch_scc0 .LBB31_1995
; %bb.1994:
	v_lshlrev_b32_e32 v4, 16, v3
	s_mov_b32 s2, 0
	v_cvt_f64_f32_e32 v[4:5], v4
	global_store_dwordx2 v[1:2], v[4:5], off
.LBB31_1995:
	s_andn2_b32 vcc_lo, exec_lo, s2
	s_cbranch_vccnz .LBB31_1997
; %bb.1996:
	v_lshlrev_b32_e32 v4, 16, v3
	global_store_dword v[1:2], v4, off
.LBB31_1997:
	s_mov_b32 s2, 0
.LBB31_1998:
	s_andn2_b32 vcc_lo, exec_lo, s2
	s_cbranch_vccnz .LBB31_2000
; %bb.1999:
	v_lshlrev_b32_e32 v4, 16, v3
	v_cvt_f16_f32_e32 v4, v4
	global_store_short v[1:2], v4, off
.LBB31_2000:
	s_mov_b32 s2, 0
.LBB31_2001:
	s_andn2_b32 vcc_lo, exec_lo, s2
	s_cbranch_vccnz .LBB31_2017
; %bb.2002:
	s_cmp_lt_i32 s0, 2
	s_mov_b32 s2, -1
	s_cbranch_scc1 .LBB31_2012
; %bb.2003:
	s_cmp_lt_i32 s0, 3
	s_cbranch_scc1 .LBB31_2009
; %bb.2004:
	s_cmp_gt_i32 s0, 3
	s_cbranch_scc0 .LBB31_2006
; %bb.2005:
	v_lshlrev_b32_e32 v4, 16, v3
	s_mov_b32 s2, 0
	v_trunc_f32_e32 v4, v4
	v_mul_f32_e64 v5, 0x2f800000, |v4|
	v_ashrrev_i32_e32 v7, 31, v4
	v_floor_f32_e32 v5, v5
	v_fma_f32 v6, 0xcf800000, v5, |v4|
	v_cvt_u32_f32_e32 v5, v5
	v_cvt_u32_f32_e32 v4, v6
	v_xor_b32_e32 v5, v5, v7
	v_xor_b32_e32 v4, v4, v7
	v_sub_co_u32 v4, vcc_lo, v4, v7
	v_sub_co_ci_u32_e64 v5, null, v5, v7, vcc_lo
	global_store_dwordx2 v[1:2], v[4:5], off
.LBB31_2006:
	s_andn2_b32 vcc_lo, exec_lo, s2
	s_cbranch_vccnz .LBB31_2008
; %bb.2007:
	v_lshlrev_b32_e32 v4, 16, v3
	v_cvt_i32_f32_e32 v4, v4
	global_store_dword v[1:2], v4, off
.LBB31_2008:
	s_mov_b32 s2, 0
.LBB31_2009:
	s_andn2_b32 vcc_lo, exec_lo, s2
	s_cbranch_vccnz .LBB31_2011
; %bb.2010:
	v_lshlrev_b32_e32 v4, 16, v3
	v_cvt_i32_f32_e32 v4, v4
	global_store_short v[1:2], v4, off
.LBB31_2011:
	s_mov_b32 s2, 0
.LBB31_2012:
	s_andn2_b32 vcc_lo, exec_lo, s2
	s_cbranch_vccnz .LBB31_2017
; %bb.2013:
	s_cmp_gt_i32 s0, 0
	s_mov_b32 s0, -1
	s_cbranch_scc0 .LBB31_2015
; %bb.2014:
	v_lshlrev_b32_e32 v4, 16, v3
	s_mov_b32 s0, 0
	v_cvt_i32_f32_e32 v4, v4
	global_store_byte v[1:2], v4, off
.LBB31_2015:
	s_andn2_b32 vcc_lo, exec_lo, s0
	s_cbranch_vccnz .LBB31_2017
; %bb.2016:
	v_lshlrev_b32_e32 v3, 16, v3
	v_trunc_f32_e32 v3, v3
	v_mul_f32_e64 v4, 0x2f800000, |v3|
	v_floor_f32_e32 v4, v4
	v_fma_f32 v4, 0xcf800000, v4, |v3|
	v_ashrrev_i32_e32 v3, 31, v3
	v_cvt_u32_f32_e32 v4, v4
	v_xor_b32_e32 v4, v4, v3
	v_sub_nc_u32_e32 v3, v4, v3
	global_store_byte v[1:2], v3, off
.LBB31_2017:
	s_mov_b32 s4, -1
.LBB31_2018:
	s_andn2_b32 vcc_lo, exec_lo, s4
	s_cbranch_vccnz .LBB31_2095
; %bb.2019:
	v_lshlrev_b32_e32 v1, 16, v9
	s_mov_b32 s0, 0x3b2d2a58
	s_cmp_lt_i32 s6, 11
	v_rcp_f32_e64 v2, |v1|
	v_cmp_gt_f32_e64 vcc_lo, |v1|, 1.0
	v_cndmask_b32_e64 v2, |v1|, v2, vcc_lo
	v_mul_f32_e32 v3, v2, v2
	v_fmaak_f32 v4, s0, v3, 0xbc7a590c
	v_add_co_u32 v0, s0, s8, v0
	v_fmaak_f32 v4, v3, v4, 0x3d29fb3f
	v_fmaak_f32 v4, v3, v4, 0xbd97d4d7
	;; [unrolled: 1-line block ×6, first 2 shown]
	v_mul_f32_e32 v3, v3, v4
	v_fmac_f32_e32 v2, v2, v3
	v_sub_f32_e32 v3, 0x3fc90fdb, v2
	v_cndmask_b32_e32 v2, v2, v3, vcc_lo
	v_mov_b32_e32 v3, 0x7fc0
	v_bfi_b32 v1, 0x7fffffff, v2, v1
	v_bfe_u32 v2, v1, 16, 1
	v_cmp_o_f32_e32 vcc_lo, v1, v1
	v_add3_u32 v1, v1, v2, 0x7fff
	v_cndmask_b32_sdwa v2, v3, v1, vcc_lo dst_sel:DWORD dst_unused:UNUSED_PAD src0_sel:DWORD src1_sel:WORD_1
	v_add_co_ci_u32_e64 v1, null, s9, 0, s0
	s_cbranch_scc1 .LBB31_2140
; %bb.2020:
	s_and_b32 s2, 0xffff, s6
	s_mov_b32 s4, -1
	s_mov_b32 s3, 0
	s_cmp_gt_i32 s2, 25
	s_mov_b32 s0, 0
	s_cbranch_scc0 .LBB31_2053
; %bb.2021:
	s_cmp_gt_i32 s2, 28
	s_cbranch_scc0 .LBB31_2037
; %bb.2022:
	s_cmp_gt_i32 s2, 43
	s_cbranch_scc0 .LBB31_2033
; %bb.2023:
	s_cmp_gt_i32 s2, 45
	s_cbranch_scc0 .LBB31_2027
; %bb.2024:
	s_cmp_eq_u32 s2, 46
	s_mov_b32 s0, -1
	s_cbranch_scc0 .LBB31_2026
; %bb.2025:
	v_and_b32_e32 v3, 0xffff, v2
	s_mov_b32 s0, 0
	global_store_dword v[0:1], v3, off
.LBB31_2026:
	s_mov_b32 s4, 0
.LBB31_2027:
	s_and_b32 vcc_lo, exec_lo, s4
	s_cbranch_vccz .LBB31_2032
; %bb.2028:
	s_cmp_eq_u32 s2, 44
	s_mov_b32 s0, -1
	s_cbranch_scc0 .LBB31_2032
; %bb.2029:
	v_and_b32_e32 v3, 0xffff, v2
	v_mov_b32_e32 v4, 0xff
	s_mov_b32 s4, exec_lo
	v_bfe_u32 v5, v3, 7, 8
	v_cmpx_ne_u32_e32 0xff, v5
	s_cbranch_execz .LBB31_2031
; %bb.2030:
	v_lshlrev_b32_e32 v4, 16, v3
	v_and_b32_e32 v6, 64, v3
	v_lshrrev_b32_e32 v3, 7, v3
	v_and_or_b32 v4, 0x3f0000, v4, v5
	v_cmp_ne_u32_e32 vcc_lo, 0, v6
	v_cmp_ne_u32_e64 s0, 0, v4
	s_and_b32 s0, vcc_lo, s0
	v_cndmask_b32_e64 v4, 0, 1, s0
	v_add_nc_u32_e32 v4, v3, v4
.LBB31_2031:
	s_or_b32 exec_lo, exec_lo, s4
	s_mov_b32 s0, 0
	global_store_byte v[0:1], v4, off
.LBB31_2032:
	s_mov_b32 s4, 0
.LBB31_2033:
	s_and_b32 vcc_lo, exec_lo, s4
	s_cbranch_vccz .LBB31_2036
; %bb.2034:
	s_cmp_eq_u32 s2, 29
	s_mov_b32 s0, -1
	s_cbranch_scc0 .LBB31_2036
; %bb.2035:
	v_lshlrev_b32_e32 v3, 16, v2
	s_mov_b32 s0, 0
	v_trunc_f32_e32 v3, v3
	v_mul_f32_e32 v4, 0x2f800000, v3
	v_floor_f32_e32 v4, v4
	v_fmamk_f32 v3, v4, 0xcf800000, v3
	v_cvt_u32_f32_e32 v4, v4
	v_cvt_u32_f32_e32 v3, v3
	global_store_dwordx2 v[0:1], v[3:4], off
.LBB31_2036:
	s_mov_b32 s4, 0
.LBB31_2037:
	s_and_b32 vcc_lo, exec_lo, s4
	s_cbranch_vccz .LBB31_2052
; %bb.2038:
	s_cmp_lt_i32 s2, 27
	s_mov_b32 s4, -1
	s_cbranch_scc1 .LBB31_2044
; %bb.2039:
	s_cmp_gt_i32 s2, 27
	s_cbranch_scc0 .LBB31_2041
; %bb.2040:
	v_lshlrev_b32_e32 v3, 16, v2
	s_mov_b32 s4, 0
	v_cvt_u32_f32_e32 v3, v3
	global_store_dword v[0:1], v3, off
.LBB31_2041:
	s_andn2_b32 vcc_lo, exec_lo, s4
	s_cbranch_vccnz .LBB31_2043
; %bb.2042:
	v_lshlrev_b32_e32 v3, 16, v2
	v_cvt_u32_f32_e32 v3, v3
	global_store_short v[0:1], v3, off
.LBB31_2043:
	s_mov_b32 s4, 0
.LBB31_2044:
	s_andn2_b32 vcc_lo, exec_lo, s4
	s_cbranch_vccnz .LBB31_2052
; %bb.2045:
	v_lshlrev_b32_e32 v5, 16, v2
	v_mov_b32_e32 v6, 0x80
	s_mov_b32 s4, exec_lo
	v_and_b32_e32 v4, 0x7fffffff, v5
	v_cmpx_gt_u32_e32 0x43800000, v4
	s_cbranch_execz .LBB31_2051
; %bb.2046:
	v_and_b32_e32 v3, 0xffff, v2
	v_cmp_lt_u32_e32 vcc_lo, 0x3bffffff, v4
	s_mov_b32 s5, 0
                                        ; implicit-def: $vgpr4
	s_and_saveexec_b32 s7, vcc_lo
	s_xor_b32 s7, exec_lo, s7
	s_cbranch_execz .LBB31_2157
; %bb.2047:
	v_bfe_u32 v4, v3, 4, 1
	s_mov_b32 s5, exec_lo
	v_add3_u32 v4, v5, v4, 0x487ffff
                                        ; implicit-def: $vgpr5
	v_lshrrev_b32_e32 v4, 20, v4
	s_andn2_saveexec_b32 s7, s7
	s_cbranch_execnz .LBB31_2158
.LBB31_2048:
	s_or_b32 exec_lo, exec_lo, s7
	v_mov_b32_e32 v6, 0
	s_and_saveexec_b32 s7, s5
.LBB31_2049:
	v_lshrrev_b32_e32 v3, 8, v3
	v_and_or_b32 v6, 0x80, v3, v4
.LBB31_2050:
	s_or_b32 exec_lo, exec_lo, s7
.LBB31_2051:
	s_or_b32 exec_lo, exec_lo, s4
	global_store_byte v[0:1], v6, off
.LBB31_2052:
	s_mov_b32 s4, 0
.LBB31_2053:
	s_and_b32 vcc_lo, exec_lo, s4
	s_cbranch_vccz .LBB31_2093
; %bb.2054:
	s_cmp_gt_i32 s2, 22
	s_mov_b32 s3, -1
	s_cbranch_scc0 .LBB31_2086
; %bb.2055:
	s_cmp_lt_i32 s2, 24
	s_cbranch_scc1 .LBB31_2075
; %bb.2056:
	s_cmp_gt_i32 s2, 24
	s_cbranch_scc0 .LBB31_2064
; %bb.2057:
	v_lshlrev_b32_e32 v5, 16, v2
	v_mov_b32_e32 v6, 0x80
	s_mov_b32 s3, exec_lo
	v_and_b32_e32 v4, 0x7fffffff, v5
	v_cmpx_gt_u32_e32 0x47800000, v4
	s_cbranch_execz .LBB31_2063
; %bb.2058:
	v_and_b32_e32 v3, 0xffff, v2
	v_cmp_lt_u32_e32 vcc_lo, 0x37ffffff, v4
	s_mov_b32 s4, 0
                                        ; implicit-def: $vgpr4
	s_and_saveexec_b32 s5, vcc_lo
	s_xor_b32 s5, exec_lo, s5
	s_cbranch_execz .LBB31_2160
; %bb.2059:
	v_bfe_u32 v4, v3, 5, 1
	s_mov_b32 s4, exec_lo
	v_add3_u32 v4, v5, v4, 0x88fffff
                                        ; implicit-def: $vgpr5
	v_lshrrev_b32_e32 v4, 21, v4
	s_andn2_saveexec_b32 s5, s5
	s_cbranch_execnz .LBB31_2161
.LBB31_2060:
	s_or_b32 exec_lo, exec_lo, s5
	v_mov_b32_e32 v6, 0
	s_and_saveexec_b32 s5, s4
.LBB31_2061:
	v_lshrrev_b32_e32 v3, 8, v3
	v_and_or_b32 v6, 0x80, v3, v4
.LBB31_2062:
	s_or_b32 exec_lo, exec_lo, s5
.LBB31_2063:
	s_or_b32 exec_lo, exec_lo, s3
	s_mov_b32 s3, 0
	global_store_byte v[0:1], v6, off
.LBB31_2064:
	s_and_b32 vcc_lo, exec_lo, s3
	s_cbranch_vccz .LBB31_2074
; %bb.2065:
	v_lshlrev_b32_e32 v5, 16, v2
	v_and_b32_e32 v3, 0xffff, v2
	s_mov_b32 s3, exec_lo
                                        ; implicit-def: $vgpr4
	v_and_b32_e32 v6, 0x7fffffff, v5
	v_cmpx_gt_u32_e32 0x43f00000, v6
	s_xor_b32 s3, exec_lo, s3
	s_cbranch_execz .LBB31_2071
; %bb.2066:
	s_mov_b32 s4, exec_lo
                                        ; implicit-def: $vgpr4
	v_cmpx_lt_u32_e32 0x3c7fffff, v6
	s_xor_b32 s4, exec_lo, s4
; %bb.2067:
	v_bfe_u32 v4, v3, 4, 1
	v_add3_u32 v4, v5, v4, 0x407ffff
	v_and_b32_e32 v5, 0xff00000, v4
	v_lshrrev_b32_e32 v4, 20, v4
	v_cmp_ne_u32_e32 vcc_lo, 0x7f00000, v5
                                        ; implicit-def: $vgpr5
	v_cndmask_b32_e32 v4, 0x7e, v4, vcc_lo
; %bb.2068:
	s_andn2_saveexec_b32 s4, s4
; %bb.2069:
	v_add_f32_e64 v4, 0x46800000, |v5|
; %bb.2070:
	s_or_b32 exec_lo, exec_lo, s4
                                        ; implicit-def: $vgpr6
.LBB31_2071:
	s_andn2_saveexec_b32 s3, s3
; %bb.2072:
	v_mov_b32_e32 v4, 0x7f
	v_cmp_lt_u32_e32 vcc_lo, 0x7f800000, v6
	v_cndmask_b32_e32 v4, 0x7e, v4, vcc_lo
; %bb.2073:
	s_or_b32 exec_lo, exec_lo, s3
	v_lshrrev_b32_e32 v3, 8, v3
	v_and_or_b32 v3, 0x80, v3, v4
	global_store_byte v[0:1], v3, off
.LBB31_2074:
	s_mov_b32 s3, 0
.LBB31_2075:
	s_andn2_b32 vcc_lo, exec_lo, s3
	s_cbranch_vccnz .LBB31_2085
; %bb.2076:
	v_lshlrev_b32_e32 v5, 16, v2
	v_and_b32_e32 v3, 0xffff, v2
	s_mov_b32 s3, exec_lo
                                        ; implicit-def: $vgpr4
	v_and_b32_e32 v6, 0x7fffffff, v5
	v_cmpx_gt_u32_e32 0x47800000, v6
	s_xor_b32 s3, exec_lo, s3
	s_cbranch_execz .LBB31_2082
; %bb.2077:
	s_mov_b32 s4, exec_lo
                                        ; implicit-def: $vgpr4
	v_cmpx_lt_u32_e32 0x387fffff, v6
	s_xor_b32 s4, exec_lo, s4
; %bb.2078:
	v_bfe_u32 v4, v3, 5, 1
	v_add3_u32 v4, v5, v4, 0x80fffff
                                        ; implicit-def: $vgpr5
	v_lshrrev_b32_e32 v4, 21, v4
; %bb.2079:
	s_andn2_saveexec_b32 s4, s4
; %bb.2080:
	v_add_f32_e64 v4, 0x43000000, |v5|
; %bb.2081:
	s_or_b32 exec_lo, exec_lo, s4
                                        ; implicit-def: $vgpr6
.LBB31_2082:
	s_andn2_saveexec_b32 s3, s3
; %bb.2083:
	v_mov_b32_e32 v4, 0x7f
	v_cmp_lt_u32_e32 vcc_lo, 0x7f800000, v6
	v_cndmask_b32_e32 v4, 0x7c, v4, vcc_lo
; %bb.2084:
	s_or_b32 exec_lo, exec_lo, s3
	v_lshrrev_b32_e32 v3, 8, v3
	v_and_or_b32 v3, 0x80, v3, v4
	global_store_byte v[0:1], v3, off
.LBB31_2085:
	s_mov_b32 s3, 0
.LBB31_2086:
	s_andn2_b32 vcc_lo, exec_lo, s3
	s_mov_b32 s3, 0
	s_cbranch_vccnz .LBB31_2093
; %bb.2087:
	s_cmp_gt_i32 s2, 14
	s_mov_b32 s3, -1
	s_cbranch_scc0 .LBB31_2091
; %bb.2088:
	s_cmp_eq_u32 s2, 15
	s_mov_b32 s0, -1
	s_cbranch_scc0 .LBB31_2090
; %bb.2089:
	s_mov_b32 s0, 0
	global_store_short v[0:1], v2, off
.LBB31_2090:
	s_mov_b32 s3, 0
.LBB31_2091:
	s_and_b32 vcc_lo, exec_lo, s3
	s_mov_b32 s3, 0
	s_cbranch_vccz .LBB31_2093
; %bb.2092:
	s_cmp_lg_u32 s2, 11
	s_mov_b32 s3, -1
	s_cselect_b32 s0, -1, 0
.LBB31_2093:
	s_and_b32 vcc_lo, exec_lo, s0
	s_cbranch_vccnz .LBB31_2159
.LBB31_2094:
	s_mov_b32 s0, 0
	s_branch .LBB31_2096
.LBB31_2095:
	s_mov_b32 s0, 0
	s_mov_b32 s3, 0
                                        ; implicit-def: $vgpr0_vgpr1
                                        ; implicit-def: $sgpr6
                                        ; implicit-def: $vgpr2
.LBB31_2096:
	s_andn2_b32 s2, s12, exec_lo
	s_and_b32 s1, s1, exec_lo
	s_and_b32 s0, s0, exec_lo
	;; [unrolled: 1-line block ×3, first 2 shown]
	s_or_b32 s12, s2, s1
.LBB31_2097:
	s_or_b32 exec_lo, exec_lo, s13
	s_and_saveexec_b32 s1, s12
	s_cbranch_execz .LBB31_2100
; %bb.2098:
	; divergent unreachable
	s_or_b32 exec_lo, exec_lo, s1
	s_and_saveexec_b32 s1, s26
	s_xor_b32 s1, exec_lo, s1
	s_cbranch_execnz .LBB31_2101
.LBB31_2099:
	s_or_b32 exec_lo, exec_lo, s1
	s_and_saveexec_b32 s1, s0
	s_cbranch_execnz .LBB31_2102
	s_branch .LBB31_2139
.LBB31_2100:
	s_or_b32 exec_lo, exec_lo, s1
	s_and_saveexec_b32 s1, s26
	s_xor_b32 s1, exec_lo, s1
	s_cbranch_execz .LBB31_2099
.LBB31_2101:
	s_waitcnt vmcnt(0)
	v_and_b32_e32 v3, 0x7fff, v2
	v_cmp_ne_u16_e32 vcc_lo, 0, v3
	v_cndmask_b32_e64 v3, 0, 1, vcc_lo
	global_store_byte v[0:1], v3, off
	s_or_b32 exec_lo, exec_lo, s1
	s_and_saveexec_b32 s1, s0
	s_cbranch_execz .LBB31_2139
.LBB31_2102:
	s_sext_i32_i16 s1, s6
	s_mov_b32 s0, -1
	s_cmp_lt_i32 s1, 5
	s_cbranch_scc1 .LBB31_2123
; %bb.2103:
	s_cmp_lt_i32 s1, 8
	s_cbranch_scc1 .LBB31_2113
; %bb.2104:
	;; [unrolled: 3-line block ×3, first 2 shown]
	s_cmp_gt_i32 s1, 9
	s_cbranch_scc0 .LBB31_2107
; %bb.2106:
	s_waitcnt vmcnt(0)
	v_lshlrev_b32_e32 v3, 16, v2
	v_mov_b32_e32 v5, 0
	s_mov_b32 s0, 0
	v_cvt_f64_f32_e32 v[3:4], v3
	v_mov_b32_e32 v6, v5
	global_store_dwordx4 v[0:1], v[3:6], off
.LBB31_2107:
	s_andn2_b32 vcc_lo, exec_lo, s0
	s_cbranch_vccnz .LBB31_2109
; %bb.2108:
	s_waitcnt vmcnt(0)
	v_lshlrev_b32_e32 v3, 16, v2
	v_mov_b32_e32 v4, 0
	global_store_dwordx2 v[0:1], v[3:4], off
.LBB31_2109:
	s_mov_b32 s0, 0
.LBB31_2110:
	s_andn2_b32 vcc_lo, exec_lo, s0
	s_cbranch_vccnz .LBB31_2112
; %bb.2111:
	s_waitcnt vmcnt(0)
	v_lshlrev_b32_e32 v3, 16, v2
	v_cvt_f16_f32_e32 v3, v3
	v_and_b32_e32 v3, 0xffff, v3
	global_store_dword v[0:1], v3, off
.LBB31_2112:
	s_mov_b32 s0, 0
.LBB31_2113:
	s_andn2_b32 vcc_lo, exec_lo, s0
	s_cbranch_vccnz .LBB31_2122
; %bb.2114:
	s_sext_i32_i16 s1, s6
	s_mov_b32 s0, -1
	s_cmp_lt_i32 s1, 6
	s_cbranch_scc1 .LBB31_2120
; %bb.2115:
	s_cmp_gt_i32 s1, 6
	s_cbranch_scc0 .LBB31_2117
; %bb.2116:
	s_waitcnt vmcnt(0)
	v_lshlrev_b32_e32 v3, 16, v2
	s_mov_b32 s0, 0
	v_cvt_f64_f32_e32 v[3:4], v3
	global_store_dwordx2 v[0:1], v[3:4], off
.LBB31_2117:
	s_andn2_b32 vcc_lo, exec_lo, s0
	s_cbranch_vccnz .LBB31_2119
; %bb.2118:
	s_waitcnt vmcnt(0)
	v_lshlrev_b32_e32 v3, 16, v2
	global_store_dword v[0:1], v3, off
.LBB31_2119:
	s_mov_b32 s0, 0
.LBB31_2120:
	s_andn2_b32 vcc_lo, exec_lo, s0
	s_cbranch_vccnz .LBB31_2122
; %bb.2121:
	s_waitcnt vmcnt(0)
	v_lshlrev_b32_e32 v3, 16, v2
	v_cvt_f16_f32_e32 v3, v3
	global_store_short v[0:1], v3, off
.LBB31_2122:
	s_mov_b32 s0, 0
.LBB31_2123:
	s_andn2_b32 vcc_lo, exec_lo, s0
	s_cbranch_vccnz .LBB31_2139
; %bb.2124:
	s_sext_i32_i16 s1, s6
	s_mov_b32 s0, -1
	s_cmp_lt_i32 s1, 2
	s_cbranch_scc1 .LBB31_2134
; %bb.2125:
	s_cmp_lt_i32 s1, 3
	s_cbranch_scc1 .LBB31_2131
; %bb.2126:
	s_cmp_gt_i32 s1, 3
	s_cbranch_scc0 .LBB31_2128
; %bb.2127:
	s_waitcnt vmcnt(0)
	v_lshlrev_b32_e32 v3, 16, v2
	s_mov_b32 s0, 0
	v_trunc_f32_e32 v3, v3
	v_mul_f32_e64 v4, 0x2f800000, |v3|
	v_ashrrev_i32_e32 v6, 31, v3
	v_floor_f32_e32 v4, v4
	v_fma_f32 v5, 0xcf800000, v4, |v3|
	v_cvt_u32_f32_e32 v4, v4
	v_cvt_u32_f32_e32 v3, v5
	v_xor_b32_e32 v4, v4, v6
	v_xor_b32_e32 v3, v3, v6
	v_sub_co_u32 v3, vcc_lo, v3, v6
	v_sub_co_ci_u32_e64 v4, null, v4, v6, vcc_lo
	global_store_dwordx2 v[0:1], v[3:4], off
.LBB31_2128:
	s_andn2_b32 vcc_lo, exec_lo, s0
	s_cbranch_vccnz .LBB31_2130
; %bb.2129:
	s_waitcnt vmcnt(0)
	v_lshlrev_b32_e32 v3, 16, v2
	v_cvt_i32_f32_e32 v3, v3
	global_store_dword v[0:1], v3, off
.LBB31_2130:
	s_mov_b32 s0, 0
.LBB31_2131:
	s_andn2_b32 vcc_lo, exec_lo, s0
	s_cbranch_vccnz .LBB31_2133
; %bb.2132:
	s_waitcnt vmcnt(0)
	v_lshlrev_b32_e32 v3, 16, v2
	v_cvt_i32_f32_e32 v3, v3
	global_store_short v[0:1], v3, off
.LBB31_2133:
	s_mov_b32 s0, 0
.LBB31_2134:
	s_andn2_b32 vcc_lo, exec_lo, s0
	s_cbranch_vccnz .LBB31_2139
; %bb.2135:
	s_sext_i32_i16 s0, s6
	s_cmp_gt_i32 s0, 0
	s_mov_b32 s0, -1
	s_cbranch_scc0 .LBB31_2137
; %bb.2136:
	s_waitcnt vmcnt(0)
	v_lshlrev_b32_e32 v3, 16, v2
	s_mov_b32 s0, 0
	v_cvt_i32_f32_e32 v3, v3
	global_store_byte v[0:1], v3, off
.LBB31_2137:
	s_andn2_b32 vcc_lo, exec_lo, s0
	s_cbranch_vccnz .LBB31_2139
; %bb.2138:
	v_lshlrev_b32_e32 v2, 16, v2
	v_trunc_f32_e32 v2, v2
	s_waitcnt vmcnt(0)
	v_mul_f32_e64 v3, 0x2f800000, |v2|
	v_floor_f32_e32 v3, v3
	v_fma_f32 v3, 0xcf800000, v3, |v2|
	v_ashrrev_i32_e32 v2, 31, v2
	v_cvt_u32_f32_e32 v3, v3
	v_xor_b32_e32 v3, v3, v2
	v_sub_nc_u32_e32 v2, v3, v2
	global_store_byte v[0:1], v2, off
	s_endpgm
.LBB31_2139:
	s_endpgm
.LBB31_2140:
	s_mov_b32 s3, 0
	s_mov_b32 s0, -1
	s_branch .LBB31_2096
.LBB31_2141:
	s_or_b32 s1, s1, exec_lo
	s_trap 2
	s_cbranch_execz .LBB31_1610
	s_branch .LBB31_1611
.LBB31_2142:
	s_andn2_saveexec_b32 s10, s10
	s_cbranch_execz .LBB31_1690
.LBB31_2143:
	v_add_f32_e64 v8, 0x46000000, |v11|
	s_andn2_b32 s7, s7, exec_lo
	v_and_b32_e32 v8, 0xff, v8
	v_cmp_ne_u32_e32 vcc_lo, 0, v8
	s_and_b32 s11, vcc_lo, exec_lo
	s_or_b32 s7, s7, s11
	s_or_b32 exec_lo, exec_lo, s10
	v_mov_b32_e32 v12, 0
	s_and_saveexec_b32 s10, s7
	s_cbranch_execnz .LBB31_1691
	s_branch .LBB31_1692
.LBB31_2144:
	s_or_b32 s1, s1, exec_lo
	s_trap 2
	s_cbranch_execz .LBB31_1738
	s_branch .LBB31_1739
.LBB31_2145:
	s_andn2_saveexec_b32 s7, s7
	s_cbranch_execz .LBB31_1703
.LBB31_2146:
	v_add_f32_e64 v8, 0x42800000, |v11|
	s_andn2_b32 s6, s6, exec_lo
	v_and_b32_e32 v8, 0xff, v8
	v_cmp_ne_u32_e32 vcc_lo, 0, v8
	s_and_b32 s10, vcc_lo, exec_lo
	s_or_b32 s6, s6, s10
	s_or_b32 exec_lo, exec_lo, s7
	v_mov_b32_e32 v12, 0
	s_and_saveexec_b32 s7, s6
	s_cbranch_execnz .LBB31_1704
	s_branch .LBB31_1705
.LBB31_2147:
	s_andn2_saveexec_b32 s7, s7
	s_cbranch_execz .LBB31_1809
.LBB31_2148:
	v_add_f32_e64 v6, 0x46000000, |v7|
	s_andn2_b32 s5, s5, exec_lo
	v_and_b32_e32 v6, 0xff, v6
	v_cmp_ne_u32_e32 vcc_lo, 0, v6
	s_and_b32 s10, vcc_lo, exec_lo
	s_or_b32 s5, s5, s10
	s_or_b32 exec_lo, exec_lo, s7
	v_mov_b32_e32 v8, 0
	s_and_saveexec_b32 s7, s5
	s_cbranch_execnz .LBB31_1810
	s_branch .LBB31_1811
.LBB31_2149:
	s_or_b32 s1, s1, exec_lo
	s_trap 2
	s_cbranch_execz .LBB31_1857
	s_branch .LBB31_1858
.LBB31_2150:
	s_andn2_saveexec_b32 s5, s5
	s_cbranch_execz .LBB31_1822
.LBB31_2151:
	v_add_f32_e64 v6, 0x42800000, |v7|
	s_andn2_b32 s4, s4, exec_lo
	v_and_b32_e32 v6, 0xff, v6
	v_cmp_ne_u32_e32 vcc_lo, 0, v6
	s_and_b32 s7, vcc_lo, exec_lo
	s_or_b32 s4, s4, s7
	s_or_b32 exec_lo, exec_lo, s5
	v_mov_b32_e32 v8, 0
	s_and_saveexec_b32 s5, s4
	s_cbranch_execnz .LBB31_1823
	s_branch .LBB31_1824
.LBB31_2152:
	s_andn2_saveexec_b32 s7, s7
	s_cbranch_execz .LBB31_1928
.LBB31_2153:
	v_add_f32_e64 v5, 0x46000000, |v6|
	s_andn2_b32 s5, s5, exec_lo
	v_and_b32_e32 v5, 0xff, v5
	v_cmp_ne_u32_e32 vcc_lo, 0, v5
	s_and_b32 s10, vcc_lo, exec_lo
	s_or_b32 s5, s5, s10
	s_or_b32 exec_lo, exec_lo, s7
	v_mov_b32_e32 v7, 0
	s_and_saveexec_b32 s7, s5
	s_cbranch_execnz .LBB31_1929
	s_branch .LBB31_1930
.LBB31_2154:
	s_or_b32 s1, s1, exec_lo
	s_trap 2
	s_cbranch_execz .LBB31_1976
	s_branch .LBB31_1977
.LBB31_2155:
	s_andn2_saveexec_b32 s5, s5
	s_cbranch_execz .LBB31_1941
.LBB31_2156:
	v_add_f32_e64 v5, 0x42800000, |v6|
	s_andn2_b32 s4, s4, exec_lo
	v_and_b32_e32 v5, 0xff, v5
	v_cmp_ne_u32_e32 vcc_lo, 0, v5
	s_and_b32 s7, vcc_lo, exec_lo
	s_or_b32 s4, s4, s7
	s_or_b32 exec_lo, exec_lo, s5
	v_mov_b32_e32 v7, 0
	s_and_saveexec_b32 s5, s4
	s_cbranch_execnz .LBB31_1942
	s_branch .LBB31_1943
.LBB31_2157:
	s_andn2_saveexec_b32 s7, s7
	s_cbranch_execz .LBB31_2048
.LBB31_2158:
	v_add_f32_e64 v4, 0x46000000, |v5|
	s_andn2_b32 s5, s5, exec_lo
	v_and_b32_e32 v4, 0xff, v4
	v_cmp_ne_u32_e32 vcc_lo, 0, v4
	s_and_b32 s8, vcc_lo, exec_lo
	s_or_b32 s5, s5, s8
	s_or_b32 exec_lo, exec_lo, s7
	v_mov_b32_e32 v6, 0
	s_and_saveexec_b32 s7, s5
	s_cbranch_execnz .LBB31_2049
	s_branch .LBB31_2050
.LBB31_2159:
	s_mov_b32 s3, 0
	s_or_b32 s1, s1, exec_lo
	s_trap 2
	s_branch .LBB31_2094
.LBB31_2160:
	s_andn2_saveexec_b32 s5, s5
	s_cbranch_execz .LBB31_2060
.LBB31_2161:
	v_add_f32_e64 v4, 0x42800000, |v5|
	s_andn2_b32 s4, s4, exec_lo
	v_and_b32_e32 v4, 0xff, v4
	v_cmp_ne_u32_e32 vcc_lo, 0, v4
	s_and_b32 s7, vcc_lo, exec_lo
	s_or_b32 s4, s4, s7
	s_or_b32 exec_lo, exec_lo, s5
	v_mov_b32_e32 v6, 0
	s_and_saveexec_b32 s5, s4
	s_cbranch_execnz .LBB31_2061
	s_branch .LBB31_2062
	.section	.rodata,"a",@progbits
	.p2align	6, 0x0
	.amdhsa_kernel _ZN2at6native32elementwise_kernel_manual_unrollILi128ELi4EZNS0_15gpu_kernel_implIZZZNS0_16atan_kernel_cudaERNS_18TensorIteratorBaseEENKUlvE0_clEvENKUlvE2_clEvEUlN3c108BFloat16EE_EEvS4_RKT_EUlibE0_EEviT1_
		.amdhsa_group_segment_fixed_size 0
		.amdhsa_private_segment_fixed_size 0
		.amdhsa_kernarg_size 360
		.amdhsa_user_sgpr_count 6
		.amdhsa_user_sgpr_private_segment_buffer 1
		.amdhsa_user_sgpr_dispatch_ptr 0
		.amdhsa_user_sgpr_queue_ptr 0
		.amdhsa_user_sgpr_kernarg_segment_ptr 1
		.amdhsa_user_sgpr_dispatch_id 0
		.amdhsa_user_sgpr_flat_scratch_init 0
		.amdhsa_user_sgpr_private_segment_size 0
		.amdhsa_wavefront_size32 1
		.amdhsa_uses_dynamic_stack 0
		.amdhsa_system_sgpr_private_segment_wavefront_offset 0
		.amdhsa_system_sgpr_workgroup_id_x 1
		.amdhsa_system_sgpr_workgroup_id_y 0
		.amdhsa_system_sgpr_workgroup_id_z 0
		.amdhsa_system_sgpr_workgroup_info 0
		.amdhsa_system_vgpr_workitem_id 0
		.amdhsa_next_free_vgpr 18
		.amdhsa_next_free_sgpr 68
		.amdhsa_reserve_vcc 1
		.amdhsa_reserve_flat_scratch 0
		.amdhsa_float_round_mode_32 0
		.amdhsa_float_round_mode_16_64 0
		.amdhsa_float_denorm_mode_32 3
		.amdhsa_float_denorm_mode_16_64 3
		.amdhsa_dx10_clamp 1
		.amdhsa_ieee_mode 1
		.amdhsa_fp16_overflow 0
		.amdhsa_workgroup_processor_mode 1
		.amdhsa_memory_ordered 1
		.amdhsa_forward_progress 1
		.amdhsa_shared_vgpr_count 0
		.amdhsa_exception_fp_ieee_invalid_op 0
		.amdhsa_exception_fp_denorm_src 0
		.amdhsa_exception_fp_ieee_div_zero 0
		.amdhsa_exception_fp_ieee_overflow 0
		.amdhsa_exception_fp_ieee_underflow 0
		.amdhsa_exception_fp_ieee_inexact 0
		.amdhsa_exception_int_div_zero 0
	.end_amdhsa_kernel
	.section	.text._ZN2at6native32elementwise_kernel_manual_unrollILi128ELi4EZNS0_15gpu_kernel_implIZZZNS0_16atan_kernel_cudaERNS_18TensorIteratorBaseEENKUlvE0_clEvENKUlvE2_clEvEUlN3c108BFloat16EE_EEvS4_RKT_EUlibE0_EEviT1_,"axG",@progbits,_ZN2at6native32elementwise_kernel_manual_unrollILi128ELi4EZNS0_15gpu_kernel_implIZZZNS0_16atan_kernel_cudaERNS_18TensorIteratorBaseEENKUlvE0_clEvENKUlvE2_clEvEUlN3c108BFloat16EE_EEvS4_RKT_EUlibE0_EEviT1_,comdat
.Lfunc_end31:
	.size	_ZN2at6native32elementwise_kernel_manual_unrollILi128ELi4EZNS0_15gpu_kernel_implIZZZNS0_16atan_kernel_cudaERNS_18TensorIteratorBaseEENKUlvE0_clEvENKUlvE2_clEvEUlN3c108BFloat16EE_EEvS4_RKT_EUlibE0_EEviT1_, .Lfunc_end31-_ZN2at6native32elementwise_kernel_manual_unrollILi128ELi4EZNS0_15gpu_kernel_implIZZZNS0_16atan_kernel_cudaERNS_18TensorIteratorBaseEENKUlvE0_clEvENKUlvE2_clEvEUlN3c108BFloat16EE_EEvS4_RKT_EUlibE0_EEviT1_
                                        ; -- End function
	.set _ZN2at6native32elementwise_kernel_manual_unrollILi128ELi4EZNS0_15gpu_kernel_implIZZZNS0_16atan_kernel_cudaERNS_18TensorIteratorBaseEENKUlvE0_clEvENKUlvE2_clEvEUlN3c108BFloat16EE_EEvS4_RKT_EUlibE0_EEviT1_.num_vgpr, 18
	.set _ZN2at6native32elementwise_kernel_manual_unrollILi128ELi4EZNS0_15gpu_kernel_implIZZZNS0_16atan_kernel_cudaERNS_18TensorIteratorBaseEENKUlvE0_clEvENKUlvE2_clEvEUlN3c108BFloat16EE_EEvS4_RKT_EUlibE0_EEviT1_.num_agpr, 0
	.set _ZN2at6native32elementwise_kernel_manual_unrollILi128ELi4EZNS0_15gpu_kernel_implIZZZNS0_16atan_kernel_cudaERNS_18TensorIteratorBaseEENKUlvE0_clEvENKUlvE2_clEvEUlN3c108BFloat16EE_EEvS4_RKT_EUlibE0_EEviT1_.numbered_sgpr, 68
	.set _ZN2at6native32elementwise_kernel_manual_unrollILi128ELi4EZNS0_15gpu_kernel_implIZZZNS0_16atan_kernel_cudaERNS_18TensorIteratorBaseEENKUlvE0_clEvENKUlvE2_clEvEUlN3c108BFloat16EE_EEvS4_RKT_EUlibE0_EEviT1_.num_named_barrier, 0
	.set _ZN2at6native32elementwise_kernel_manual_unrollILi128ELi4EZNS0_15gpu_kernel_implIZZZNS0_16atan_kernel_cudaERNS_18TensorIteratorBaseEENKUlvE0_clEvENKUlvE2_clEvEUlN3c108BFloat16EE_EEvS4_RKT_EUlibE0_EEviT1_.private_seg_size, 0
	.set _ZN2at6native32elementwise_kernel_manual_unrollILi128ELi4EZNS0_15gpu_kernel_implIZZZNS0_16atan_kernel_cudaERNS_18TensorIteratorBaseEENKUlvE0_clEvENKUlvE2_clEvEUlN3c108BFloat16EE_EEvS4_RKT_EUlibE0_EEviT1_.uses_vcc, 1
	.set _ZN2at6native32elementwise_kernel_manual_unrollILi128ELi4EZNS0_15gpu_kernel_implIZZZNS0_16atan_kernel_cudaERNS_18TensorIteratorBaseEENKUlvE0_clEvENKUlvE2_clEvEUlN3c108BFloat16EE_EEvS4_RKT_EUlibE0_EEviT1_.uses_flat_scratch, 0
	.set _ZN2at6native32elementwise_kernel_manual_unrollILi128ELi4EZNS0_15gpu_kernel_implIZZZNS0_16atan_kernel_cudaERNS_18TensorIteratorBaseEENKUlvE0_clEvENKUlvE2_clEvEUlN3c108BFloat16EE_EEvS4_RKT_EUlibE0_EEviT1_.has_dyn_sized_stack, 0
	.set _ZN2at6native32elementwise_kernel_manual_unrollILi128ELi4EZNS0_15gpu_kernel_implIZZZNS0_16atan_kernel_cudaERNS_18TensorIteratorBaseEENKUlvE0_clEvENKUlvE2_clEvEUlN3c108BFloat16EE_EEvS4_RKT_EUlibE0_EEviT1_.has_recursion, 0
	.set _ZN2at6native32elementwise_kernel_manual_unrollILi128ELi4EZNS0_15gpu_kernel_implIZZZNS0_16atan_kernel_cudaERNS_18TensorIteratorBaseEENKUlvE0_clEvENKUlvE2_clEvEUlN3c108BFloat16EE_EEvS4_RKT_EUlibE0_EEviT1_.has_indirect_call, 0
	.section	.AMDGPU.csdata,"",@progbits
; Kernel info:
; codeLenInByte = 43796
; TotalNumSgprs: 70
; NumVgprs: 18
; ScratchSize: 0
; MemoryBound: 0
; FloatMode: 240
; IeeeMode: 1
; LDSByteSize: 0 bytes/workgroup (compile time only)
; SGPRBlocks: 0
; VGPRBlocks: 2
; NumSGPRsForWavesPerEU: 70
; NumVGPRsForWavesPerEU: 18
; Occupancy: 16
; WaveLimiterHint : 1
; COMPUTE_PGM_RSRC2:SCRATCH_EN: 0
; COMPUTE_PGM_RSRC2:USER_SGPR: 6
; COMPUTE_PGM_RSRC2:TRAP_HANDLER: 0
; COMPUTE_PGM_RSRC2:TGID_X_EN: 1
; COMPUTE_PGM_RSRC2:TGID_Y_EN: 0
; COMPUTE_PGM_RSRC2:TGID_Z_EN: 0
; COMPUTE_PGM_RSRC2:TIDIG_COMP_CNT: 0
	.section	.AMDGPU.gpr_maximums,"",@progbits
	.set amdgpu.max_num_vgpr, 0
	.set amdgpu.max_num_agpr, 0
	.set amdgpu.max_num_sgpr, 0
	.section	.AMDGPU.csdata,"",@progbits
	.type	__hip_cuid_f52587a6581fed2b,@object ; @__hip_cuid_f52587a6581fed2b
	.section	.bss,"aw",@nobits
	.globl	__hip_cuid_f52587a6581fed2b
__hip_cuid_f52587a6581fed2b:
	.byte	0                               ; 0x0
	.size	__hip_cuid_f52587a6581fed2b, 1

	.ident	"AMD clang version 22.0.0git (https://github.com/RadeonOpenCompute/llvm-project roc-7.2.4 26084 f58b06dce1f9c15707c5f808fd002e18c2accf7e)"
	.section	".note.GNU-stack","",@progbits
	.addrsig
	.addrsig_sym __hip_cuid_f52587a6581fed2b
	.amdgpu_metadata
---
amdhsa.kernels:
  - .args:
      - .offset:         0
        .size:           4
        .value_kind:     by_value
      - .offset:         4
        .size:           1
        .value_kind:     by_value
      - .offset:         8
        .size:           16
        .value_kind:     by_value
    .group_segment_fixed_size: 0
    .kernarg_segment_align: 8
    .kernarg_segment_size: 24
    .language:       OpenCL C
    .language_version:
      - 2
      - 0
    .max_flat_workgroup_size: 256
    .name:           _ZN2at6native29vectorized_elementwise_kernelILi16EZZZNS0_16atan_kernel_cudaERNS_18TensorIteratorBaseEENKUlvE0_clEvENKUlvE_clEvEUldE_St5arrayIPcLm2EEEEviT0_T1_
    .private_segment_fixed_size: 0
    .sgpr_count:     18
    .sgpr_spill_count: 0
    .symbol:         _ZN2at6native29vectorized_elementwise_kernelILi16EZZZNS0_16atan_kernel_cudaERNS_18TensorIteratorBaseEENKUlvE0_clEvENKUlvE_clEvEUldE_St5arrayIPcLm2EEEEviT0_T1_.kd
    .uniform_work_group_size: 1
    .uses_dynamic_stack: false
    .vgpr_count:     50
    .vgpr_spill_count: 0
    .wavefront_size: 32
    .workgroup_processor_mode: 1
  - .args:
      - .offset:         0
        .size:           4
        .value_kind:     by_value
      - .offset:         4
        .size:           1
        .value_kind:     by_value
      - .offset:         8
        .size:           16
        .value_kind:     by_value
    .group_segment_fixed_size: 0
    .kernarg_segment_align: 8
    .kernarg_segment_size: 24
    .language:       OpenCL C
    .language_version:
      - 2
      - 0
    .max_flat_workgroup_size: 256
    .name:           _ZN2at6native29vectorized_elementwise_kernelILi8EZZZNS0_16atan_kernel_cudaERNS_18TensorIteratorBaseEENKUlvE0_clEvENKUlvE_clEvEUldE_St5arrayIPcLm2EEEEviT0_T1_
    .private_segment_fixed_size: 0
    .sgpr_count:     18
    .sgpr_spill_count: 0
    .symbol:         _ZN2at6native29vectorized_elementwise_kernelILi8EZZZNS0_16atan_kernel_cudaERNS_18TensorIteratorBaseEENKUlvE0_clEvENKUlvE_clEvEUldE_St5arrayIPcLm2EEEEviT0_T1_.kd
    .uniform_work_group_size: 1
    .uses_dynamic_stack: false
    .vgpr_count:     50
    .vgpr_spill_count: 0
    .wavefront_size: 32
    .workgroup_processor_mode: 1
  - .args:
      - .offset:         0
        .size:           4
        .value_kind:     by_value
      - .offset:         4
        .size:           1
        .value_kind:     by_value
      - .offset:         8
        .size:           16
        .value_kind:     by_value
    .group_segment_fixed_size: 0
    .kernarg_segment_align: 8
    .kernarg_segment_size: 24
    .language:       OpenCL C
    .language_version:
      - 2
      - 0
    .max_flat_workgroup_size: 256
    .name:           _ZN2at6native29vectorized_elementwise_kernelILi4EZZZNS0_16atan_kernel_cudaERNS_18TensorIteratorBaseEENKUlvE0_clEvENKUlvE_clEvEUldE_St5arrayIPcLm2EEEEviT0_T1_
    .private_segment_fixed_size: 0
    .sgpr_count:     18
    .sgpr_spill_count: 0
    .symbol:         _ZN2at6native29vectorized_elementwise_kernelILi4EZZZNS0_16atan_kernel_cudaERNS_18TensorIteratorBaseEENKUlvE0_clEvENKUlvE_clEvEUldE_St5arrayIPcLm2EEEEviT0_T1_.kd
    .uniform_work_group_size: 1
    .uses_dynamic_stack: false
    .vgpr_count:     50
    .vgpr_spill_count: 0
    .wavefront_size: 32
    .workgroup_processor_mode: 1
  - .args:
      - .offset:         0
        .size:           4
        .value_kind:     by_value
      - .offset:         4
        .size:           1
        .value_kind:     by_value
      - .offset:         8
        .size:           16
        .value_kind:     by_value
    .group_segment_fixed_size: 0
    .kernarg_segment_align: 8
    .kernarg_segment_size: 24
    .language:       OpenCL C
    .language_version:
      - 2
      - 0
    .max_flat_workgroup_size: 256
    .name:           _ZN2at6native29vectorized_elementwise_kernelILi2EZZZNS0_16atan_kernel_cudaERNS_18TensorIteratorBaseEENKUlvE0_clEvENKUlvE_clEvEUldE_St5arrayIPcLm2EEEEviT0_T1_
    .private_segment_fixed_size: 0
    .sgpr_count:     18
    .sgpr_spill_count: 0
    .symbol:         _ZN2at6native29vectorized_elementwise_kernelILi2EZZZNS0_16atan_kernel_cudaERNS_18TensorIteratorBaseEENKUlvE0_clEvENKUlvE_clEvEUldE_St5arrayIPcLm2EEEEviT0_T1_.kd
    .uniform_work_group_size: 1
    .uses_dynamic_stack: false
    .vgpr_count:     50
    .vgpr_spill_count: 0
    .wavefront_size: 32
    .workgroup_processor_mode: 1
  - .args:
      - .offset:         0
        .size:           4
        .value_kind:     by_value
      - .offset:         4
        .size:           1
        .value_kind:     by_value
      - .offset:         8
        .size:           16
        .value_kind:     by_value
      - .offset:         24
        .size:           1
        .value_kind:     by_value
      - .offset:         25
        .size:           1
        .value_kind:     by_value
      - .offset:         26
        .size:           1
        .value_kind:     by_value
      - .offset:         27
        .size:           1
        .value_kind:     by_value
    .group_segment_fixed_size: 0
    .kernarg_segment_align: 8
    .kernarg_segment_size: 28
    .language:       OpenCL C
    .language_version:
      - 2
      - 0
    .max_flat_workgroup_size: 256
    .name:           _ZN2at6native27unrolled_elementwise_kernelIZZZNS0_16atan_kernel_cudaERNS_18TensorIteratorBaseEENKUlvE0_clEvENKUlvE_clEvEUldE_St5arrayIPcLm2EELi4E23TrivialOffsetCalculatorILi1EjESB_NS0_6memory15LoadWithoutCastENSC_16StoreWithoutCastEEEviT_T0_T2_T3_T4_T5_
    .private_segment_fixed_size: 0
    .sgpr_count:     14
    .sgpr_spill_count: 0
    .symbol:         _ZN2at6native27unrolled_elementwise_kernelIZZZNS0_16atan_kernel_cudaERNS_18TensorIteratorBaseEENKUlvE0_clEvENKUlvE_clEvEUldE_St5arrayIPcLm2EELi4E23TrivialOffsetCalculatorILi1EjESB_NS0_6memory15LoadWithoutCastENSC_16StoreWithoutCastEEEviT_T0_T2_T3_T4_T5_.kd
    .uniform_work_group_size: 1
    .uses_dynamic_stack: false
    .vgpr_count:     27
    .vgpr_spill_count: 0
    .wavefront_size: 32
    .workgroup_processor_mode: 1
  - .args:
      - .offset:         0
        .size:           4
        .value_kind:     by_value
      - .offset:         8
        .size:           352
        .value_kind:     by_value
    .group_segment_fixed_size: 0
    .kernarg_segment_align: 8
    .kernarg_segment_size: 360
    .language:       OpenCL C
    .language_version:
      - 2
      - 0
    .max_flat_workgroup_size: 128
    .name:           _ZN2at6native32elementwise_kernel_manual_unrollILi128ELi4EZNS0_22gpu_kernel_impl_nocastIZZZNS0_16atan_kernel_cudaERNS_18TensorIteratorBaseEENKUlvE0_clEvENKUlvE_clEvEUldE_EEvS4_RKT_EUlibE_EEviT1_
    .private_segment_fixed_size: 0
    .sgpr_count:     58
    .sgpr_spill_count: 0
    .symbol:         _ZN2at6native32elementwise_kernel_manual_unrollILi128ELi4EZNS0_22gpu_kernel_impl_nocastIZZZNS0_16atan_kernel_cudaERNS_18TensorIteratorBaseEENKUlvE0_clEvENKUlvE_clEvEUldE_EEvS4_RKT_EUlibE_EEviT1_.kd
    .uniform_work_group_size: 1
    .uses_dynamic_stack: false
    .vgpr_count:     52
    .vgpr_spill_count: 0
    .wavefront_size: 32
    .workgroup_processor_mode: 1
  - .args:
      - .offset:         0
        .size:           4
        .value_kind:     by_value
      - .offset:         8
        .size:           32
        .value_kind:     by_value
    .group_segment_fixed_size: 0
    .kernarg_segment_align: 8
    .kernarg_segment_size: 40
    .language:       OpenCL C
    .language_version:
      - 2
      - 0
    .max_flat_workgroup_size: 128
    .name:           _ZN2at6native32elementwise_kernel_manual_unrollILi128ELi4EZNS0_15gpu_kernel_implIZZZNS0_16atan_kernel_cudaERNS_18TensorIteratorBaseEENKUlvE0_clEvENKUlvE_clEvEUldE_EEvS4_RKT_EUlibE_EEviT1_
    .private_segment_fixed_size: 0
    .sgpr_count:     28
    .sgpr_spill_count: 0
    .symbol:         _ZN2at6native32elementwise_kernel_manual_unrollILi128ELi4EZNS0_15gpu_kernel_implIZZZNS0_16atan_kernel_cudaERNS_18TensorIteratorBaseEENKUlvE0_clEvENKUlvE_clEvEUldE_EEvS4_RKT_EUlibE_EEviT1_.kd
    .uniform_work_group_size: 1
    .uses_dynamic_stack: false
    .vgpr_count:     19
    .vgpr_spill_count: 0
    .wavefront_size: 32
    .workgroup_processor_mode: 1
  - .args:
      - .offset:         0
        .size:           4
        .value_kind:     by_value
      - .offset:         8
        .size:           352
        .value_kind:     by_value
    .group_segment_fixed_size: 0
    .kernarg_segment_align: 8
    .kernarg_segment_size: 360
    .language:       OpenCL C
    .language_version:
      - 2
      - 0
    .max_flat_workgroup_size: 128
    .name:           _ZN2at6native32elementwise_kernel_manual_unrollILi128ELi4EZNS0_15gpu_kernel_implIZZZNS0_16atan_kernel_cudaERNS_18TensorIteratorBaseEENKUlvE0_clEvENKUlvE_clEvEUldE_EEvS4_RKT_EUlibE0_EEviT1_
    .private_segment_fixed_size: 0
    .sgpr_count:     70
    .sgpr_spill_count: 0
    .symbol:         _ZN2at6native32elementwise_kernel_manual_unrollILi128ELi4EZNS0_15gpu_kernel_implIZZZNS0_16atan_kernel_cudaERNS_18TensorIteratorBaseEENKUlvE0_clEvENKUlvE_clEvEUldE_EEvS4_RKT_EUlibE0_EEviT1_.kd
    .uniform_work_group_size: 1
    .uses_dynamic_stack: false
    .vgpr_count:     25
    .vgpr_spill_count: 0
    .wavefront_size: 32
    .workgroup_processor_mode: 1
  - .args:
      - .offset:         0
        .size:           4
        .value_kind:     by_value
      - .offset:         4
        .size:           1
        .value_kind:     by_value
      - .offset:         8
        .size:           16
        .value_kind:     by_value
    .group_segment_fixed_size: 0
    .kernarg_segment_align: 8
    .kernarg_segment_size: 24
    .language:       OpenCL C
    .language_version:
      - 2
      - 0
    .max_flat_workgroup_size: 256
    .name:           _ZN2at6native29vectorized_elementwise_kernelILi16EZZZNS0_16atan_kernel_cudaERNS_18TensorIteratorBaseEENKUlvE0_clEvENKUlvE0_clEvEUlfE_St5arrayIPcLm2EEEEviT0_T1_
    .private_segment_fixed_size: 0
    .sgpr_count:     14
    .sgpr_spill_count: 0
    .symbol:         _ZN2at6native29vectorized_elementwise_kernelILi16EZZZNS0_16atan_kernel_cudaERNS_18TensorIteratorBaseEENKUlvE0_clEvENKUlvE0_clEvEUlfE_St5arrayIPcLm2EEEEviT0_T1_.kd
    .uniform_work_group_size: 1
    .uses_dynamic_stack: false
    .vgpr_count:     18
    .vgpr_spill_count: 0
    .wavefront_size: 32
    .workgroup_processor_mode: 1
  - .args:
      - .offset:         0
        .size:           4
        .value_kind:     by_value
      - .offset:         4
        .size:           1
        .value_kind:     by_value
      - .offset:         8
        .size:           16
        .value_kind:     by_value
    .group_segment_fixed_size: 0
    .kernarg_segment_align: 8
    .kernarg_segment_size: 24
    .language:       OpenCL C
    .language_version:
      - 2
      - 0
    .max_flat_workgroup_size: 256
    .name:           _ZN2at6native29vectorized_elementwise_kernelILi8EZZZNS0_16atan_kernel_cudaERNS_18TensorIteratorBaseEENKUlvE0_clEvENKUlvE0_clEvEUlfE_St5arrayIPcLm2EEEEviT0_T1_
    .private_segment_fixed_size: 0
    .sgpr_count:     14
    .sgpr_spill_count: 0
    .symbol:         _ZN2at6native29vectorized_elementwise_kernelILi8EZZZNS0_16atan_kernel_cudaERNS_18TensorIteratorBaseEENKUlvE0_clEvENKUlvE0_clEvEUlfE_St5arrayIPcLm2EEEEviT0_T1_.kd
    .uniform_work_group_size: 1
    .uses_dynamic_stack: false
    .vgpr_count:     18
    .vgpr_spill_count: 0
    .wavefront_size: 32
    .workgroup_processor_mode: 1
  - .args:
      - .offset:         0
        .size:           4
        .value_kind:     by_value
      - .offset:         4
        .size:           1
        .value_kind:     by_value
      - .offset:         8
        .size:           16
        .value_kind:     by_value
    .group_segment_fixed_size: 0
    .kernarg_segment_align: 8
    .kernarg_segment_size: 24
    .language:       OpenCL C
    .language_version:
      - 2
      - 0
    .max_flat_workgroup_size: 256
    .name:           _ZN2at6native29vectorized_elementwise_kernelILi4EZZZNS0_16atan_kernel_cudaERNS_18TensorIteratorBaseEENKUlvE0_clEvENKUlvE0_clEvEUlfE_St5arrayIPcLm2EEEEviT0_T1_
    .private_segment_fixed_size: 0
    .sgpr_count:     14
    .sgpr_spill_count: 0
    .symbol:         _ZN2at6native29vectorized_elementwise_kernelILi4EZZZNS0_16atan_kernel_cudaERNS_18TensorIteratorBaseEENKUlvE0_clEvENKUlvE0_clEvEUlfE_St5arrayIPcLm2EEEEviT0_T1_.kd
    .uniform_work_group_size: 1
    .uses_dynamic_stack: false
    .vgpr_count:     18
    .vgpr_spill_count: 0
    .wavefront_size: 32
    .workgroup_processor_mode: 1
  - .args:
      - .offset:         0
        .size:           4
        .value_kind:     by_value
      - .offset:         4
        .size:           1
        .value_kind:     by_value
      - .offset:         8
        .size:           16
        .value_kind:     by_value
    .group_segment_fixed_size: 0
    .kernarg_segment_align: 8
    .kernarg_segment_size: 24
    .language:       OpenCL C
    .language_version:
      - 2
      - 0
    .max_flat_workgroup_size: 256
    .name:           _ZN2at6native29vectorized_elementwise_kernelILi2EZZZNS0_16atan_kernel_cudaERNS_18TensorIteratorBaseEENKUlvE0_clEvENKUlvE0_clEvEUlfE_St5arrayIPcLm2EEEEviT0_T1_
    .private_segment_fixed_size: 0
    .sgpr_count:     14
    .sgpr_spill_count: 0
    .symbol:         _ZN2at6native29vectorized_elementwise_kernelILi2EZZZNS0_16atan_kernel_cudaERNS_18TensorIteratorBaseEENKUlvE0_clEvENKUlvE0_clEvEUlfE_St5arrayIPcLm2EEEEviT0_T1_.kd
    .uniform_work_group_size: 1
    .uses_dynamic_stack: false
    .vgpr_count:     18
    .vgpr_spill_count: 0
    .wavefront_size: 32
    .workgroup_processor_mode: 1
  - .args:
      - .offset:         0
        .size:           4
        .value_kind:     by_value
      - .offset:         4
        .size:           1
        .value_kind:     by_value
      - .offset:         8
        .size:           16
        .value_kind:     by_value
      - .offset:         24
        .size:           1
        .value_kind:     by_value
      - .offset:         25
        .size:           1
        .value_kind:     by_value
      - .offset:         26
        .size:           1
        .value_kind:     by_value
      - .offset:         27
        .size:           1
        .value_kind:     by_value
    .group_segment_fixed_size: 0
    .kernarg_segment_align: 8
    .kernarg_segment_size: 28
    .language:       OpenCL C
    .language_version:
      - 2
      - 0
    .max_flat_workgroup_size: 256
    .name:           _ZN2at6native27unrolled_elementwise_kernelIZZZNS0_16atan_kernel_cudaERNS_18TensorIteratorBaseEENKUlvE0_clEvENKUlvE0_clEvEUlfE_St5arrayIPcLm2EELi4E23TrivialOffsetCalculatorILi1EjESB_NS0_6memory15LoadWithoutCastENSC_16StoreWithoutCastEEEviT_T0_T2_T3_T4_T5_
    .private_segment_fixed_size: 0
    .sgpr_count:     14
    .sgpr_spill_count: 0
    .symbol:         _ZN2at6native27unrolled_elementwise_kernelIZZZNS0_16atan_kernel_cudaERNS_18TensorIteratorBaseEENKUlvE0_clEvENKUlvE0_clEvEUlfE_St5arrayIPcLm2EELi4E23TrivialOffsetCalculatorILi1EjESB_NS0_6memory15LoadWithoutCastENSC_16StoreWithoutCastEEEviT_T0_T2_T3_T4_T5_.kd
    .uniform_work_group_size: 1
    .uses_dynamic_stack: false
    .vgpr_count:     14
    .vgpr_spill_count: 0
    .wavefront_size: 32
    .workgroup_processor_mode: 1
  - .args:
      - .offset:         0
        .size:           4
        .value_kind:     by_value
      - .offset:         8
        .size:           352
        .value_kind:     by_value
    .group_segment_fixed_size: 0
    .kernarg_segment_align: 8
    .kernarg_segment_size: 360
    .language:       OpenCL C
    .language_version:
      - 2
      - 0
    .max_flat_workgroup_size: 128
    .name:           _ZN2at6native32elementwise_kernel_manual_unrollILi128ELi4EZNS0_22gpu_kernel_impl_nocastIZZZNS0_16atan_kernel_cudaERNS_18TensorIteratorBaseEENKUlvE0_clEvENKUlvE0_clEvEUlfE_EEvS4_RKT_EUlibE_EEviT1_
    .private_segment_fixed_size: 0
    .sgpr_count:     58
    .sgpr_spill_count: 0
    .symbol:         _ZN2at6native32elementwise_kernel_manual_unrollILi128ELi4EZNS0_22gpu_kernel_impl_nocastIZZZNS0_16atan_kernel_cudaERNS_18TensorIteratorBaseEENKUlvE0_clEvENKUlvE0_clEvEUlfE_EEvS4_RKT_EUlibE_EEviT1_.kd
    .uniform_work_group_size: 1
    .uses_dynamic_stack: false
    .vgpr_count:     20
    .vgpr_spill_count: 0
    .wavefront_size: 32
    .workgroup_processor_mode: 1
  - .args:
      - .offset:         0
        .size:           4
        .value_kind:     by_value
      - .offset:         8
        .size:           32
        .value_kind:     by_value
    .group_segment_fixed_size: 0
    .kernarg_segment_align: 8
    .kernarg_segment_size: 40
    .language:       OpenCL C
    .language_version:
      - 2
      - 0
    .max_flat_workgroup_size: 128
    .name:           _ZN2at6native32elementwise_kernel_manual_unrollILi128ELi4EZNS0_15gpu_kernel_implIZZZNS0_16atan_kernel_cudaERNS_18TensorIteratorBaseEENKUlvE0_clEvENKUlvE0_clEvEUlfE_EEvS4_RKT_EUlibE_EEviT1_
    .private_segment_fixed_size: 0
    .sgpr_count:     28
    .sgpr_spill_count: 0
    .symbol:         _ZN2at6native32elementwise_kernel_manual_unrollILi128ELi4EZNS0_15gpu_kernel_implIZZZNS0_16atan_kernel_cudaERNS_18TensorIteratorBaseEENKUlvE0_clEvENKUlvE0_clEvEUlfE_EEvS4_RKT_EUlibE_EEviT1_.kd
    .uniform_work_group_size: 1
    .uses_dynamic_stack: false
    .vgpr_count:     12
    .vgpr_spill_count: 0
    .wavefront_size: 32
    .workgroup_processor_mode: 1
  - .args:
      - .offset:         0
        .size:           4
        .value_kind:     by_value
      - .offset:         8
        .size:           352
        .value_kind:     by_value
    .group_segment_fixed_size: 0
    .kernarg_segment_align: 8
    .kernarg_segment_size: 360
    .language:       OpenCL C
    .language_version:
      - 2
      - 0
    .max_flat_workgroup_size: 128
    .name:           _ZN2at6native32elementwise_kernel_manual_unrollILi128ELi4EZNS0_15gpu_kernel_implIZZZNS0_16atan_kernel_cudaERNS_18TensorIteratorBaseEENKUlvE0_clEvENKUlvE0_clEvEUlfE_EEvS4_RKT_EUlibE0_EEviT1_
    .private_segment_fixed_size: 0
    .sgpr_count:     70
    .sgpr_spill_count: 0
    .symbol:         _ZN2at6native32elementwise_kernel_manual_unrollILi128ELi4EZNS0_15gpu_kernel_implIZZZNS0_16atan_kernel_cudaERNS_18TensorIteratorBaseEENKUlvE0_clEvENKUlvE0_clEvEUlfE_EEvS4_RKT_EUlibE0_EEviT1_.kd
    .uniform_work_group_size: 1
    .uses_dynamic_stack: false
    .vgpr_count:     18
    .vgpr_spill_count: 0
    .wavefront_size: 32
    .workgroup_processor_mode: 1
  - .args:
      - .offset:         0
        .size:           4
        .value_kind:     by_value
      - .offset:         4
        .size:           1
        .value_kind:     by_value
      - .offset:         8
        .size:           16
        .value_kind:     by_value
    .group_segment_fixed_size: 0
    .kernarg_segment_align: 8
    .kernarg_segment_size: 24
    .language:       OpenCL C
    .language_version:
      - 2
      - 0
    .max_flat_workgroup_size: 256
    .name:           _ZN2at6native29vectorized_elementwise_kernelILi16EZZZNS0_16atan_kernel_cudaERNS_18TensorIteratorBaseEENKUlvE0_clEvENKUlvE1_clEvEUlN3c104HalfEE_St5arrayIPcLm2EEEEviT0_T1_
    .private_segment_fixed_size: 0
    .sgpr_count:     18
    .sgpr_spill_count: 0
    .symbol:         _ZN2at6native29vectorized_elementwise_kernelILi16EZZZNS0_16atan_kernel_cudaERNS_18TensorIteratorBaseEENKUlvE0_clEvENKUlvE1_clEvEUlN3c104HalfEE_St5arrayIPcLm2EEEEviT0_T1_.kd
    .uniform_work_group_size: 1
    .uses_dynamic_stack: false
    .vgpr_count:     34
    .vgpr_spill_count: 0
    .wavefront_size: 32
    .workgroup_processor_mode: 1
  - .args:
      - .offset:         0
        .size:           4
        .value_kind:     by_value
      - .offset:         4
        .size:           1
        .value_kind:     by_value
      - .offset:         8
        .size:           16
        .value_kind:     by_value
    .group_segment_fixed_size: 0
    .kernarg_segment_align: 8
    .kernarg_segment_size: 24
    .language:       OpenCL C
    .language_version:
      - 2
      - 0
    .max_flat_workgroup_size: 256
    .name:           _ZN2at6native29vectorized_elementwise_kernelILi8EZZZNS0_16atan_kernel_cudaERNS_18TensorIteratorBaseEENKUlvE0_clEvENKUlvE1_clEvEUlN3c104HalfEE_St5arrayIPcLm2EEEEviT0_T1_
    .private_segment_fixed_size: 0
    .sgpr_count:     18
    .sgpr_spill_count: 0
    .symbol:         _ZN2at6native29vectorized_elementwise_kernelILi8EZZZNS0_16atan_kernel_cudaERNS_18TensorIteratorBaseEENKUlvE0_clEvENKUlvE1_clEvEUlN3c104HalfEE_St5arrayIPcLm2EEEEviT0_T1_.kd
    .uniform_work_group_size: 1
    .uses_dynamic_stack: false
    .vgpr_count:     34
    .vgpr_spill_count: 0
    .wavefront_size: 32
    .workgroup_processor_mode: 1
  - .args:
      - .offset:         0
        .size:           4
        .value_kind:     by_value
      - .offset:         4
        .size:           1
        .value_kind:     by_value
      - .offset:         8
        .size:           16
        .value_kind:     by_value
    .group_segment_fixed_size: 0
    .kernarg_segment_align: 8
    .kernarg_segment_size: 24
    .language:       OpenCL C
    .language_version:
      - 2
      - 0
    .max_flat_workgroup_size: 256
    .name:           _ZN2at6native29vectorized_elementwise_kernelILi4EZZZNS0_16atan_kernel_cudaERNS_18TensorIteratorBaseEENKUlvE0_clEvENKUlvE1_clEvEUlN3c104HalfEE_St5arrayIPcLm2EEEEviT0_T1_
    .private_segment_fixed_size: 0
    .sgpr_count:     18
    .sgpr_spill_count: 0
    .symbol:         _ZN2at6native29vectorized_elementwise_kernelILi4EZZZNS0_16atan_kernel_cudaERNS_18TensorIteratorBaseEENKUlvE0_clEvENKUlvE1_clEvEUlN3c104HalfEE_St5arrayIPcLm2EEEEviT0_T1_.kd
    .uniform_work_group_size: 1
    .uses_dynamic_stack: false
    .vgpr_count:     34
    .vgpr_spill_count: 0
    .wavefront_size: 32
    .workgroup_processor_mode: 1
  - .args:
      - .offset:         0
        .size:           4
        .value_kind:     by_value
      - .offset:         4
        .size:           1
        .value_kind:     by_value
      - .offset:         8
        .size:           16
        .value_kind:     by_value
    .group_segment_fixed_size: 0
    .kernarg_segment_align: 8
    .kernarg_segment_size: 24
    .language:       OpenCL C
    .language_version:
      - 2
      - 0
    .max_flat_workgroup_size: 256
    .name:           _ZN2at6native29vectorized_elementwise_kernelILi2EZZZNS0_16atan_kernel_cudaERNS_18TensorIteratorBaseEENKUlvE0_clEvENKUlvE1_clEvEUlN3c104HalfEE_St5arrayIPcLm2EEEEviT0_T1_
    .private_segment_fixed_size: 0
    .sgpr_count:     18
    .sgpr_spill_count: 0
    .symbol:         _ZN2at6native29vectorized_elementwise_kernelILi2EZZZNS0_16atan_kernel_cudaERNS_18TensorIteratorBaseEENKUlvE0_clEvENKUlvE1_clEvEUlN3c104HalfEE_St5arrayIPcLm2EEEEviT0_T1_.kd
    .uniform_work_group_size: 1
    .uses_dynamic_stack: false
    .vgpr_count:     36
    .vgpr_spill_count: 0
    .wavefront_size: 32
    .workgroup_processor_mode: 1
  - .args:
      - .offset:         0
        .size:           4
        .value_kind:     by_value
      - .offset:         4
        .size:           1
        .value_kind:     by_value
      - .offset:         8
        .size:           16
        .value_kind:     by_value
      - .offset:         24
        .size:           1
        .value_kind:     by_value
      - .offset:         25
        .size:           1
        .value_kind:     by_value
      - .offset:         26
        .size:           1
        .value_kind:     by_value
      - .offset:         27
        .size:           1
        .value_kind:     by_value
    .group_segment_fixed_size: 0
    .kernarg_segment_align: 8
    .kernarg_segment_size: 28
    .language:       OpenCL C
    .language_version:
      - 2
      - 0
    .max_flat_workgroup_size: 256
    .name:           _ZN2at6native27unrolled_elementwise_kernelIZZZNS0_16atan_kernel_cudaERNS_18TensorIteratorBaseEENKUlvE0_clEvENKUlvE1_clEvEUlN3c104HalfEE_St5arrayIPcLm2EELi4E23TrivialOffsetCalculatorILi1EjESD_NS0_6memory15LoadWithoutCastENSE_16StoreWithoutCastEEEviT_T0_T2_T3_T4_T5_
    .private_segment_fixed_size: 0
    .sgpr_count:     14
    .sgpr_spill_count: 0
    .symbol:         _ZN2at6native27unrolled_elementwise_kernelIZZZNS0_16atan_kernel_cudaERNS_18TensorIteratorBaseEENKUlvE0_clEvENKUlvE1_clEvEUlN3c104HalfEE_St5arrayIPcLm2EELi4E23TrivialOffsetCalculatorILi1EjESD_NS0_6memory15LoadWithoutCastENSE_16StoreWithoutCastEEEviT_T0_T2_T3_T4_T5_.kd
    .uniform_work_group_size: 1
    .uses_dynamic_stack: false
    .vgpr_count:     10
    .vgpr_spill_count: 0
    .wavefront_size: 32
    .workgroup_processor_mode: 1
  - .args:
      - .offset:         0
        .size:           4
        .value_kind:     by_value
      - .offset:         8
        .size:           352
        .value_kind:     by_value
    .group_segment_fixed_size: 0
    .kernarg_segment_align: 8
    .kernarg_segment_size: 360
    .language:       OpenCL C
    .language_version:
      - 2
      - 0
    .max_flat_workgroup_size: 128
    .name:           _ZN2at6native32elementwise_kernel_manual_unrollILi128ELi8EZNS0_22gpu_kernel_impl_nocastIZZZNS0_16atan_kernel_cudaERNS_18TensorIteratorBaseEENKUlvE0_clEvENKUlvE1_clEvEUlN3c104HalfEE_EEvS4_RKT_EUlibE_EEviT1_
    .private_segment_fixed_size: 0
    .sgpr_count:     58
    .sgpr_spill_count: 0
    .symbol:         _ZN2at6native32elementwise_kernel_manual_unrollILi128ELi8EZNS0_22gpu_kernel_impl_nocastIZZZNS0_16atan_kernel_cudaERNS_18TensorIteratorBaseEENKUlvE0_clEvENKUlvE1_clEvEUlN3c104HalfEE_EEvS4_RKT_EUlibE_EEviT1_.kd
    .uniform_work_group_size: 1
    .uses_dynamic_stack: false
    .vgpr_count:     40
    .vgpr_spill_count: 0
    .wavefront_size: 32
    .workgroup_processor_mode: 1
  - .args:
      - .offset:         0
        .size:           4
        .value_kind:     by_value
      - .offset:         8
        .size:           32
        .value_kind:     by_value
    .group_segment_fixed_size: 0
    .kernarg_segment_align: 8
    .kernarg_segment_size: 40
    .language:       OpenCL C
    .language_version:
      - 2
      - 0
    .max_flat_workgroup_size: 128
    .name:           _ZN2at6native32elementwise_kernel_manual_unrollILi128ELi4EZNS0_15gpu_kernel_implIZZZNS0_16atan_kernel_cudaERNS_18TensorIteratorBaseEENKUlvE0_clEvENKUlvE1_clEvEUlN3c104HalfEE_EEvS4_RKT_EUlibE_EEviT1_
    .private_segment_fixed_size: 0
    .sgpr_count:     28
    .sgpr_spill_count: 0
    .symbol:         _ZN2at6native32elementwise_kernel_manual_unrollILi128ELi4EZNS0_15gpu_kernel_implIZZZNS0_16atan_kernel_cudaERNS_18TensorIteratorBaseEENKUlvE0_clEvENKUlvE1_clEvEUlN3c104HalfEE_EEvS4_RKT_EUlibE_EEviT1_.kd
    .uniform_work_group_size: 1
    .uses_dynamic_stack: false
    .vgpr_count:     12
    .vgpr_spill_count: 0
    .wavefront_size: 32
    .workgroup_processor_mode: 1
  - .args:
      - .offset:         0
        .size:           4
        .value_kind:     by_value
      - .offset:         8
        .size:           352
        .value_kind:     by_value
    .group_segment_fixed_size: 0
    .kernarg_segment_align: 8
    .kernarg_segment_size: 360
    .language:       OpenCL C
    .language_version:
      - 2
      - 0
    .max_flat_workgroup_size: 128
    .name:           _ZN2at6native32elementwise_kernel_manual_unrollILi128ELi4EZNS0_15gpu_kernel_implIZZZNS0_16atan_kernel_cudaERNS_18TensorIteratorBaseEENKUlvE0_clEvENKUlvE1_clEvEUlN3c104HalfEE_EEvS4_RKT_EUlibE0_EEviT1_
    .private_segment_fixed_size: 0
    .sgpr_count:     70
    .sgpr_spill_count: 0
    .symbol:         _ZN2at6native32elementwise_kernel_manual_unrollILi128ELi4EZNS0_15gpu_kernel_implIZZZNS0_16atan_kernel_cudaERNS_18TensorIteratorBaseEENKUlvE0_clEvENKUlvE1_clEvEUlN3c104HalfEE_EEvS4_RKT_EUlibE0_EEviT1_.kd
    .uniform_work_group_size: 1
    .uses_dynamic_stack: false
    .vgpr_count:     18
    .vgpr_spill_count: 0
    .wavefront_size: 32
    .workgroup_processor_mode: 1
  - .args:
      - .offset:         0
        .size:           4
        .value_kind:     by_value
      - .offset:         4
        .size:           1
        .value_kind:     by_value
      - .offset:         8
        .size:           16
        .value_kind:     by_value
    .group_segment_fixed_size: 0
    .kernarg_segment_align: 8
    .kernarg_segment_size: 24
    .language:       OpenCL C
    .language_version:
      - 2
      - 0
    .max_flat_workgroup_size: 256
    .name:           _ZN2at6native29vectorized_elementwise_kernelILi16EZZZNS0_16atan_kernel_cudaERNS_18TensorIteratorBaseEENKUlvE0_clEvENKUlvE2_clEvEUlN3c108BFloat16EE_St5arrayIPcLm2EEEEviT0_T1_
    .private_segment_fixed_size: 0
    .sgpr_count:     18
    .sgpr_spill_count: 0
    .symbol:         _ZN2at6native29vectorized_elementwise_kernelILi16EZZZNS0_16atan_kernel_cudaERNS_18TensorIteratorBaseEENKUlvE0_clEvENKUlvE2_clEvEUlN3c108BFloat16EE_St5arrayIPcLm2EEEEviT0_T1_.kd
    .uniform_work_group_size: 1
    .uses_dynamic_stack: false
    .vgpr_count:     36
    .vgpr_spill_count: 0
    .wavefront_size: 32
    .workgroup_processor_mode: 1
  - .args:
      - .offset:         0
        .size:           4
        .value_kind:     by_value
      - .offset:         4
        .size:           1
        .value_kind:     by_value
      - .offset:         8
        .size:           16
        .value_kind:     by_value
    .group_segment_fixed_size: 0
    .kernarg_segment_align: 8
    .kernarg_segment_size: 24
    .language:       OpenCL C
    .language_version:
      - 2
      - 0
    .max_flat_workgroup_size: 256
    .name:           _ZN2at6native29vectorized_elementwise_kernelILi8EZZZNS0_16atan_kernel_cudaERNS_18TensorIteratorBaseEENKUlvE0_clEvENKUlvE2_clEvEUlN3c108BFloat16EE_St5arrayIPcLm2EEEEviT0_T1_
    .private_segment_fixed_size: 0
    .sgpr_count:     18
    .sgpr_spill_count: 0
    .symbol:         _ZN2at6native29vectorized_elementwise_kernelILi8EZZZNS0_16atan_kernel_cudaERNS_18TensorIteratorBaseEENKUlvE0_clEvENKUlvE2_clEvEUlN3c108BFloat16EE_St5arrayIPcLm2EEEEviT0_T1_.kd
    .uniform_work_group_size: 1
    .uses_dynamic_stack: false
    .vgpr_count:     36
    .vgpr_spill_count: 0
    .wavefront_size: 32
    .workgroup_processor_mode: 1
  - .args:
      - .offset:         0
        .size:           4
        .value_kind:     by_value
      - .offset:         4
        .size:           1
        .value_kind:     by_value
      - .offset:         8
        .size:           16
        .value_kind:     by_value
    .group_segment_fixed_size: 0
    .kernarg_segment_align: 8
    .kernarg_segment_size: 24
    .language:       OpenCL C
    .language_version:
      - 2
      - 0
    .max_flat_workgroup_size: 256
    .name:           _ZN2at6native29vectorized_elementwise_kernelILi4EZZZNS0_16atan_kernel_cudaERNS_18TensorIteratorBaseEENKUlvE0_clEvENKUlvE2_clEvEUlN3c108BFloat16EE_St5arrayIPcLm2EEEEviT0_T1_
    .private_segment_fixed_size: 0
    .sgpr_count:     18
    .sgpr_spill_count: 0
    .symbol:         _ZN2at6native29vectorized_elementwise_kernelILi4EZZZNS0_16atan_kernel_cudaERNS_18TensorIteratorBaseEENKUlvE0_clEvENKUlvE2_clEvEUlN3c108BFloat16EE_St5arrayIPcLm2EEEEviT0_T1_.kd
    .uniform_work_group_size: 1
    .uses_dynamic_stack: false
    .vgpr_count:     34
    .vgpr_spill_count: 0
    .wavefront_size: 32
    .workgroup_processor_mode: 1
  - .args:
      - .offset:         0
        .size:           4
        .value_kind:     by_value
      - .offset:         4
        .size:           1
        .value_kind:     by_value
      - .offset:         8
        .size:           16
        .value_kind:     by_value
    .group_segment_fixed_size: 0
    .kernarg_segment_align: 8
    .kernarg_segment_size: 24
    .language:       OpenCL C
    .language_version:
      - 2
      - 0
    .max_flat_workgroup_size: 256
    .name:           _ZN2at6native29vectorized_elementwise_kernelILi2EZZZNS0_16atan_kernel_cudaERNS_18TensorIteratorBaseEENKUlvE0_clEvENKUlvE2_clEvEUlN3c108BFloat16EE_St5arrayIPcLm2EEEEviT0_T1_
    .private_segment_fixed_size: 0
    .sgpr_count:     18
    .sgpr_spill_count: 0
    .symbol:         _ZN2at6native29vectorized_elementwise_kernelILi2EZZZNS0_16atan_kernel_cudaERNS_18TensorIteratorBaseEENKUlvE0_clEvENKUlvE2_clEvEUlN3c108BFloat16EE_St5arrayIPcLm2EEEEviT0_T1_.kd
    .uniform_work_group_size: 1
    .uses_dynamic_stack: false
    .vgpr_count:     36
    .vgpr_spill_count: 0
    .wavefront_size: 32
    .workgroup_processor_mode: 1
  - .args:
      - .offset:         0
        .size:           4
        .value_kind:     by_value
      - .offset:         4
        .size:           1
        .value_kind:     by_value
      - .offset:         8
        .size:           16
        .value_kind:     by_value
      - .offset:         24
        .size:           1
        .value_kind:     by_value
      - .offset:         25
        .size:           1
        .value_kind:     by_value
      - .offset:         26
        .size:           1
        .value_kind:     by_value
      - .offset:         27
        .size:           1
        .value_kind:     by_value
    .group_segment_fixed_size: 0
    .kernarg_segment_align: 8
    .kernarg_segment_size: 28
    .language:       OpenCL C
    .language_version:
      - 2
      - 0
    .max_flat_workgroup_size: 256
    .name:           _ZN2at6native27unrolled_elementwise_kernelIZZZNS0_16atan_kernel_cudaERNS_18TensorIteratorBaseEENKUlvE0_clEvENKUlvE2_clEvEUlN3c108BFloat16EE_St5arrayIPcLm2EELi4E23TrivialOffsetCalculatorILi1EjESD_NS0_6memory15LoadWithoutCastENSE_16StoreWithoutCastEEEviT_T0_T2_T3_T4_T5_
    .private_segment_fixed_size: 0
    .sgpr_count:     14
    .sgpr_spill_count: 0
    .symbol:         _ZN2at6native27unrolled_elementwise_kernelIZZZNS0_16atan_kernel_cudaERNS_18TensorIteratorBaseEENKUlvE0_clEvENKUlvE2_clEvEUlN3c108BFloat16EE_St5arrayIPcLm2EELi4E23TrivialOffsetCalculatorILi1EjESD_NS0_6memory15LoadWithoutCastENSE_16StoreWithoutCastEEEviT_T0_T2_T3_T4_T5_.kd
    .uniform_work_group_size: 1
    .uses_dynamic_stack: false
    .vgpr_count:     10
    .vgpr_spill_count: 0
    .wavefront_size: 32
    .workgroup_processor_mode: 1
  - .args:
      - .offset:         0
        .size:           4
        .value_kind:     by_value
      - .offset:         8
        .size:           352
        .value_kind:     by_value
    .group_segment_fixed_size: 0
    .kernarg_segment_align: 8
    .kernarg_segment_size: 360
    .language:       OpenCL C
    .language_version:
      - 2
      - 0
    .max_flat_workgroup_size: 128
    .name:           _ZN2at6native32elementwise_kernel_manual_unrollILi128ELi8EZNS0_22gpu_kernel_impl_nocastIZZZNS0_16atan_kernel_cudaERNS_18TensorIteratorBaseEENKUlvE0_clEvENKUlvE2_clEvEUlN3c108BFloat16EE_EEvS4_RKT_EUlibE_EEviT1_
    .private_segment_fixed_size: 0
    .sgpr_count:     58
    .sgpr_spill_count: 0
    .symbol:         _ZN2at6native32elementwise_kernel_manual_unrollILi128ELi8EZNS0_22gpu_kernel_impl_nocastIZZZNS0_16atan_kernel_cudaERNS_18TensorIteratorBaseEENKUlvE0_clEvENKUlvE2_clEvEUlN3c108BFloat16EE_EEvS4_RKT_EUlibE_EEviT1_.kd
    .uniform_work_group_size: 1
    .uses_dynamic_stack: false
    .vgpr_count:     41
    .vgpr_spill_count: 0
    .wavefront_size: 32
    .workgroup_processor_mode: 1
  - .args:
      - .offset:         0
        .size:           4
        .value_kind:     by_value
      - .offset:         8
        .size:           32
        .value_kind:     by_value
    .group_segment_fixed_size: 0
    .kernarg_segment_align: 8
    .kernarg_segment_size: 40
    .language:       OpenCL C
    .language_version:
      - 2
      - 0
    .max_flat_workgroup_size: 128
    .name:           _ZN2at6native32elementwise_kernel_manual_unrollILi128ELi4EZNS0_15gpu_kernel_implIZZZNS0_16atan_kernel_cudaERNS_18TensorIteratorBaseEENKUlvE0_clEvENKUlvE2_clEvEUlN3c108BFloat16EE_EEvS4_RKT_EUlibE_EEviT1_
    .private_segment_fixed_size: 0
    .sgpr_count:     28
    .sgpr_spill_count: 0
    .symbol:         _ZN2at6native32elementwise_kernel_manual_unrollILi128ELi4EZNS0_15gpu_kernel_implIZZZNS0_16atan_kernel_cudaERNS_18TensorIteratorBaseEENKUlvE0_clEvENKUlvE2_clEvEUlN3c108BFloat16EE_EEvS4_RKT_EUlibE_EEviT1_.kd
    .uniform_work_group_size: 1
    .uses_dynamic_stack: false
    .vgpr_count:     12
    .vgpr_spill_count: 0
    .wavefront_size: 32
    .workgroup_processor_mode: 1
  - .args:
      - .offset:         0
        .size:           4
        .value_kind:     by_value
      - .offset:         8
        .size:           352
        .value_kind:     by_value
    .group_segment_fixed_size: 0
    .kernarg_segment_align: 8
    .kernarg_segment_size: 360
    .language:       OpenCL C
    .language_version:
      - 2
      - 0
    .max_flat_workgroup_size: 128
    .name:           _ZN2at6native32elementwise_kernel_manual_unrollILi128ELi4EZNS0_15gpu_kernel_implIZZZNS0_16atan_kernel_cudaERNS_18TensorIteratorBaseEENKUlvE0_clEvENKUlvE2_clEvEUlN3c108BFloat16EE_EEvS4_RKT_EUlibE0_EEviT1_
    .private_segment_fixed_size: 0
    .sgpr_count:     70
    .sgpr_spill_count: 0
    .symbol:         _ZN2at6native32elementwise_kernel_manual_unrollILi128ELi4EZNS0_15gpu_kernel_implIZZZNS0_16atan_kernel_cudaERNS_18TensorIteratorBaseEENKUlvE0_clEvENKUlvE2_clEvEUlN3c108BFloat16EE_EEvS4_RKT_EUlibE0_EEviT1_.kd
    .uniform_work_group_size: 1
    .uses_dynamic_stack: false
    .vgpr_count:     18
    .vgpr_spill_count: 0
    .wavefront_size: 32
    .workgroup_processor_mode: 1
amdhsa.target:   amdgcn-amd-amdhsa--gfx1030
amdhsa.version:
  - 1
  - 2
...

	.end_amdgpu_metadata
